;; amdgpu-corpus repo=ggml-org/llama.cpp kind=compiled arch=gfx950 opt=O3
	.amdgcn_target "amdgcn-amd-amdhsa--gfx950"
	.amdhsa_code_object_version 6
	.section	.text._ZL18flash_attn_ext_f16ILi64ELi64ELi4ELi4ELb0ELb0EEvPKcS1_S1_S1_S1_PKiPfP15HIP_vector_typeIfLj2EEffffjfiS5_IjLj3EEiiiiiiiiiiiliiliiiiil,"axG",@progbits,_ZL18flash_attn_ext_f16ILi64ELi64ELi4ELi4ELb0ELb0EEvPKcS1_S1_S1_S1_PKiPfP15HIP_vector_typeIfLj2EEffffjfiS5_IjLj3EEiiiiiiiiiiiliiliiiiil,comdat
	.globl	_ZL18flash_attn_ext_f16ILi64ELi64ELi4ELi4ELb0ELb0EEvPKcS1_S1_S1_S1_PKiPfP15HIP_vector_typeIfLj2EEffffjfiS5_IjLj3EEiiiiiiiiiiiliiliiiiil ; -- Begin function _ZL18flash_attn_ext_f16ILi64ELi64ELi4ELi4ELb0ELb0EEvPKcS1_S1_S1_S1_PKiPfP15HIP_vector_typeIfLj2EEffffjfiS5_IjLj3EEiiiiiiiiiiiliiliiiiil
	.p2align	8
	.type	_ZL18flash_attn_ext_f16ILi64ELi64ELi4ELi4ELb0ELb0EEvPKcS1_S1_S1_S1_PKiPfP15HIP_vector_typeIfLj2EEffffjfiS5_IjLj3EEiiiiiiiiiiiliiliiiiil,@function
_ZL18flash_attn_ext_f16ILi64ELi64ELi4ELi4ELb0ELb0EEvPKcS1_S1_S1_S1_PKiPfP15HIP_vector_typeIfLj2EEffffjfiS5_IjLj3EEiiiiiiiiiiiliiliiiiil: ; @_ZL18flash_attn_ext_f16ILi64ELi64ELi4ELi4ELb0ELb0EEvPKcS1_S1_S1_S1_PKiPfP15HIP_vector_typeIfLj2EEffffjfiS5_IjLj3EEiiiiiiiiiiiliiliiiiil
; %bb.0:
	s_load_dwordx2 s[4:5], s[0:1], 0x80
	s_load_dwordx4 s[36:39], s[0:1], 0x64
	s_mov_b32 s33, s2
	s_load_dword s44, s[0:1], 0xd0
                                        ; implicit-def: $vgpr124 : SGPR spill to VGPR lane
	s_mov_b32 s6, 0
	s_waitcnt lgkmcnt(0)
	s_abs_i32 s2, s5
	v_cvt_f32_u32_e32 v1, s2
	s_sub_i32 s8, 0, s2
	s_abs_i32 s7, s37
	s_xor_b32 s3, s37, s5
	v_rcp_iflag_f32_e32 v1, v1
	s_ashr_i32 s3, s3, 31
	v_mul_f32_e32 v1, 0x4f7ffffe, v1
	v_cvt_u32_f32_e32 v1, v1
	s_nop 0
	v_readfirstlane_b32 s9, v1
	s_mul_i32 s8, s8, s9
	s_mul_hi_u32 s8, s9, s8
	s_add_i32 s9, s9, s8
	s_mul_hi_u32 s8, s7, s9
	s_mul_i32 s9, s8, s2
	s_sub_i32 s7, s7, s9
	s_add_i32 s10, s8, 1
	s_sub_i32 s9, s7, s2
	s_cmp_ge_u32 s7, s2
	s_cselect_b32 s8, s10, s8
	s_cselect_b32 s7, s9, s7
	s_add_i32 s9, s8, 1
	s_cmp_ge_u32 s7, s2
	s_cselect_b32 s2, s9, s8
	s_add_i32 s4, s4, 63
	s_xor_b32 s2, s2, s3
	s_ashr_i32 s7, s4, 31
	s_sub_i32 s3, s2, s3
	s_lshr_b32 s2, s7, 26
	s_add_i32 s4, s4, s2
	s_add_i32 s2, s36, 3
	s_lshr_b32 s7, s2, 2
	s_add_i32 s2, s3, 3
	s_ashr_i32 s90, s4, 6
	s_ashr_i32 s4, s2, 31
	s_lshr_b32 s4, s4, 30
	s_add_i32 s2, s2, s4
	s_ashr_i32 s2, s2, 2
	s_mul_i32 s87, s7, s90
	s_mul_i32 s88, s87, s2
	;; [unrolled: 1-line block ×4, first 2 shown]
	s_ashr_i32 s10, s2, 31
	s_mul_i32 s4, s10, s33
	s_mul_hi_u32 s5, s2, s33
	v_writelane_b32 v124, s7, 0
	s_add_i32 s7, s5, s4
	s_cmp_lg_u64 s[6:7], 0
	s_mul_i32 s6, s2, s33
	s_cbranch_scc0 .LBB0_159
; %bb.1:
	s_add_u32 s4, s44, 0
	s_addc_u32 s5, 0, 0
	s_xor_b64 s[8:9], s[4:5], 0
	v_cvt_f32_u32_e32 v1, s8
	v_cvt_f32_u32_e32 v2, s9
	s_sub_u32 s11, 0, s8
	s_subb_u32 s14, 0, s9
	v_fmamk_f32 v1, v2, 0x4f800000, v1
	v_rcp_f32_e32 v1, v1
	s_nop 0
	v_mul_f32_e32 v1, 0x5f7ffffc, v1
	v_mul_f32_e32 v2, 0x2f800000, v1
	v_trunc_f32_e32 v2, v2
	v_fmamk_f32 v1, v2, 0xcf800000, v1
	v_cvt_u32_f32_e32 v2, v2
	v_cvt_u32_f32_e32 v1, v1
	v_readfirstlane_b32 s15, v2
	v_readfirstlane_b32 s12, v1
	s_mul_i32 s13, s11, s15
	s_mul_hi_u32 s17, s11, s12
	s_mul_i32 s16, s14, s12
	s_add_i32 s13, s17, s13
	s_add_i32 s13, s13, s16
	s_mul_i32 s18, s11, s12
	s_mul_i32 s17, s12, s13
	s_mul_hi_u32 s19, s12, s18
	s_mul_hi_u32 s16, s12, s13
	s_add_u32 s17, s19, s17
	s_addc_u32 s16, 0, s16
	s_mul_hi_u32 s20, s15, s18
	s_mul_i32 s18, s15, s18
	s_add_u32 s17, s17, s18
	s_mul_hi_u32 s19, s15, s13
	s_addc_u32 s16, s16, s20
	s_addc_u32 s17, s19, 0
	s_mul_i32 s13, s15, s13
	s_add_u32 s13, s16, s13
	s_addc_u32 s16, 0, s17
	s_add_u32 s17, s12, s13
	s_cselect_b64 s[12:13], -1, 0
	s_cmp_lg_u64 s[12:13], 0
	s_addc_u32 s15, s15, s16
	s_mul_i32 s12, s11, s15
	s_mul_hi_u32 s13, s11, s17
	s_add_i32 s12, s13, s12
	s_mul_i32 s14, s14, s17
	s_add_i32 s12, s12, s14
	s_mul_i32 s11, s11, s17
	s_mul_hi_u32 s14, s15, s11
	s_mul_i32 s16, s15, s11
	s_mul_i32 s19, s17, s12
	s_mul_hi_u32 s11, s17, s11
	s_mul_hi_u32 s18, s17, s12
	s_add_u32 s11, s11, s19
	s_addc_u32 s18, 0, s18
	s_add_u32 s11, s11, s16
	s_mul_hi_u32 s13, s15, s12
	s_addc_u32 s11, s18, s14
	s_addc_u32 s13, s13, 0
	s_mul_i32 s12, s15, s12
	s_add_u32 s11, s11, s12
	s_addc_u32 s14, 0, s13
	s_add_u32 s11, s17, s11
	s_cselect_b64 s[12:13], -1, 0
	s_cmp_lg_u64 s[12:13], 0
	s_addc_u32 s16, s15, s14
	s_ashr_i32 s12, s7, 31
	s_add_u32 s14, s6, s12
	s_mov_b32 s13, s12
	s_addc_u32 s15, s7, s12
	s_xor_b64 s[14:15], s[14:15], s[12:13]
	s_mul_i32 s17, s14, s16
	s_mul_hi_u32 s18, s14, s11
	s_mul_hi_u32 s7, s14, s16
	s_add_u32 s17, s18, s17
	s_addc_u32 s7, 0, s7
	s_mul_hi_u32 s19, s15, s11
	s_mul_i32 s11, s15, s11
	s_add_u32 s11, s17, s11
	s_mul_hi_u32 s18, s15, s16
	s_addc_u32 s7, s7, s19
	s_addc_u32 s11, s18, 0
	s_mul_i32 s16, s15, s16
	s_add_u32 s7, s7, s16
	s_addc_u32 s11, 0, s11
	s_mul_i32 s16, s8, s11
	s_mul_hi_u32 s17, s8, s7
	s_add_i32 s16, s17, s16
	s_mul_i32 s17, s9, s7
	s_add_i32 s20, s16, s17
	s_sub_i32 s18, s15, s20
	s_mul_i32 s16, s8, s7
	s_sub_u32 s14, s14, s16
	s_cselect_b64 s[16:17], -1, 0
	s_cmp_lg_u64 s[16:17], 0
	s_subb_u32 s21, s18, s9
	s_sub_u32 s22, s14, s8
	s_cselect_b64 s[18:19], -1, 0
	s_cmp_lg_u64 s[18:19], 0
	s_subb_u32 s18, s21, 0
	s_cmp_ge_u32 s18, s9
	s_cselect_b32 s19, -1, 0
	s_cmp_ge_u32 s22, s8
	s_cselect_b32 s21, -1, 0
	s_cmp_eq_u32 s18, s9
	s_cselect_b32 s18, s21, s19
	s_add_u32 s19, s7, 1
	s_addc_u32 s21, s11, 0
	s_add_u32 s22, s7, 2
	s_addc_u32 s23, s11, 0
	s_cmp_lg_u32 s18, 0
	s_cselect_b32 s18, s22, s19
	s_cselect_b32 s19, s23, s21
	s_cmp_lg_u64 s[16:17], 0
	s_subb_u32 s15, s15, s20
	s_cmp_ge_u32 s15, s9
	s_cselect_b32 s16, -1, 0
	s_cmp_ge_u32 s14, s8
	s_cselect_b32 s8, -1, 0
	s_cmp_eq_u32 s15, s9
	s_cselect_b32 s8, s8, s16
	s_cmp_lg_u32 s8, 0
	s_cselect_b32 s9, s19, s11
	s_cselect_b32 s8, s18, s7
	s_xor_b64 s[12:13], s[12:13], 0
	s_xor_b64 s[8:9], s[8:9], s[12:13]
	s_sub_u32 s54, s8, s12
	s_load_dwordx2 s[46:47], s[0:1], 0x74
	v_cvt_f32_u32_e32 v1, s44
	s_cbranch_execnz .LBB0_3
.LBB0_2:
	v_rcp_iflag_f32_e32 v2, v1
	s_sub_i32 s4, 0, s44
	v_mul_f32_e32 v2, 0x4f7ffffe, v2
	v_cvt_u32_f32_e32 v2, v2
	s_nop 0
	v_readfirstlane_b32 s5, v2
	s_mul_i32 s4, s4, s5
	s_mul_hi_u32 s4, s5, s4
	s_add_i32 s5, s5, s4
	s_mul_hi_u32 s4, s6, s5
	s_mul_i32 s7, s4, s44
	s_sub_i32 s6, s6, s7
	s_add_i32 s5, s4, 1
	s_sub_i32 s7, s6, s44
	s_cmp_ge_u32 s6, s44
	s_cselect_b32 s4, s5, s4
	s_cselect_b32 s6, s7, s6
	s_add_i32 s5, s4, 1
	s_cmp_ge_u32 s6, s44
	s_cselect_b32 s54, s5, s4
.LBB0_3:
	s_add_i32 s4, s33, 1
	s_mul_i32 s5, s10, s4
	s_mul_hi_u32 s6, s2, s4
	s_add_i32 s9, s6, s5
	s_mov_b32 s8, 0
	s_cmp_lg_u64 s[8:9], 0
	s_mul_i32 s2, s2, s4
	s_cbranch_scc0 .LBB0_160
; %bb.4:
	s_add_u32 s4, s44, 0
	s_addc_u32 s5, 0, 0
	s_xor_b64 s[6:7], s[4:5], 0
	v_cvt_f32_u32_e32 v2, s6
	v_cvt_f32_u32_e32 v3, s7
	s_sub_u32 s8, 0, s6
	s_subb_u32 s12, 0, s7
	v_fmamk_f32 v2, v3, 0x4f800000, v2
	v_rcp_f32_e32 v2, v2
	s_nop 0
	v_mul_f32_e32 v2, 0x5f7ffffc, v2
	v_mul_f32_e32 v3, 0x2f800000, v2
	v_trunc_f32_e32 v3, v3
	v_fmamk_f32 v2, v3, 0xcf800000, v2
	v_cvt_u32_f32_e32 v3, v3
	v_cvt_u32_f32_e32 v2, v2
	v_readfirstlane_b32 s13, v3
	v_readfirstlane_b32 s10, v2
	s_mul_i32 s11, s8, s13
	s_mul_hi_u32 s15, s8, s10
	s_mul_i32 s14, s12, s10
	s_add_i32 s11, s15, s11
	s_add_i32 s11, s11, s14
	s_mul_i32 s16, s8, s10
	s_mul_i32 s15, s10, s11
	s_mul_hi_u32 s17, s10, s16
	s_mul_hi_u32 s14, s10, s11
	s_add_u32 s15, s17, s15
	s_addc_u32 s14, 0, s14
	s_mul_hi_u32 s18, s13, s16
	s_mul_i32 s16, s13, s16
	s_add_u32 s15, s15, s16
	s_mul_hi_u32 s17, s13, s11
	s_addc_u32 s14, s14, s18
	s_addc_u32 s15, s17, 0
	s_mul_i32 s11, s13, s11
	s_add_u32 s11, s14, s11
	s_addc_u32 s14, 0, s15
	s_add_u32 s15, s10, s11
	s_cselect_b64 s[10:11], -1, 0
	s_cmp_lg_u64 s[10:11], 0
	s_addc_u32 s13, s13, s14
	s_mul_i32 s10, s8, s13
	s_mul_hi_u32 s11, s8, s15
	s_add_i32 s10, s11, s10
	s_mul_i32 s12, s12, s15
	s_add_i32 s10, s10, s12
	s_mul_i32 s8, s8, s15
	s_mul_hi_u32 s12, s13, s8
	s_mul_i32 s14, s13, s8
	s_mul_i32 s17, s15, s10
	s_mul_hi_u32 s8, s15, s8
	s_mul_hi_u32 s16, s15, s10
	s_add_u32 s8, s8, s17
	s_addc_u32 s16, 0, s16
	s_add_u32 s8, s8, s14
	s_mul_hi_u32 s11, s13, s10
	s_addc_u32 s8, s16, s12
	s_addc_u32 s11, s11, 0
	s_mul_i32 s10, s13, s10
	s_add_u32 s8, s8, s10
	s_addc_u32 s12, 0, s11
	s_add_u32 s14, s15, s8
	s_cselect_b64 s[10:11], -1, 0
	s_cmp_lg_u64 s[10:11], 0
	s_addc_u32 s12, s13, s12
	s_ashr_i32 s10, s9, 31
	s_add_u32 s8, s2, s10
	s_mov_b32 s11, s10
	s_addc_u32 s9, s9, s10
	s_xor_b64 s[8:9], s[8:9], s[10:11]
	s_mul_i32 s15, s8, s12
	s_mul_hi_u32 s16, s8, s14
	s_mul_hi_u32 s13, s8, s12
	s_add_u32 s15, s16, s15
	s_addc_u32 s13, 0, s13
	s_mul_hi_u32 s17, s9, s14
	s_mul_i32 s14, s9, s14
	s_add_u32 s14, s15, s14
	s_mul_hi_u32 s16, s9, s12
	s_addc_u32 s13, s13, s17
	s_addc_u32 s14, s16, 0
	s_mul_i32 s12, s9, s12
	s_add_u32 s16, s13, s12
	s_addc_u32 s17, 0, s14
	s_mul_i32 s12, s6, s17
	s_mul_hi_u32 s13, s6, s16
	s_add_i32 s12, s13, s12
	s_mul_i32 s13, s7, s16
	s_add_i32 s18, s12, s13
	s_sub_i32 s14, s9, s18
	s_mul_i32 s12, s6, s16
	s_sub_u32 s8, s8, s12
	s_cselect_b64 s[12:13], -1, 0
	s_cmp_lg_u64 s[12:13], 0
	s_subb_u32 s19, s14, s7
	s_sub_u32 s20, s8, s6
	s_cselect_b64 s[14:15], -1, 0
	s_cmp_lg_u64 s[14:15], 0
	s_subb_u32 s14, s19, 0
	s_cmp_ge_u32 s14, s7
	s_cselect_b32 s15, -1, 0
	s_cmp_ge_u32 s20, s6
	s_cselect_b32 s19, -1, 0
	s_cmp_eq_u32 s14, s7
	s_cselect_b32 s14, s19, s15
	s_add_u32 s15, s16, 1
	s_addc_u32 s19, s17, 0
	s_add_u32 s20, s16, 2
	s_addc_u32 s21, s17, 0
	s_cmp_lg_u32 s14, 0
	s_cselect_b32 s14, s20, s15
	s_cselect_b32 s15, s21, s19
	s_cmp_lg_u64 s[12:13], 0
	s_subb_u32 s9, s9, s18
	s_cmp_ge_u32 s9, s7
	s_cselect_b32 s12, -1, 0
	s_cmp_ge_u32 s8, s6
	s_cselect_b32 s6, -1, 0
	s_cmp_eq_u32 s9, s7
	s_cselect_b32 s6, s6, s12
	s_cmp_lg_u32 s6, 0
	s_cselect_b32 s7, s15, s17
	s_cselect_b32 s6, s14, s16
	s_xor_b64 s[8:9], s[10:11], 0
	s_xor_b64 s[6:7], s[6:7], s[8:9]
	s_sub_u32 s58, s6, s8
	s_load_dwordx2 s[34:35], s[0:1], 0x5c
	s_cbranch_execnz .LBB0_6
.LBB0_5:
	v_rcp_iflag_f32_e32 v1, v1
	s_sub_i32 s4, 0, s44
	v_mul_f32_e32 v1, 0x4f7ffffe, v1
	v_cvt_u32_f32_e32 v1, v1
	s_nop 0
	v_readfirstlane_b32 s5, v1
	s_mul_i32 s4, s4, s5
	s_mul_hi_u32 s4, s5, s4
	s_add_i32 s5, s5, s4
	s_mul_hi_u32 s4, s2, s5
	s_mul_i32 s6, s4, s44
	s_sub_i32 s2, s2, s6
	s_add_i32 s5, s4, 1
	s_sub_i32 s6, s2, s44
	s_cmp_ge_u32 s2, s44
	s_cselect_b32 s4, s5, s4
	s_cselect_b32 s2, s6, s2
	s_add_i32 s5, s4, 1
	s_cmp_ge_u32 s2, s44
	s_cselect_b32 s58, s5, s4
.LBB0_6:
	s_abs_i32 s91, s90
	v_cvt_f32_u32_e32 v1, s91
	s_load_dwordx16 s[16:31], s[0:1], 0x0
	s_load_dword s2, s[0:1], 0x40
	s_load_dwordx2 s[4:5], s[0:1], 0x8c
	s_load_dwordx4 s[40:43], s[0:1], 0x98
	s_load_dwordx2 s[48:49], s[0:1], 0xa8
	s_load_dwordx2 s[56:57], s[0:1], 0xb8
	;; [unrolled: 1-line block ×3, first 2 shown]
	s_waitcnt lgkmcnt(0)
	s_mov_b32 s1, s5
	s_ashr_i32 s38, s4, 2
	v_rcp_iflag_f32_e32 v1, v1
	s_sub_i32 s4, 0, s91
	v_writelane_b32 v124, s0, 1
	s_ashr_i32 s55, s39, 3
	v_mul_f32_e32 v1, 0x4f7ffffe, v1
	v_cvt_u32_f32_e32 v1, v1
	v_writelane_b32 v124, s1, 2
	s_ashr_i32 s1, s90, 31
	v_writelane_b32 v124, s1, 3
	v_readfirstlane_b32 s52, v1
	s_mul_i32 s4, s4, s52
	s_mul_hi_u32 s4, s52, s4
	s_abs_i32 s1, s54
	s_add_i32 s52, s52, s4
	s_mul_hi_u32 s4, s1, s52
	s_mul_i32 s4, s4, s91
	s_sub_i32 s1, s1, s4
	s_ashr_i32 s53, s46, 3
	s_ashr_i32 s62, s57, 1
	;; [unrolled: 1-line block ×4, first 2 shown]
	s_sub_i32 s4, s1, s91
	s_cmp_ge_u32 s1, s91
	s_cselect_b32 s1, s4, s1
	s_sub_i32 s4, s1, s91
	s_cmp_ge_u32 s1, s91
	s_cselect_b32 s1, s4, s1
	s_xor_b32 s1, s1, s0
	s_sub_i32 s82, s1, s0
	s_sub_i32 s0, s58, s54
	s_add_i32 s4, s0, s82
	s_min_i32 s65, s90, s4
	s_cmp_gt_i32 s58, s54
	s_cselect_b64 s[8:9], -1, 0
	s_cmp_le_i32 s58, s54
	s_cselect_b64 s[0:1], -1, 0
	s_cmp_gt_i32 s90, s4
	v_cvt_f16_f32_e32 v1, s2
	s_cselect_b64 s[4:5], -1, 0
	s_or_b64 s[0:1], s[4:5], s[0:1]
	v_bfe_u32 v17, v0, 5, 5
	v_bfe_u32 v35, v0, 10, 10
	s_mov_b32 s61, 0
	s_and_b64 vcc, exec, s[0:1]
	v_lshl_add_u32 v43, v35, 1, v17
	v_and_b32_e32 v16, 31, v0
	v_lshlrev_b32_e32 v39, 2, v35
	v_lshlrev_b32_e32 v37, 4, v35
	v_mbcnt_lo_u32_b32 v41, -1, 0
	s_cbranch_vccz .LBB0_9
; %bb.7:
	s_andn2_b64 vcc, exec, s[8:9]
	s_cbranch_vccz .LBB0_144
.LBB0_8:
	s_endpgm
.LBB0_9:
	v_and_b32_e32 v3, 0x3f0, v39
	s_movk_i32 s2, 0x90
	v_and_b32_e32 v5, 15, v0
	v_lshrrev_b32_e32 v8, 1, v0
	v_mad_u32_u24 v4, v3, s2, 0
	v_mul_u32_u24_e32 v6, 0x90, v5
	v_and_b32_e32 v8, 0x78, v8
	v_add3_u32 v47, v4, v6, v8
	v_and_b32_e32 v4, 0x3ff, v0
	v_lshlrev_b32_e32 v9, 1, v4
	v_and_b32_e32 v14, 62, v9
	v_bfe_u32 v7, v0, 3, 7
	v_mul_u32_u24_e32 v70, 0x90, v43
	v_lshlrev_b32_e32 v9, 1, v14
	v_lshlrev_b32_e32 v11, 2, v4
	v_add3_u32 v71, 0, v70, v9
	v_lshl_add_u32 v9, v35, 3, v7
	v_and_b32_e32 v20, 28, v11
	v_mul_u32_u24_e32 v10, 0x90, v9
	v_lshlrev_b32_e32 v11, 2, v20
	v_add3_u32 v72, 0, v10, v11
	v_and_b32_e32 v10, 48, v37
	v_mad_u32_u24 v11, v10, s2, 0
	v_add3_u32 v73, v11, v6, v8
	v_lshrrev_b16_e32 v6, 2, v4
	v_and_b32_e32 v6, 60, v6
	v_and_or_b32 v3, v0, 12, v3
	v_add_u16_e32 v6, v10, v6
	v_lshrrev_b32_e32 v3, 2, v3
	v_lshrrev_b16_e32 v6, 1, v6
	v_mul_u32_u24_e32 v3, 0x90, v3
	v_lshlrev_b32_e32 v6, 2, v6
	v_add3_u32 v74, 0, v3, v6
	v_lshlrev_b32_e32 v3, 1, v7
	v_and_b32_e32 v6, 60, v3
	v_or_b32_e32 v7, 2, v3
	v_or_b32_e32 v3, 3, v3
	v_mul_lo_u32 v22, s38, v9
	v_mul_lo_u32 v26, s14, v9
	v_mul_u32_u24_e32 v3, 0x90, v3
	v_lshlrev_b32_e32 v9, 1, v5
	v_add3_u32 v77, v11, v3, v9
	v_bfe_u32 v3, v0, 10, 2
	v_cmp_eq_u32_e64 s[10:11], 0, v3
	v_cmp_ne_u32_e64 s[4:5], 0, v3
	v_add_u32_e32 v3, v37, v4
	v_mul_u32_u24_e32 v78, 0x90, v3
	v_or_b32_e32 v3, v39, v4
	v_lshlrev_b32_e32 v18, 3, v3
	v_or_b32_e32 v3, v37, v5
	v_mul_u32_u24_e32 v80, 0x90, v3
	v_lshrrev_b32_e32 v3, 10, v0
	v_bfe_u32 v3, v3, 1, 9
	v_cmp_gt_u32_e64 s[6:7], 16, v4
	v_add_u32_e32 v4, v3, v17
	v_add_u32_e32 v3, 8, v43
	v_lshrrev_b32_e32 v81, 2, v3
	v_mul_u32_u24_e32 v82, 0x90, v3
	v_lshlrev_b32_e32 v3, 2, v4
	v_and_b32_e32 v5, 15, v4
	s_movk_i32 s2, 0x3c0
	v_mul_u32_u24_e32 v6, 0x90, v6
	v_and_or_b32 v3, v3, s2, v5
	v_add_u32_e32 v5, 2, v4
	v_add3_u32 v75, v11, v6, v9
	v_mul_u32_u24_e32 v83, 0x90, v3
	v_lshlrev_b32_e32 v3, 2, v5
	v_and_b32_e32 v6, 15, v5
	s_movk_i32 s2, 0x7c0
	v_and_or_b32 v3, v3, s2, v6
	v_mul_u32_u24_e32 v84, 0x90, v3
	v_add_u32_e32 v3, 4, v4
	v_lshrrev_b32_e32 v85, 2, v3
	v_lshlrev_b32_e32 v6, 2, v3
	v_and_b32_e32 v3, 15, v3
	v_mul_u32_u24_e32 v7, 0x90, v7
	v_and_or_b32 v3, v6, s2, v3
	v_add_u32_e32 v6, 6, v4
	v_add3_u32 v76, v11, v7, v9
	v_mul_u32_u24_e32 v86, 0x90, v3
	v_lshlrev_b32_e32 v3, 2, v6
	v_and_b32_e32 v7, 15, v6
	v_and_or_b32 v3, v3, s2, v7
	v_mul_u32_u24_e32 v87, 0x90, v3
	v_add_u32_e32 v3, 8, v4
	s_cmp_eq_u64 s[24:25], 0
	v_lshrrev_b32_e32 v88, 2, v3
	v_lshlrev_b32_e32 v7, 2, v3
	v_and_b32_e32 v3, 15, v3
	v_writelane_b32 v124, s44, 4
	s_cselect_b64 s[0:1], -1, 0
	v_and_or_b32 v3, v7, s2, v3
	v_add_u32_e32 v7, 10, v4
	v_writelane_b32 v124, s0, 5
	s_cmp_lg_u64 s[26:27], 0
	v_add_u32_e32 v79, 0, v8
	v_mul_u32_u24_e32 v89, 0x90, v3
	v_lshlrev_b32_e32 v3, 2, v7
	v_and_b32_e32 v8, 15, v7
	v_writelane_b32 v124, s1, 6
	s_cselect_b64 s[0:1], -1, 0
	s_lshl_b32 s60, s33, 4
	v_and_or_b32 v3, v3, s2, v8
	s_ashr_i32 s63, s62, 31
	s_ashr_i32 s39, s38, 31
	;; [unrolled: 1-line block ×3, first 2 shown]
	s_lshl_b64 s[8:9], s[60:61], 3
	v_mul_u32_u24_e32 v90, 0x90, v3
	v_add_u32_e32 v3, 12, v4
	s_add_u32 s8, s30, s8
	v_lshrrev_b32_e32 v91, 2, v3
	v_lshlrev_b32_e32 v8, 2, v3
	v_and_b32_e32 v3, 15, v3
	s_addc_u32 s9, s31, s9
	v_and_or_b32 v3, v8, s2, v3
	s_abs_i32 s57, s89
	v_mul_u32_u24_e32 v92, 0x90, v3
	v_cvt_f32_u32_e32 v3, s57
	v_add_u32_e32 v8, 14, v4
	v_lshlrev_b32_e32 v9, 2, v8
	v_and_b32_e32 v10, 15, v8
	v_rcp_iflag_f32_e32 v3, v3
	v_and_or_b32 v9, v9, s2, v10
	s_abs_i32 s93, s88
	v_mul_u32_u24_e32 v93, 0x90, v9
	v_mul_f32_e32 v3, 0x4f7ffffe, v3
	v_cvt_u32_f32_e32 v3, v3
	v_cvt_f32_u32_e32 v9, s93
	v_writelane_b32 v124, s0, 7
	s_abs_i32 s96, s87
	v_readfirstlane_b32 s12, v3
	v_rcp_iflag_f32_e32 v3, v9
	v_writelane_b32 v124, s1, 8
	v_writelane_b32 v124, s33, 9
	s_ashr_i32 s2, s89, 31
	v_mul_f32_e32 v3, 0x4f7ffffe, v3
	v_cvt_u32_f32_e32 v3, v3
	v_cvt_f32_u32_e32 v9, s96
	v_writelane_b32 v124, s2, 10
	s_sub_i32 s2, 0, s57
	s_mul_i32 s2, s2, s12
	s_mul_hi_u32 s2, s12, s2
	s_add_i32 s2, s12, s2
	v_readfirstlane_b32 s12, v3
	v_rcp_iflag_f32_e32 v3, v9
	s_abs_i32 s98, s56
	v_cvt_f32_u32_e32 v9, s98
	v_writelane_b32 v124, s2, 11
	s_ashr_i32 s2, s88, 31
	v_writelane_b32 v124, s2, 12
	s_sub_i32 s2, 0, s93
	s_mul_i32 s2, s2, s12
	v_mul_f32_e32 v3, 0x4f7ffffe, v3
	s_mul_hi_u32 s2, s12, s2
	v_cvt_u32_f32_e32 v3, v3
	v_rcp_iflag_f32_e32 v9, v9
	s_add_i32 s2, s12, s2
	v_writelane_b32 v124, s2, 13
	s_mov_b32 s2, s56
	v_writelane_b32 v124, s2, 14
	v_readfirstlane_b32 s12, v3
	v_mul_f32_e32 v3, 0x4f7ffffe, v9
	v_writelane_b32 v124, s3, 15
	s_ashr_i32 s2, s87, 31
	v_writelane_b32 v124, s2, 16
	s_sub_i32 s2, 0, s96
	v_cvt_u32_f32_e32 v3, v3
	s_mul_i32 s2, s2, s12
	s_mul_hi_u32 s2, s12, s2
	s_add_i32 s2, s12, s2
	v_writelane_b32 v124, s2, 17
	s_sub_i32 s2, 0, s98
	v_readfirstlane_b32 s12, v3
	s_mul_i32 s2, s2, s12
	s_mul_hi_u32 s2, s12, s2
	s_add_i32 s2, s12, s2
	v_writelane_b32 v124, s2, 18
	s_mov_b32 s2, s62
	v_mov_b32_e32 v19, 0
	v_writelane_b32 v124, s2, 19
	v_lshlrev_b32_e32 v2, 2, v16
	v_lshl_add_u32 v24, s38, 5, v22
	v_lshl_add_u32 v28, s14, 5, v26
	v_mov_b32_e32 v3, v19
	v_writelane_b32 v124, s3, 20
	s_lshl_b64 s[12:13], s[62:63], 1
	s_mov_b32 s0, 0x10001
	v_add_u32_e32 v21, 0, v2
	v_ashrrev_i32_e32 v23, 31, v22
	v_ashrrev_i32_e32 v25, 31, v24
	;; [unrolled: 1-line block ×4, first 2 shown]
	v_lshl_add_u64 v[30:31], s[22:23], 0, v[2:3]
	v_writelane_b32 v124, s12, 21
	v_and_b32_e32 v2, 7, v0
	v_and_b32_e32 v94, 3, v43
	v_mul_lo_u32 v15, v1, s0
	v_cmp_gt_u32_e64 s[0:1], 4, v43
	v_writelane_b32 v124, s13, 22
	v_lshlrev_b32_e32 v32, 4, v2
	v_mov_b32_e32 v33, v19
	s_lshl_b64 s[68:69], s[14:15], 8
	s_lshl_b64 s[70:71], s[38:39], 8
	s_mov_b32 s45, 0x3fb8aa3b
	s_mov_b32 s67, 0xc2ce8ed0
	;; [unrolled: 1-line block ×5, first 2 shown]
	v_add_u32_e32 v95, 0x1200, v72
	v_lshrrev_b32_e32 v96, 2, v43
	v_lshrrev_b32_e32 v97, 2, v4
	v_and_b32_e32 v34, 3, v4
	v_lshrrev_b32_e32 v98, 2, v5
	v_and_b32_e32 v36, 3, v5
	;; [unrolled: 2-line block ×5, first 2 shown]
	v_mbcnt_hi_u32_b32 v102, -1, v41
	v_mov_b32_e32 v103, 0x7f800000
	v_mad_u64_u32 v[44:45], s[12:13], s53, v94, v[16:17]
	v_and_b32_e32 v46, 3, v0
	v_lshl_add_u64 v[48:49], s[8:9], 0, v[18:19]
	v_lshl_add_u64 v[50:51], v[26:27], 2, s[20:21]
	;; [unrolled: 1-line block ×5, first 2 shown]
	v_writelane_b32 v124, s53, 23
	s_branch .LBB0_12
.LBB0_10:                               ;   in Loop: Header=BB0_12 Depth=1
	s_or_b64 exec, exec, s[74:75]
	s_barrier
.LBB0_11:                               ;   in Loop: Header=BB0_12 Depth=1
	s_add_i32 s2, s54, s90
	s_abs_i32 s9, s2
	s_mul_hi_u32 s12, s9, s52
	s_mul_i32 s12, s12, s91
	s_sub_i32 s9, s9, s12
	s_ashr_i32 s8, s2, 31
	s_sub_i32 s12, s9, s91
	s_cmp_ge_u32 s9, s91
	s_cselect_b32 s9, s12, s9
	s_sub_i32 s12, s9, s91
	s_cmp_ge_u32 s9, s91
	s_cselect_b32 s9, s12, s9
	s_xor_b32 s9, s9, s8
	s_sub_i32 s8, s8, s9
	s_add_i32 s54, s2, s8
	s_sub_i32 s2, s58, s54
	s_min_i32 s65, s90, s2
	s_cmp_gt_i32 s58, s54
	s_cselect_b64 s[8:9], -1, 0
	s_cmp_le_i32 s90, s2
	s_cselect_b64 s[12:13], -1, 0
	s_and_b64 s[12:13], s[12:13], s[8:9]
	s_mov_b32 s82, 0
	s_and_b64 vcc, exec, s[12:13]
	s_cbranch_vccz .LBB0_143
.LBB0_12:                               ; =>This Loop Header: Depth=1
                                        ;     Child Loop BB0_92 Depth 2
                                        ;     Child Loop BB0_26 Depth 2
	s_ashr_i32 s2, s54, 31
	v_readlane_b32 s8, v124, 10
	s_xor_b32 s2, s2, s8
	s_abs_i32 s8, s54
	v_readlane_b32 s9, v124, 11
	s_mul_hi_u32 s9, s8, s9
	s_mul_i32 s12, s9, s57
	s_sub_i32 s8, s8, s12
	s_add_i32 s12, s9, 1
	s_sub_i32 s13, s8, s57
	s_cmp_ge_u32 s8, s57
	s_cselect_b32 s9, s12, s9
	s_cselect_b32 s8, s13, s8
	s_add_i32 s12, s9, 1
	s_cmp_ge_u32 s8, s57
	s_cselect_b32 s8, s12, s9
	s_xor_b32 s8, s8, s2
	s_sub_i32 s8, s8, s2
	s_mul_i32 s2, s8, s89
	s_sub_i32 s2, s54, s2
	s_ashr_i32 s9, s2, 31
	v_readlane_b32 s12, v124, 12
	s_xor_b32 s9, s9, s12
	s_abs_i32 s12, s2
	v_readlane_b32 s13, v124, 13
	s_mul_hi_u32 s13, s12, s13
	s_mul_i32 s42, s13, s93
	s_sub_i32 s12, s12, s42
	s_add_i32 s42, s13, 1
	s_sub_i32 s44, s12, s93
	s_cmp_ge_u32 s12, s93
	s_cselect_b32 s13, s42, s13
	s_cselect_b32 s12, s44, s12
	s_add_i32 s42, s13, 1
	s_cmp_ge_u32 s12, s93
	s_cselect_b32 s12, s42, s13
	s_xor_b32 s12, s12, s9
	s_sub_i32 s9, s12, s9
	s_mul_i32 s12, s9, s88
	s_sub_i32 s12, s2, s12
	;; [unrolled: 20-line block ×3, first 2 shown]
	s_ashr_i32 s13, s12, 31
	v_readlane_b32 s42, v124, 3
	s_abs_i32 s12, s12
	s_xor_b32 s13, s13, s42
	s_mul_hi_u32 s42, s12, s52
	s_mul_i32 s44, s42, s91
	s_sub_i32 s12, s12, s44
	s_add_i32 s44, s42, 1
	s_sub_i32 s53, s12, s91
	s_cmp_ge_u32 s12, s91
	s_cselect_b32 s42, s44, s42
	s_cselect_b32 s12, s53, s12
	s_add_i32 s44, s42, 1
	s_cmp_ge_u32 s12, s91
	s_cselect_b32 s12, s44, s42
	v_readlane_b32 s62, v124, 7
	s_xor_b32 s12, s12, s13
	v_readlane_b32 s63, v124, 8
	s_andn2_b64 vcc, exec, s[62:63]
	s_sub_i32 s56, s12, s13
	s_cbranch_vccnz .LBB0_14
; %bb.13:                               ;   in Loop: Header=BB0_12 Depth=1
	v_readlane_b32 s12, v124, 0
	s_mul_i32 s12, s8, s12
	s_add_i32 s12, s56, s12
	s_ashr_i32 s13, s12, 31
	s_lshl_b64 s[12:13], s[12:13], 2
	s_add_u32 s12, s26, s12
	s_addc_u32 s13, s27, s13
	global_load_dword v2, v19, s[12:13]
	s_waitcnt vmcnt(0)
	v_readfirstlane_b32 s12, v2
	s_ashr_i32 s13, s12, 31
	s_lshr_b32 s13, s13, 26
	s_add_i32 s12, s12, s13
	s_ashr_i32 s12, s12, 6
	s_min_i32 s65, s65, s12
.LBB0_14:                               ;   in Loop: Header=BB0_12 Depth=1
	s_mul_i32 s12, s9, s3
	s_lshl_b32 s2, s2, 2
	s_mul_i32 s13, s8, s47
	s_add_i32 s12, s2, s12
	s_ashr_i32 s42, s13, 31
	s_add_u32 s13, s16, s13
	s_mul_i32 s44, s12, s46
	s_addc_u32 s42, s17, s42
	s_ashr_i32 s53, s44, 31
	s_add_u32 s78, s13, s44
	s_addc_u32 s79, s42, s53
	s_ashr_i32 s13, s8, 31
	s_mul_hi_u32 s42, s40, s8
	s_mul_i32 s44, s40, s13
	s_add_i32 s42, s42, s44
	s_mul_i32 s44, s41, s8
	v_readlane_b32 s62, v124, 1
	s_add_i32 s92, s42, s44
	s_mul_i32 s94, s40, s8
	v_readlane_b32 s63, v124, 2
	s_add_u32 s42, s18, s94
	s_mul_i32 s95, s9, s63
	s_addc_u32 s44, s19, s92
	s_ashr_i32 s97, s95, 31
	s_add_u32 s63, s42, s95
	s_addc_u32 s64, s44, s97
	s_abs_i32 s42, s8
	v_readlane_b32 s44, v124, 18
	s_mul_hi_u32 s44, s42, s44
	s_mul_i32 s44, s44, s98
	s_sub_i32 s42, s42, s44
	s_sub_i32 s44, s42, s98
	s_cmp_ge_u32 s42, s98
	s_cselect_b32 s42, s44, s42
	s_sub_i32 s44, s42, s98
	s_cmp_ge_u32 s42, s98
	s_cselect_b32 s42, s44, s42
	s_xor_b32 s42, s42, s13
	s_sub_i32 s42, s42, s13
	s_ashr_i32 s44, s42, 31
	s_mul_i32 s44, s50, s44
	s_mul_hi_u32 s53, s50, s42
	s_add_i32 s44, s53, s44
	s_mul_i32 s53, s51, s42
	s_add_i32 s81, s44, s53
	s_mul_i32 s80, s50, s42
	s_mul_i32 s42, s36, s37
	s_add_u32 s76, s22, s80
	s_mul_i32 s42, s42, s8
	s_addc_u32 s77, s23, s81
	s_add_i32 s42, s12, s42
	s_lshl_b32 s60, s42, 5
	s_lshl_b64 s[72:73], s[60:61], 3
	s_add_u32 s72, s28, s72
	s_mul_hi_u32 s42, s48, s8
	s_mul_i32 s13, s48, s13
	s_addc_u32 s73, s29, s73
	s_add_i32 s13, s42, s13
	s_mul_i32 s42, s49, s8
	s_add_i32 s60, s13, s42
	s_mul_i32 s99, s48, s8
	s_add_u32 s8, s20, s99
	s_mul_i32 s42, s9, s43
	s_addc_u32 s13, s21, s60
	s_ashr_i32 s59, s42, 31
	s_add_u32 s44, s8, s42
	s_addc_u32 s62, s13, s59
	s_ashr_i32 s13, s12, 31
	s_lshl_b64 s[8:9], s[12:13], 2
	s_add_u32 s12, s24, s8
	s_addc_u32 s13, s25, s9
	v_readlane_b32 s8, v124, 5
	v_readlane_b32 s9, v124, 6
	s_and_b64 s[8:9], s[8:9], exec
	s_cselect_b32 s75, 0, s13
	s_cselect_b32 s74, 0, s12
	s_cmp_lg_u32 s82, 0
	v_or_b32_e32 v45, s2, v94
	s_cbranch_scc0 .LBB0_28
; %bb.15:                               ;   in Loop: Header=BB0_12 Depth=1
	s_lshl_b32 s53, s56, 2
	v_add_u32_e32 v2, s53, v96
	v_cmp_le_i32_e64 s[8:9], s3, v45
	v_cmp_le_i32_e64 s[12:13], s36, v2
	v_cmp_gt_i32_e32 vcc, s3, v45
	s_or_b64 s[8:9], s[12:13], s[8:9]
	s_and_saveexec_b64 s[12:13], s[8:9]
	s_xor_b64 s[8:9], exec, s[12:13]
; %bb.16:                               ;   in Loop: Header=BB0_12 Depth=1
	v_add_u32_e32 v2, v21, v70
	ds_write_b32 v2, v19
                                        ; implicit-def: $vgpr2
; %bb.17:                               ;   in Loop: Header=BB0_12 Depth=1
	s_andn2_saveexec_b64 s[8:9], s[8:9]
	s_cbranch_execz .LBB0_19
; %bb.18:                               ;   in Loop: Header=BB0_12 Depth=1
	v_mad_u64_u32 v[2:3], s[12:13], v2, s55, v[44:45]
	v_ashrrev_i32_e32 v3, 31, v2
	v_lshl_add_u64 v[2:3], v[2:3], 3, s[78:79]
	global_load_dwordx2 v[2:3], v[2:3], off
	s_waitcnt vmcnt(0)
	v_cvt_pk_f16_f32 v2, v2, v3
	v_pk_mul_f16 v2, v2, v15
	v_add_u32_e32 v3, v21, v70
	ds_write_b32 v3, v2
.LBB0_19:                               ;   in Loop: Header=BB0_12 Depth=1
	s_or_b64 exec, exec, s[8:9]
	v_add_u32_e32 v2, s53, v81
	v_cmp_le_i32_e64 s[8:9], s36, v2
	s_xor_b64 s[12:13], vcc, -1
	s_or_b64 s[8:9], s[8:9], s[12:13]
	s_and_saveexec_b64 s[12:13], s[8:9]
	s_xor_b64 s[8:9], exec, s[12:13]
; %bb.20:                               ;   in Loop: Header=BB0_12 Depth=1
	v_add_u32_e32 v2, v21, v82
	ds_write_b32 v2, v19
                                        ; implicit-def: $vgpr2
; %bb.21:                               ;   in Loop: Header=BB0_12 Depth=1
	s_andn2_saveexec_b64 s[8:9], s[8:9]
	s_cbranch_execz .LBB0_23
; %bb.22:                               ;   in Loop: Header=BB0_12 Depth=1
	v_mad_u64_u32 v[2:3], s[12:13], v2, s55, v[44:45]
	v_ashrrev_i32_e32 v3, 31, v2
	v_lshl_add_u64 v[2:3], v[2:3], 3, s[78:79]
	global_load_dwordx2 v[2:3], v[2:3], off
	s_waitcnt vmcnt(0)
	v_cvt_pk_f16_f32 v2, v2, v3
	v_pk_mul_f16 v2, v2, v15
	v_add_u32_e32 v3, v21, v82
	ds_write_b32 v3, v2
.LBB0_23:                               ;   in Loop: Header=BB0_12 Depth=1
	s_or_b64 exec, exec, s[8:9]
	s_waitcnt lgkmcnt(0)
	s_barrier
	ds_read2_b64 v[6:9], v47 offset1:4
	ds_read2_b64 v[2:5], v47 offset0:8 offset1:12
	s_add_i32 s83, s65, -1
	s_cmp_ge_i32 s82, s83
	s_waitcnt lgkmcnt(0)
	s_barrier
	s_cbranch_scc1 .LBB0_29
; %bb.24:                               ;   in Loop: Header=BB0_12 Depth=1
	v_add_u32_e32 v10, s53, v43
	v_mul_hi_u32 v11, s34, v10
	v_add_u32_e32 v11, v10, v11
	v_lshrrev_b32_e32 v11, s35, v11
	v_mul_lo_u32 v11, v11, s36
	v_readlane_b32 s8, v124, 19
	v_sub_u32_e32 v10, v10, v11
	v_readlane_b32 s9, v124, 20
	v_mad_i64_i32 v[10:11], s[8:9], v10, s8, 0
	v_lshl_add_u64 v[10:11], v[10:11], 1, s[76:77]
	v_lshlrev_b32_e32 v18, 1, v14
	v_lshl_add_u64 v[58:59], v[10:11], 0, v[18:19]
	v_and_b32_e32 v10, 64, v102
	v_add_u32_e32 v10, 64, v10
	v_xor_b32_e32 v11, 32, v102
	v_cmp_lt_i32_e32 vcc, v11, v10
	s_lshl_b32 s8, s82, 6
	v_mov_b32_e32 v107, 0xfeffffff
	v_cndmask_b32_e32 v11, v102, v11, vcc
	v_lshlrev_b32_e32 v64, 2, v11
	v_xor_b32_e32 v11, 16, v102
	v_cmp_lt_i32_e32 vcc, v11, v10
	v_mov_b32_e32 v106, 0
	v_mov_b32_e32 v105, 0
	v_cndmask_b32_e32 v10, v102, v11, vcc
	v_lshlrev_b32_e32 v65, 2, v10
	v_mov_b32_e32 v10, 0
	v_mov_b32_e32 v11, 0
	;; [unrolled: 1-line block ×7, first 2 shown]
	s_ashr_i32 s9, s8, 31
	s_and_saveexec_b64 s[12:13], s[0:1]
	s_cbranch_execz .LBB0_26
.LBB0_25:                               ;   in Loop: Header=BB0_12 Depth=1
	v_lshl_add_u64 v[12:13], s[8:9], 1, v[58:59]
	global_load_dword v12, v[12:13], off
	s_waitcnt vmcnt(0)
	ds_write_b32 v71, v12 offset:9216
.LBB0_26:                               ;   Parent Loop BB0_12 Depth=1
                                        ; =>  This Inner Loop Header: Depth=2
	s_or_b64 exec, exec, s[12:13]
	s_mul_hi_i32 s13, s8, s38
	s_mul_i32 s12, s8, s38
	s_lshl_b64 s[12:13], s[12:13], 2
	s_add_u32 s12, s63, s12
	s_addc_u32 s13, s64, s13
	v_lshl_add_u64 v[12:13], v[22:23], 2, s[12:13]
	v_lshlrev_b32_e32 v18, 2, v20
	v_lshl_add_u64 v[12:13], v[12:13], 0, v[18:19]
	v_lshl_add_u64 v[60:61], v[24:25], 2, s[12:13]
	;; [unrolled: 1-line block ×3, first 2 shown]
	global_load_dwordx4 v[60:63], v[12:13], off
	v_add_u32_e32 v12, 0x2400, v74
	s_mul_hi_i32 s13, s8, s14
	s_mul_i32 s12, s8, s14
	s_lshl_b64 s[12:13], s[12:13], 2
	s_add_u32 s12, s44, s12
	s_addc_u32 s13, s62, s13
	s_add_i32 s82, s82, 1
	s_add_i32 s8, s8, 64
	s_cmp_lt_i32 s82, s83
	s_waitcnt vmcnt(0)
	ds_write_b128 v72, v[60:63]
	global_load_dwordx4 v[60:63], v[108:109], off
	s_waitcnt vmcnt(0)
	ds_write_b128 v95, v[60:63]
	s_waitcnt lgkmcnt(0)
	s_barrier
	ds_read2_b64 v[60:63], v73 offset1:4
	s_waitcnt lgkmcnt(0)
	v_mfma_f32_16x16x16_f16 v[108:111], v[60:61], v[6:7], 0
	v_mfma_f32_16x16x16_f16 v[60:63], v[62:63], v[8:9], v[108:111]
	s_nop 6
	ds_read2_b64 v[108:111], v73 offset0:8 offset1:12
	s_waitcnt lgkmcnt(0)
	s_barrier
	ds_read2_b32 v[12:13], v12 offset1:1
	v_mfma_f32_16x16x16_f16 v[60:63], v[108:109], v[2:3], v[60:63]
	s_waitcnt lgkmcnt(0)
	v_cvt_f32_f16_e32 v108, v12
	v_cvt_f32_f16_sdwa v12, v12 dst_sel:DWORD dst_unused:UNUSED_PAD src0_sel:WORD_1
	v_mfma_f32_16x16x16_f16 v[60:63], v[110:111], v[4:5], v[60:63]
	s_nop 7
	v_add_f32_e32 v61, v61, v12
	v_cvt_f32_f16_e32 v12, v13
	v_cvt_f32_f16_sdwa v13, v13 dst_sel:DWORD dst_unused:UNUSED_PAD src0_sel:WORD_1
	v_add_f32_e32 v60, v60, v108
	v_add_f32_e32 v62, v62, v12
	;; [unrolled: 1-line block ×5, first 2 shown]
	v_max3_f32 v12, v107, v12, v13
	v_add_f32_e32 v13, 0x40051340, v62
	v_add_f32_e32 v63, 0x40051340, v108
	v_max3_f32 v12, v12, v13, v63
	ds_bpermute_b32 v13, v64, v12
	s_waitcnt lgkmcnt(0)
	v_max_f32_e32 v13, v13, v13
	v_max_f32_e32 v12, v12, v13
	ds_bpermute_b32 v13, v65, v12
	s_waitcnt lgkmcnt(0)
	v_max_f32_e32 v13, v13, v13
	v_max_f32_e32 v63, v12, v13
	v_sub_f32_e32 v12, v60, v63
	v_mul_f32_e32 v13, 0x3fb8aa3b, v12
	v_fma_f32 v60, v12, s45, -v13
	v_rndne_f32_e32 v109, v13
	v_fmac_f32_e32 v60, 0x32a5705f, v12
	v_sub_f32_e32 v13, v13, v109
	v_add_f32_e32 v13, v13, v60
	v_exp_f32_e32 v13, v13
	v_cvt_i32_f32_e32 v60, v109
	v_cmp_ngt_f32_e32 vcc, s67, v12
	v_sub_f32_e32 v107, v107, v63
	v_ldexp_f32 v13, v13, v60
	v_cndmask_b32_e32 v13, 0, v13, vcc
	v_cmp_nlt_f32_e32 vcc, s66, v12
	s_nop 1
	v_cndmask_b32_e32 v12, v103, v13, vcc
	v_sub_f32_e32 v13, v61, v63
	v_mul_f32_e32 v60, 0x3fb8aa3b, v13
	v_fma_f32 v61, v13, s45, -v60
	v_rndne_f32_e32 v109, v60
	v_fmac_f32_e32 v61, 0x32a5705f, v13
	v_sub_f32_e32 v60, v60, v109
	v_add_f32_e32 v60, v60, v61
	v_exp_f32_e32 v60, v60
	v_cvt_i32_f32_e32 v61, v109
	v_cmp_ngt_f32_e32 vcc, s67, v13
	v_ldexp_f32 v60, v60, v61
	s_nop 0
	v_cndmask_b32_e32 v60, 0, v60, vcc
	v_cmp_nlt_f32_e32 vcc, s66, v13
	s_nop 1
	v_cndmask_b32_e32 v13, v103, v60, vcc
	v_sub_f32_e32 v60, v62, v63
	v_mul_f32_e32 v62, 0x3fb8aa3b, v60
	v_fma_f32 v109, v60, s45, -v62
	v_rndne_f32_e32 v110, v62
	v_fmac_f32_e32 v109, 0x32a5705f, v60
	v_sub_f32_e32 v62, v62, v110
	v_add_f32_e32 v62, v62, v109
	v_exp_f32_e32 v62, v62
	v_cvt_i32_f32_e32 v109, v110
	v_cmp_ngt_f32_e32 vcc, s67, v60
	v_add_f32_e32 v61, v12, v13
	v_ldexp_f32 v62, v62, v109
	v_cndmask_b32_e32 v62, 0, v62, vcc
	v_cmp_nlt_f32_e32 vcc, s66, v60
	s_nop 1
	v_cndmask_b32_e32 v60, v103, v62, vcc
	v_add_f32_e32 v62, v60, v61
	v_sub_f32_e32 v61, v108, v63
	v_mul_f32_e32 v108, 0x3fb8aa3b, v61
	v_fma_f32 v109, v61, s45, -v108
	v_rndne_f32_e32 v110, v108
	v_fmac_f32_e32 v109, 0x32a5705f, v61
	v_sub_f32_e32 v108, v108, v110
	v_add_f32_e32 v108, v108, v109
	v_exp_f32_e32 v108, v108
	v_cvt_i32_f32_e32 v109, v110
	v_cmp_ngt_f32_e32 vcc, s67, v61
	v_ldexp_f32 v108, v108, v109
	s_nop 0
	v_cndmask_b32_e32 v108, 0, v108, vcc
	v_cmp_nlt_f32_e32 vcc, s66, v61
	s_nop 1
	v_cndmask_b32_e32 v61, v103, v108, vcc
	v_mul_f32_e32 v108, 0x3fb8aa3b, v107
	v_fma_f32 v109, v107, s45, -v108
	v_rndne_f32_e32 v110, v108
	v_fmac_f32_e32 v109, 0x32a5705f, v107
	v_sub_f32_e32 v108, v108, v110
	v_add_f32_e32 v108, v108, v109
	v_exp_f32_e32 v108, v108
	v_cvt_i32_f32_e32 v109, v110
	v_cmp_ngt_f32_e32 vcc, s67, v107
	v_add_f32_e32 v62, v61, v62
	v_cvt_pk_f16_f32 v61, v60, v61
	v_ldexp_f32 v108, v108, v109
	v_cndmask_b32_e32 v108, 0, v108, vcc
	v_cmp_nlt_f32_e32 vcc, s66, v107
	v_cvt_pk_f16_f32 v60, v12, v13
	s_nop 0
	v_cndmask_b32_e32 v108, v103, v108, vcc
	v_cmp_le_f32_e32 vcc, s33, v107
	s_nop 1
	v_cndmask_b32_e32 v107, 0, v108, vcc
	v_fmac_f32_e32 v62, v11, v107
	v_cvt_f16_f32_e32 v11, v107
	v_lshl_add_u64 v[108:109], v[28:29], 2, s[12:13]
	v_lshl_add_u64 v[110:111], v[108:109], 0, v[18:19]
	v_mul_u32_u24_e32 v107, 0x10001, v11
	v_pk_mul_f16 v11, v10, v107
	v_pk_mul_f16 v10, v106, v107
	;; [unrolled: 1-line block ×8, first 2 shown]
	v_lshl_add_u64 v[106:107], v[26:27], 2, s[12:13]
	v_lshl_add_u64 v[106:107], v[106:107], 0, v[18:19]
	global_load_dwordx4 v[106:109], v[106:107], off
	s_waitcnt vmcnt(0)
	ds_write_b128 v72, v[106:109]
	global_load_dwordx4 v[106:109], v[110:111], off
	s_waitcnt vmcnt(0)
	ds_write_b128 v95, v[106:109]
	s_waitcnt lgkmcnt(0)
	s_barrier
	ds_read_u16 v12, v75 offset:144
	ds_read_u16 v13, v76
	ds_read_u16 v18, v76 offset:32
	ds_read_u16 v106, v77
	ds_read_u16 v110, v77 offset:32
	v_cvt_f32_f16_sdwa v107, v11 dst_sel:DWORD dst_unused:UNUSED_PAD src0_sel:WORD_1
	v_cvt_f32_f16_e32 v108, v10
	v_cvt_f32_f16_sdwa v109, v10 dst_sel:DWORD dst_unused:UNUSED_PAD src0_sel:WORD_1
	s_waitcnt lgkmcnt(1)
	v_perm_b32 v13, v106, v13, s86
	ds_read_u16 v106, v75
	ds_read_u16 v112, v75 offset:32
	s_waitcnt lgkmcnt(2)
	v_perm_b32 v111, v110, v18, s86
	s_waitcnt lgkmcnt(1)
	v_perm_b32 v12, v12, v106, s86
	v_cvt_f32_f16_e32 v106, v11
	s_nop 1
	v_mfma_f32_16x16x16_f16 v[10:13], v[12:13], v[60:61], v[106:109]
	s_nop 2
	ds_read_u16 v106, v75 offset:176
	v_cvt_f32_f16_sdwa v107, v105 dst_sel:DWORD dst_unused:UNUSED_PAD src0_sel:WORD_1
	v_cvt_f32_f16_e32 v108, v104
	v_cvt_f32_f16_sdwa v109, v104 dst_sel:DWORD dst_unused:UNUSED_PAD src0_sel:WORD_1
	s_nop 0
	v_cvt_pk_f16_f32 v10, v10, v11
	s_waitcnt lgkmcnt(0)
	v_perm_b32 v110, v106, v112, s86
	v_cvt_f32_f16_e32 v106, v105
	s_nop 1
	v_mfma_f32_16x16x16_f16 v[108:111], v[110:111], v[60:61], v[106:109]
	ds_read_u16 v18, v75 offset:64
	ds_read_u16 v104, v75 offset:208
	;; [unrolled: 1-line block ×4, first 2 shown]
	v_cvt_f32_f16_sdwa v107, v68 dst_sel:DWORD dst_unused:UNUSED_PAD src0_sel:WORD_1
	s_waitcnt lgkmcnt(2)
	v_perm_b32 v112, v104, v18, s86
	v_cvt_f32_f16_e32 v104, v69
	s_waitcnt lgkmcnt(0)
	v_perm_b32 v113, v106, v105, s86
	v_cvt_f32_f16_sdwa v105, v69 dst_sel:DWORD dst_unused:UNUSED_PAD src0_sel:WORD_1
	v_cvt_f32_f16_e32 v106, v68
	s_nop 1
	v_mfma_f32_16x16x16_f16 v[112:115], v[112:113], v[60:61], v[104:107]
	ds_read_u16 v18, v75 offset:96
	ds_read_u16 v68, v75 offset:240
	;; [unrolled: 1-line block ×4, first 2 shown]
	v_cvt_f32_f16_sdwa v105, v67 dst_sel:DWORD dst_unused:UNUSED_PAD src0_sel:WORD_1
	v_cvt_f32_f16_e32 v106, v66
	s_waitcnt lgkmcnt(2)
	v_perm_b32 v68, v68, v18, s86
	v_cvt_f32_f16_sdwa v107, v66 dst_sel:DWORD dst_unused:UNUSED_PAD src0_sel:WORD_1
	s_waitcnt lgkmcnt(0)
	v_perm_b32 v69, v104, v69, s86
	v_cvt_f32_f16_e32 v104, v67
	s_barrier
	s_nop 0
	v_mfma_f32_16x16x16_f16 v[116:119], v[68:69], v[60:61], v[104:107]
	v_cvt_pk_f16_f32 v69, v112, v113
	v_cvt_pk_f16_f32 v68, v114, v115
	s_nop 0
	v_cvt_pk_f16_f32 v106, v12, v13
	v_cvt_pk_f16_f32 v105, v108, v109
	;; [unrolled: 1-line block ×3, first 2 shown]
	s_nop 1
	v_cvt_pk_f16_f32 v67, v116, v117
	v_cvt_pk_f16_f32 v66, v118, v119
	s_cbranch_scc0 .LBB0_30
; %bb.27:                               ;   in Loop: Header=BB0_26 Depth=2
	v_mov_b32_e32 v11, v62
	v_mov_b32_e32 v107, v63
	s_ashr_i32 s9, s8, 31
	s_and_saveexec_b64 s[12:13], s[0:1]
	s_cbranch_execnz .LBB0_25
	s_branch .LBB0_26
.LBB0_28:                               ;   in Loop: Header=BB0_12 Depth=1
	s_cbranch_execz .LBB0_11
	s_branch .LBB0_81
.LBB0_29:                               ;   in Loop: Header=BB0_12 Depth=1
	v_mov_b32_e32 v63, 0xfeffffff
	v_mov_b32_e32 v62, 0
	;; [unrolled: 1-line block ×10, first 2 shown]
.LBB0_30:                               ;   in Loop: Header=BB0_12 Depth=1
	s_lshl_b32 s8, s82, 6
	s_ashr_i32 s9, s8, 31
	s_and_saveexec_b64 s[12:13], s[0:1]
	s_cbranch_execz .LBB0_32
; %bb.31:                               ;   in Loop: Header=BB0_12 Depth=1
	v_or_b32_e32 v11, s53, v43
	v_mul_hi_u32 v12, s34, v11
	v_add_u32_e32 v12, v11, v12
	v_lshrrev_b32_e32 v12, s35, v12
	s_lshl_b64 s[82:83], s[8:9], 1
	v_mul_lo_u32 v12, v12, s36
	v_readlane_b32 s84, v124, 19
	s_add_u32 s82, s76, s82
	v_sub_u32_e32 v11, v11, v12
	v_readlane_b32 s85, v124, 20
	s_addc_u32 s83, s77, s83
	v_mad_i64_i32 v[12:13], s[84:85], v11, s84, 0
	v_lshl_add_u64 v[12:13], v[12:13], 1, s[82:83]
	v_lshlrev_b32_e32 v18, 1, v14
	v_lshl_add_u64 v[12:13], v[12:13], 0, v[18:19]
	global_load_dword v11, v[12:13], off
	s_waitcnt vmcnt(0)
	ds_write_b32 v71, v11 offset:9216
.LBB0_32:                               ;   in Loop: Header=BB0_12 Depth=1
	s_or_b64 exec, exec, s[12:13]
	s_mul_hi_i32 s13, s8, s38
	s_mul_i32 s12, s8, s38
	s_lshl_b64 s[12:13], s[12:13], 2
	s_add_u32 s12, s63, s12
	s_addc_u32 s13, s64, s13
	v_lshl_add_u64 v[12:13], v[22:23], 2, s[12:13]
	v_lshlrev_b32_e32 v18, 2, v20
	v_lshl_add_u64 v[12:13], v[12:13], 0, v[18:19]
	v_lshl_add_u64 v[58:59], v[24:25], 2, s[12:13]
	;; [unrolled: 1-line block ×3, first 2 shown]
	global_load_dwordx4 v[58:61], v[12:13], off
	global_load_dwordx4 v[108:111], v[64:65], off
	v_and_b32_e32 v12, 64, v102
	v_xor_b32_e32 v13, 32, v102
	v_add_u32_e32 v12, 64, v12
	v_add_u32_e32 v11, 0x2400, v74
	v_xor_b32_e32 v64, 16, v102
	v_cmp_lt_i32_e32 vcc, v13, v12
	s_mul_hi_i32 s9, s8, s14
	s_mul_i32 s8, s8, s14
	v_cndmask_b32_e32 v65, v102, v13, vcc
	v_cmp_lt_i32_e32 vcc, v64, v12
	s_lshl_b64 s[8:9], s[8:9], 2
	s_add_u32 s8, s44, s8
	s_addc_u32 s9, s62, s9
	v_cndmask_b32_e32 v64, v102, v64, vcc
	s_cmp_lg_u64 s[74:75], 0
	s_waitcnt vmcnt(1)
	ds_write_b128 v72, v[58:61]
	s_waitcnt vmcnt(0)
	ds_write_b128 v95, v[108:111]
	s_waitcnt lgkmcnt(0)
	s_barrier
	ds_read2_b64 v[58:61], v73 offset1:4
	ds_read2_b64 v[108:111], v73 offset0:8 offset1:12
	s_waitcnt lgkmcnt(1)
	v_mfma_f32_16x16x16_f16 v[112:115], v[58:59], v[6:7], 0
	s_waitcnt lgkmcnt(0)
	s_barrier
	v_mfma_f32_16x16x16_f16 v[6:9], v[60:61], v[8:9], v[112:115]
	ds_read2_b32 v[12:13], v11 offset1:1
	v_lshlrev_b32_e32 v61, 2, v65
	v_lshlrev_b32_e32 v60, 2, v64
	v_mfma_f32_16x16x16_f16 v[6:9], v[108:109], v[2:3], v[6:9]
	s_waitcnt lgkmcnt(0)
	v_cvt_f32_f16_e32 v11, v12
	v_cvt_f32_f16_sdwa v12, v12 dst_sel:DWORD dst_unused:UNUSED_PAD src0_sel:WORD_1
	v_mfma_f32_16x16x16_f16 v[2:5], v[110:111], v[4:5], v[6:9]
	v_cvt_f32_f16_e32 v58, v13
	v_cvt_f32_f16_sdwa v13, v13 dst_sel:DWORD dst_unused:UNUSED_PAD src0_sel:WORD_1
	s_nop 5
	v_add_f32_e32 v11, v2, v11
	v_add_f32_e32 v12, v3, v12
	;; [unrolled: 1-line block ×8, first 2 shown]
	v_max3_f32 v2, v63, v2, v3
	v_max3_f32 v6, v2, v4, v5
	ds_bpermute_b32 v7, v61, v6
	v_lshl_add_u64 v[2:3], v[26:27], 2, s[8:9]
	v_lshl_add_u64 v[4:5], v[28:29], 2, s[8:9]
	;; [unrolled: 1-line block ×3, first 2 shown]
	s_cselect_b64 s[8:9], -1, 0
	s_waitcnt lgkmcnt(0)
	v_max_f32_e32 v7, v7, v7
	v_max_f32_e32 v58, v6, v7
	v_lshl_add_u64 v[6:7], v[4:5], 0, v[18:19]
	global_load_dwordx4 v[2:5], v[2:3], off
	s_nop 0
	global_load_dwordx4 v[6:9], v[6:7], off
	ds_bpermute_b32 v64, v60, v58
	s_and_b64 s[12:13], s[10:11], s[8:9]
	s_waitcnt vmcnt(1)
	ds_write_b128 v72, v[2:5]
	s_waitcnt vmcnt(0)
	ds_write_b128 v95, v[6:9]
	s_waitcnt lgkmcnt(2)
	v_max_f32_e32 v18, v64, v64
	v_max_f32_e32 v58, v58, v18
	v_sub_f32_e32 v11, v11, v58
	v_sub_f32_e32 v12, v12, v58
	;; [unrolled: 1-line block ×4, first 2 shown]
	v_mul_f32_e32 v63, 0x3fb8aa3b, v11
	v_mul_f32_e32 v64, 0x3fb8aa3b, v12
	v_fma_f32 v109, v11, s45, -v63
	v_rndne_f32_e32 v110, v63
	v_sub_f32_e32 v13, v13, v58
	v_mul_f32_e32 v65, 0x3fb8aa3b, v18
	v_fma_f32 v111, v12, s45, -v64
	v_rndne_f32_e32 v112, v64
	v_fmac_f32_e32 v109, 0x32a5705f, v11
	v_sub_f32_e32 v63, v63, v110
	v_mul_f32_e32 v107, 0x3fb8aa3b, v13
	v_fma_f32 v113, v18, s45, -v65
	v_rndne_f32_e32 v114, v65
	v_fmac_f32_e32 v111, 0x32a5705f, v12
	v_sub_f32_e32 v64, v64, v112
	v_add_f32_e32 v63, v63, v109
	v_mul_f32_e32 v108, 0x3fb8aa3b, v59
	v_fma_f32 v115, v13, s45, -v107
	v_rndne_f32_e32 v116, v107
	v_cvt_i32_f32_e32 v110, v110
	v_fmac_f32_e32 v113, 0x32a5705f, v18
	v_sub_f32_e32 v65, v65, v114
	v_add_f32_e32 v64, v64, v111
	v_exp_f32_e32 v63, v63
	v_fma_f32 v117, v59, s45, -v108
	v_rndne_f32_e32 v118, v108
	v_cvt_i32_f32_e32 v112, v112
	v_fmac_f32_e32 v115, 0x32a5705f, v13
	v_sub_f32_e32 v107, v107, v116
	v_add_f32_e32 v65, v65, v113
	v_exp_f32_e32 v64, v64
	v_cvt_i32_f32_e32 v114, v114
	v_fmac_f32_e32 v117, 0x32a5705f, v59
	v_sub_f32_e32 v108, v108, v118
	v_add_f32_e32 v107, v107, v115
	v_exp_f32_e32 v65, v65
	v_cvt_i32_f32_e32 v116, v116
	v_add_f32_e32 v108, v108, v117
	v_exp_f32_e32 v107, v107
	v_cvt_i32_f32_e32 v118, v118
	v_exp_f32_e32 v108, v108
	v_ldexp_f32 v63, v63, v110
	v_cmp_ngt_f32_e32 vcc, s67, v11
	v_ldexp_f32 v64, v64, v112
	v_ldexp_f32 v65, v65, v114
	v_cndmask_b32_e32 v63, 0, v63, vcc
	v_cmp_ngt_f32_e32 vcc, s67, v12
	v_ldexp_f32 v107, v107, v116
	v_ldexp_f32 v108, v108, v118
	v_cndmask_b32_e32 v64, 0, v64, vcc
	v_cmp_ngt_f32_e32 vcc, s67, v18
	s_waitcnt lgkmcnt(0)
	s_barrier
	v_cndmask_b32_e32 v65, 0, v65, vcc
	v_cmp_ngt_f32_e32 vcc, s67, v13
	s_nop 1
	v_cndmask_b32_e32 v107, 0, v107, vcc
	v_cmp_ngt_f32_e32 vcc, s67, v59
	s_nop 1
	v_cndmask_b32_e32 v108, 0, v108, vcc
	v_cmp_nlt_f32_e32 vcc, s66, v11
	s_nop 1
	v_cndmask_b32_e32 v11, v103, v63, vcc
	v_cmp_nlt_f32_e32 vcc, s66, v12
	;; [unrolled: 3-line block ×3, first 2 shown]
	v_add_f32_e32 v64, v11, v12
	s_nop 0
	v_cndmask_b32_e32 v18, v103, v65, vcc
	v_cmp_nlt_f32_e32 vcc, s66, v13
	v_add_f32_e32 v64, v18, v64
	s_nop 0
	v_cndmask_b32_e32 v13, v103, v107, vcc
	v_cmp_nlt_f32_e32 vcc, s66, v59
	v_add_f32_e32 v107, v13, v64
	s_nop 0
	v_cndmask_b32_e32 v63, v103, v108, vcc
	v_cmp_le_f32_e32 vcc, s33, v59
	s_nop 1
	v_cndmask_b32_e32 v59, 0, v63, vcc
	v_cvt_f16_f32_e32 v63, v59
	v_fmac_f32_e32 v107, v62, v59
	v_mul_u32_u24_e32 v59, 0x10001, v63
	v_pk_mul_f16 v62, v106, v59
	v_pk_mul_f16 v64, v105, v59
	;; [unrolled: 1-line block ×3, first 2 shown]
	ds_read_u16 v2, v76
	ds_read_u16 v104, v76 offset:32
	ds_read_u16 v3, v77
	ds_read_u16 v105, v77 offset:32
	ds_read_u16 v106, v76 offset:64
	;; [unrolled: 1-line block ×5, first 2 shown]
	v_pk_mul_f16 v10, v10, v59
	s_waitcnt lgkmcnt(5)
	v_perm_b32 v7, v3, v2, s86
	ds_read_u16 v2, v75 offset:144
	ds_read_u16 v3, v75
	ds_read_u16 v111, v75 offset:32
	ds_read_u16 v112, v75 offset:176
	;; [unrolled: 1-line block ×6, first 2 shown]
	s_waitcnt lgkmcnt(6)
	v_perm_b32 v6, v2, v3, s86
	v_cvt_f32_f16_e32 v2, v10
	v_cvt_f32_f16_sdwa v3, v10 dst_sel:DWORD dst_unused:UNUSED_PAD src0_sel:WORD_1
	v_cvt_f32_f16_e32 v4, v62
	v_cvt_f32_f16_sdwa v5, v62 dst_sel:DWORD dst_unused:UNUSED_PAD src0_sel:WORD_1
	v_cvt_pk_f16_f32 v63, v18, v13
	v_cvt_pk_f16_f32 v62, v11, v12
	v_pk_mul_f16 v69, v69, v59
	v_pk_mul_f16 v68, v68, v59
	v_mfma_f32_16x16x16_f16 v[8:11], v[6:7], v[62:63], v[2:5]
	v_perm_b32 v7, v105, v104, s86
	s_waitcnt lgkmcnt(4)
	v_perm_b32 v6, v112, v111, s86
	v_pk_mul_f16 v67, v67, v59
	v_cvt_f32_f16_e32 v2, v64
	v_cvt_f32_f16_sdwa v3, v64 dst_sel:DWORD dst_unused:UNUSED_PAD src0_sel:WORD_1
	s_nop 1
	v_cvt_f16_f32_e32 v10, v10
	v_cvt_f16_f32_e32 v11, v11
	v_cvt_f32_f16_e32 v4, v65
	v_cvt_f32_f16_sdwa v5, v65 dst_sel:DWORD dst_unused:UNUSED_PAD src0_sel:WORD_1
	v_pk_mul_f16 v59, v66, v59
	v_perm_b32 v18, v11, v10, s86
	v_mfma_f32_16x16x16_f16 v[10:13], v[6:7], v[62:63], v[2:5]
	v_perm_b32 v7, v108, v106, s86
	s_waitcnt lgkmcnt(2)
	v_perm_b32 v6, v114, v113, s86
	v_cvt_f32_f16_e32 v2, v69
	v_cvt_f32_f16_sdwa v3, v69 dst_sel:DWORD dst_unused:UNUSED_PAD src0_sel:WORD_1
	v_cvt_f32_f16_e32 v4, v68
	v_cvt_f32_f16_sdwa v5, v68 dst_sel:DWORD dst_unused:UNUSED_PAD src0_sel:WORD_1
	s_nop 0
	v_cvt_f16_f32_e32 v12, v12
	v_cvt_f16_f32_e32 v13, v13
	v_mfma_f32_16x16x16_f16 v[2:5], v[6:7], v[62:63], v[2:5]
	v_perm_b32 v65, v109, v110, s86
	s_waitcnt lgkmcnt(0)
	v_perm_b32 v64, v115, v116, s86
	v_perm_b32 v12, v13, v12, s86
	v_cvt_f32_f16_e32 v6, v59
	s_nop 2
	v_cvt_f16_f32_e32 v13, v4
	v_cvt_f16_f32_e32 v105, v5
	v_cvt_f32_f16_e32 v4, v67
	v_cvt_f32_f16_sdwa v5, v67 dst_sel:DWORD dst_unused:UNUSED_PAD src0_sel:WORD_1
	v_cvt_f32_f16_sdwa v7, v59 dst_sel:DWORD dst_unused:UNUSED_PAD src0_sel:WORD_1
	ds_bpermute_b32 v59, v61, v107
	v_cvt_f16_f32_e32 v66, v8
	v_mfma_f32_16x16x16_f16 v[4:7], v[64:65], v[62:63], v[4:7]
	v_cvt_f16_f32_e32 v104, v9
	s_waitcnt lgkmcnt(0)
	v_add_f32_e32 v59, v107, v59
	ds_bpermute_b32 v62, v60, v59
	v_cvt_f16_f32_e32 v68, v10
	v_cvt_f16_f32_e32 v69, v11
	;; [unrolled: 1-line block ×8, first 2 shown]
	v_perm_b32 v13, v105, v13, s86
	s_waitcnt lgkmcnt(0)
	v_add_f32_e32 v59, v59, v62
	v_perm_b32 v6, v7, v6, s86
	v_perm_b32 v7, v104, v66, s86
	;; [unrolled: 1-line block ×5, first 2 shown]
	s_barrier
	s_and_saveexec_b64 s[8:9], s[12:13]
	s_cbranch_execz .LBB0_34
; %bb.33:                               ;   in Loop: Header=BB0_12 Depth=1
	v_lshlrev_b32_e32 v7, 2, v46
	global_load_dword v7, v7, s[74:75]
	v_cvt_pk_f16_f32 v62, v8, v9
	v_max_f32_e32 v8, v58, v58
	v_cvt_pk_f16_f32 v10, v10, v11
	v_cvt_pk_f16_f32 v2, v2, v3
	;; [unrolled: 1-line block ×3, first 2 shown]
	s_waitcnt vmcnt(0)
	v_max_f32_e32 v9, v7, v7
	v_max_f32_e32 v8, v8, v9
	v_sub_f32_e32 v9, v58, v8
	v_sub_f32_e32 v7, v7, v8
	v_mul_f32_e32 v11, 0x3fb8aa3b, v9
	v_mul_f32_e32 v58, 0x3fb8aa3b, v7
	v_fma_f32 v63, v9, s45, -v11
	v_rndne_f32_e32 v64, v11
	v_fma_f32 v65, v7, s45, -v58
	v_rndne_f32_e32 v66, v58
	v_fmac_f32_e32 v63, 0x32a5705f, v9
	v_sub_f32_e32 v11, v11, v64
	v_fmac_f32_e32 v65, 0x32a5705f, v7
	v_sub_f32_e32 v58, v58, v66
	v_add_f32_e32 v11, v11, v63
	v_cvt_i32_f32_e32 v64, v64
	v_add_f32_e32 v58, v58, v65
	v_exp_f32_e32 v11, v11
	v_cvt_i32_f32_e32 v66, v66
	v_exp_f32_e32 v58, v58
	v_cmp_ngt_f32_e32 vcc, s67, v9
	v_ldexp_f32 v4, v11, v64
	v_ldexp_f32 v5, v58, v66
	v_cndmask_b32_e32 v4, 0, v4, vcc
	v_cmp_ngt_f32_e32 vcc, s67, v7
	s_nop 1
	v_cndmask_b32_e32 v5, 0, v5, vcc
	v_cmp_nlt_f32_e32 vcc, s66, v9
	s_nop 1
	v_cndmask_b32_e32 v4, v103, v4, vcc
	v_cmp_le_f32_e32 vcc, s33, v9
	s_nop 1
	v_cndmask_b32_e32 v4, 0, v4, vcc
	v_cvt_f16_f32_e32 v11, v4
	v_cmp_nlt_f32_e32 vcc, s66, v7
	s_nop 1
	v_cndmask_b32_e32 v9, v103, v5, vcc
	v_fmac_f32_e32 v9, v59, v4
	v_mul_u32_u24_e32 v4, 0x10001, v11
	v_pk_mul_f16 v7, v62, v4
	v_pk_mul_f16 v18, v18, v4
	;; [unrolled: 1-line block ×8, first 2 shown]
	v_mov_b64_e32 v[58:59], v[8:9]
.LBB0_34:                               ;   in Loop: Header=BB0_12 Depth=1
	s_or_b64 exec, exec, s[8:9]
	s_and_saveexec_b64 s[8:9], s[6:7]
; %bb.35:                               ;   in Loop: Header=BB0_12 Depth=1
	v_add_u32_e32 v2, 0, v78
	ds_write2_b32 v2, v58, v59 offset0:32 offset1:33
; %bb.36:                               ;   in Loop: Header=BB0_12 Depth=1
	s_or_b64 exec, exec, s[8:9]
	s_waitcnt lgkmcnt(0)
	s_barrier
	s_and_saveexec_b64 s[8:9], s[4:5]
	s_xor_b64 s[8:9], exec, s[8:9]
	s_cbranch_execz .LBB0_38
; %bb.37:                               ;   in Loop: Header=BB0_12 Depth=1
	s_barrier
                                        ; implicit-def: $vgpr61
                                        ; implicit-def: $vgpr60
.LBB0_38:                               ;   in Loop: Header=BB0_12 Depth=1
	s_andn2_saveexec_b64 s[8:9], s[8:9]
	s_cbranch_execz .LBB0_42
; %bb.39:                               ;   in Loop: Header=BB0_12 Depth=1
	v_add_u32_e32 v3, 0, v78
	ds_read_b64 v[4:5], v3 offset:128
	s_waitcnt lgkmcnt(0)
	s_barrier
	ds_bpermute_b32 v2, v61, v4
	v_max_f32_e32 v8, v4, v4
	s_waitcnt lgkmcnt(0)
	v_max_f32_e32 v2, v2, v2
	v_max_f32_e32 v2, v8, v2
	ds_bpermute_b32 v8, v60, v2
	s_waitcnt lgkmcnt(0)
	v_max_f32_e32 v8, v8, v8
	v_max_f32_e32 v2, v2, v8
	v_sub_f32_e32 v4, v4, v2
	v_mul_f32_e32 v8, 0x3fb8aa3b, v4
	v_fma_f32 v9, v4, s45, -v8
	v_rndne_f32_e32 v10, v8
	v_fmac_f32_e32 v9, 0x32a5705f, v4
	v_sub_f32_e32 v8, v8, v10
	v_add_f32_e32 v8, v8, v9
	v_cvt_i32_f32_e32 v10, v10
	v_exp_f32_e32 v8, v8
	v_cmp_ngt_f32_e32 vcc, s67, v4
	v_ldexp_f32 v8, v8, v10
	s_nop 0
	v_cndmask_b32_e32 v8, 0, v8, vcc
	v_cmp_nlt_f32_e32 vcc, s66, v4
	s_nop 1
	v_cndmask_b32_e32 v4, v103, v8, vcc
	v_mul_f32_e32 v8, v5, v4
	ds_bpermute_b32 v8, v61, v8
	s_waitcnt lgkmcnt(0)
	v_fmac_f32_e32 v8, v5, v4
	ds_bpermute_b32 v5, v60, v8
	s_waitcnt lgkmcnt(0)
	v_add_f32_e32 v5, v8, v5
	ds_write_b64 v3, v[4:5] offset:128
	s_and_saveexec_b64 s[12:13], s[6:7]
	s_cbranch_execz .LBB0_41
; %bb.40:                               ;   in Loop: Header=BB0_12 Depth=1
	v_mov_b32_e32 v3, v5
	global_store_dwordx2 v[48:49], v[2:3], off
.LBB0_41:                               ;   in Loop: Header=BB0_12 Depth=1
	s_or_b64 exec, exec, s[12:13]
.LBB0_42:                               ;   in Loop: Header=BB0_12 Depth=1
	s_or_b64 exec, exec, s[8:9]
	v_add_u32_e32 v2, v79, v80
	ds_write2_b32 v2, v7, v18 offset1:1
	ds_write2_b32 v2, v62, v12 offset0:8 offset1:9
	ds_write2_b32 v2, v63, v13 offset0:16 offset1:17
	;; [unrolled: 1-line block ×3, first 2 shown]
	s_waitcnt lgkmcnt(0)
	s_barrier
	s_and_saveexec_b64 s[82:83], s[10:11]
	s_cbranch_execz .LBB0_80
; %bb.43:                               ;   in Loop: Header=BB0_12 Depth=1
	v_add_u32_e32 v3, s53, v97
	v_or_b32_e32 v2, s2, v34
	v_cmp_gt_i32_e64 s[8:9], s36, v3
	v_cmp_gt_i32_e32 vcc, s3, v2
	s_and_b64 s[12:13], s[8:9], vcc
	v_mov_b32_e32 v2, 0x47
	s_and_saveexec_b64 s[8:9], s[12:13]
	s_cbranch_execz .LBB0_45
; %bb.44:                               ;   in Loop: Header=BB0_12 Depth=1
	v_mad_u64_u32 v[2:3], s[12:13], v3, s37, v[34:35]
	v_add_u32_e32 v10, v21, v83
	v_add_u32_e32 v3, 0, v83
	ds_read2st64_b32 v[4:5], v10 offset1:9
	v_add_u32_e32 v3, 0x80, v3
	ds_read2st64_b32 v[6:7], v3 offset1:9
	ds_read2st64_b32 v[8:9], v3 offset0:18 offset1:27
	ds_read2st64_b32 v[10:11], v10 offset0:18 offset1:27
	v_lshl_or_b32 v2, v2, 5, v16
	v_ashrrev_i32_e32 v3, 31, v2
	s_waitcnt lgkmcnt(3)
	v_cvt_f32_f16_e32 v12, v4
	v_cvt_f32_f16_sdwa v13, v4 dst_sel:DWORD dst_unused:UNUSED_PAD src0_sel:WORD_1
	v_cvt_f32_f16_e32 v4, v5
	v_cvt_f32_f16_sdwa v5, v5 dst_sel:DWORD dst_unused:UNUSED_PAD src0_sel:WORD_1
	s_waitcnt lgkmcnt(0)
	v_cvt_f32_f16_e32 v58, v10
	v_cvt_f32_f16_sdwa v59, v10 dst_sel:DWORD dst_unused:UNUSED_PAD src0_sel:WORD_1
	v_cvt_f32_f16_e32 v10, v11
	v_cvt_f32_f16_sdwa v11, v11 dst_sel:DWORD dst_unused:UNUSED_PAD src0_sel:WORD_1
	v_pk_fma_f32 v[12:13], v[6:7], v[12:13], 0 op_sel_hi:[0,1,0]
	v_mov_b32_e32 v6, v7
	v_pk_fma_f32 v[4:5], v[6:7], v[4:5], v[12:13] op_sel_hi:[0,1,1]
	v_pk_fma_f32 v[4:5], v[8:9], v[58:59], v[4:5] op_sel_hi:[0,1,1]
	v_mov_b32_e32 v6, v9
	v_lshl_add_u64 v[2:3], v[2:3], 3, s[72:73]
	v_pk_fma_f32 v[4:5], v[6:7], v[10:11], v[4:5] op_sel_hi:[0,1,1]
	global_store_dwordx2 v[2:3], v[4:5], off
	v_mov_b32_e32 v2, 0
.LBB0_45:                               ;   in Loop: Header=BB0_12 Depth=1
	s_or_b64 exec, exec, s[8:9]
	s_movk_i32 s8, 0x47
	v_cmp_gt_i32_e64 s[8:9], s8, v2
	s_mov_b64 s[12:13], -1
	s_and_saveexec_b64 s[84:85], s[8:9]
; %bb.46:                               ;   in Loop: Header=BB0_12 Depth=1
	v_cmp_eq_u32_e64 s[8:9], 0, v2
	s_orn2_b64 s[12:13], s[8:9], exec
; %bb.47:                               ;   in Loop: Header=BB0_12 Depth=1
	s_or_b64 exec, exec, s[84:85]
	s_and_b64 exec, exec, s[12:13]
	s_cbranch_execz .LBB0_80
; %bb.48:                               ;   in Loop: Header=BB0_12 Depth=1
	v_add_u32_e32 v3, s53, v98
	v_or_b32_e32 v2, s2, v36
	v_cmp_gt_i32_e64 s[8:9], s36, v3
	v_cmp_gt_i32_e64 s[12:13], s3, v2
	s_and_b64 s[12:13], s[8:9], s[12:13]
	v_mov_b32_e32 v2, 0x47
	s_and_saveexec_b64 s[8:9], s[12:13]
	s_cbranch_execz .LBB0_50
; %bb.49:                               ;   in Loop: Header=BB0_12 Depth=1
	v_mad_u64_u32 v[2:3], s[12:13], v3, s37, v[36:37]
	v_add_u32_e32 v10, v21, v84
	v_add_u32_e32 v3, 0, v84
	ds_read2st64_b32 v[4:5], v10 offset1:9
	v_add_u32_e32 v3, 0x80, v3
	ds_read2st64_b32 v[6:7], v3 offset1:9
	ds_read2st64_b32 v[8:9], v3 offset0:18 offset1:27
	ds_read2st64_b32 v[10:11], v10 offset0:18 offset1:27
	v_lshl_or_b32 v2, v2, 5, v16
	v_ashrrev_i32_e32 v3, 31, v2
	s_waitcnt lgkmcnt(3)
	v_cvt_f32_f16_e32 v12, v4
	v_cvt_f32_f16_sdwa v13, v4 dst_sel:DWORD dst_unused:UNUSED_PAD src0_sel:WORD_1
	v_cvt_f32_f16_e32 v4, v5
	v_cvt_f32_f16_sdwa v5, v5 dst_sel:DWORD dst_unused:UNUSED_PAD src0_sel:WORD_1
	s_waitcnt lgkmcnt(0)
	v_cvt_f32_f16_e32 v58, v10
	v_cvt_f32_f16_sdwa v59, v10 dst_sel:DWORD dst_unused:UNUSED_PAD src0_sel:WORD_1
	v_cvt_f32_f16_e32 v10, v11
	v_cvt_f32_f16_sdwa v11, v11 dst_sel:DWORD dst_unused:UNUSED_PAD src0_sel:WORD_1
	v_pk_fma_f32 v[12:13], v[6:7], v[12:13], 0 op_sel_hi:[0,1,0]
	v_mov_b32_e32 v6, v7
	v_pk_fma_f32 v[4:5], v[6:7], v[4:5], v[12:13] op_sel_hi:[0,1,1]
	v_pk_fma_f32 v[4:5], v[8:9], v[58:59], v[4:5] op_sel_hi:[0,1,1]
	v_mov_b32_e32 v6, v9
	v_lshl_add_u64 v[2:3], v[2:3], 3, s[72:73]
	v_pk_fma_f32 v[4:5], v[6:7], v[10:11], v[4:5] op_sel_hi:[0,1,1]
	global_store_dwordx2 v[2:3], v[4:5], off
	v_mov_b32_e32 v2, 0
.LBB0_50:                               ;   in Loop: Header=BB0_12 Depth=1
	s_or_b64 exec, exec, s[8:9]
	s_movk_i32 s8, 0x47
	v_cmp_gt_i32_e64 s[8:9], s8, v2
	s_mov_b64 s[12:13], -1
	s_and_saveexec_b64 s[84:85], s[8:9]
; %bb.51:                               ;   in Loop: Header=BB0_12 Depth=1
	v_cmp_eq_u32_e64 s[8:9], 0, v2
	s_orn2_b64 s[12:13], s[8:9], exec
; %bb.52:                               ;   in Loop: Header=BB0_12 Depth=1
	s_or_b64 exec, exec, s[84:85]
	s_and_b64 exec, exec, s[12:13]
	s_cbranch_execz .LBB0_80
; %bb.53:                               ;   in Loop: Header=BB0_12 Depth=1
	v_add_u32_e32 v3, s53, v85
	v_cmp_gt_i32_e64 s[8:9], s36, v3
	s_and_b64 s[12:13], s[8:9], vcc
	v_mov_b32_e32 v2, 0x47
	s_and_saveexec_b64 s[8:9], s[12:13]
	s_cbranch_execz .LBB0_55
; %bb.54:                               ;   in Loop: Header=BB0_12 Depth=1
	v_mad_u64_u32 v[2:3], s[12:13], v3, s37, v[34:35]
	v_add_u32_e32 v10, v21, v86
	v_add_u32_e32 v3, 0, v86
	ds_read2st64_b32 v[4:5], v10 offset1:9
	v_add_u32_e32 v3, 0x80, v3
	ds_read2st64_b32 v[6:7], v3 offset1:9
	ds_read2st64_b32 v[8:9], v3 offset0:18 offset1:27
	ds_read2st64_b32 v[10:11], v10 offset0:18 offset1:27
	v_lshl_or_b32 v2, v2, 5, v16
	v_ashrrev_i32_e32 v3, 31, v2
	s_waitcnt lgkmcnt(3)
	v_cvt_f32_f16_e32 v12, v4
	v_cvt_f32_f16_sdwa v13, v4 dst_sel:DWORD dst_unused:UNUSED_PAD src0_sel:WORD_1
	v_cvt_f32_f16_e32 v4, v5
	v_cvt_f32_f16_sdwa v5, v5 dst_sel:DWORD dst_unused:UNUSED_PAD src0_sel:WORD_1
	s_waitcnt lgkmcnt(0)
	v_cvt_f32_f16_e32 v58, v10
	v_cvt_f32_f16_sdwa v59, v10 dst_sel:DWORD dst_unused:UNUSED_PAD src0_sel:WORD_1
	v_cvt_f32_f16_e32 v10, v11
	v_cvt_f32_f16_sdwa v11, v11 dst_sel:DWORD dst_unused:UNUSED_PAD src0_sel:WORD_1
	v_pk_fma_f32 v[12:13], v[6:7], v[12:13], 0 op_sel_hi:[0,1,0]
	v_mov_b32_e32 v6, v7
	v_pk_fma_f32 v[4:5], v[6:7], v[4:5], v[12:13] op_sel_hi:[0,1,1]
	v_pk_fma_f32 v[4:5], v[8:9], v[58:59], v[4:5] op_sel_hi:[0,1,1]
	v_mov_b32_e32 v6, v9
	v_lshl_add_u64 v[2:3], v[2:3], 3, s[72:73]
	v_pk_fma_f32 v[4:5], v[6:7], v[10:11], v[4:5] op_sel_hi:[0,1,1]
	global_store_dwordx2 v[2:3], v[4:5], off
	v_mov_b32_e32 v2, 0
.LBB0_55:                               ;   in Loop: Header=BB0_12 Depth=1
	s_or_b64 exec, exec, s[8:9]
	s_movk_i32 s8, 0x47
	v_cmp_gt_i32_e64 s[8:9], s8, v2
	s_mov_b64 s[12:13], -1
	s_and_saveexec_b64 s[84:85], s[8:9]
; %bb.56:                               ;   in Loop: Header=BB0_12 Depth=1
	v_cmp_eq_u32_e64 s[8:9], 0, v2
	s_orn2_b64 s[12:13], s[8:9], exec
; %bb.57:                               ;   in Loop: Header=BB0_12 Depth=1
	s_or_b64 exec, exec, s[84:85]
	s_and_b64 exec, exec, s[12:13]
	s_cbranch_execz .LBB0_80
; %bb.58:                               ;   in Loop: Header=BB0_12 Depth=1
	v_add_u32_e32 v3, s53, v99
	v_or_b32_e32 v2, s2, v38
	v_cmp_gt_i32_e64 s[8:9], s36, v3
	v_cmp_gt_i32_e64 s[12:13], s3, v2
	s_and_b64 s[12:13], s[8:9], s[12:13]
	v_mov_b32_e32 v2, 0x47
	s_and_saveexec_b64 s[8:9], s[12:13]
	s_cbranch_execz .LBB0_60
; %bb.59:                               ;   in Loop: Header=BB0_12 Depth=1
	v_mad_u64_u32 v[2:3], s[12:13], v3, s37, v[38:39]
	v_add_u32_e32 v10, v21, v87
	v_add_u32_e32 v3, 0, v87
	ds_read2st64_b32 v[4:5], v10 offset1:9
	v_add_u32_e32 v3, 0x80, v3
	ds_read2st64_b32 v[6:7], v3 offset1:9
	ds_read2st64_b32 v[8:9], v3 offset0:18 offset1:27
	ds_read2st64_b32 v[10:11], v10 offset0:18 offset1:27
	v_lshl_or_b32 v2, v2, 5, v16
	v_ashrrev_i32_e32 v3, 31, v2
	s_waitcnt lgkmcnt(3)
	v_cvt_f32_f16_e32 v12, v4
	v_cvt_f32_f16_sdwa v13, v4 dst_sel:DWORD dst_unused:UNUSED_PAD src0_sel:WORD_1
	v_cvt_f32_f16_e32 v4, v5
	v_cvt_f32_f16_sdwa v5, v5 dst_sel:DWORD dst_unused:UNUSED_PAD src0_sel:WORD_1
	s_waitcnt lgkmcnt(0)
	v_cvt_f32_f16_e32 v58, v10
	v_cvt_f32_f16_sdwa v59, v10 dst_sel:DWORD dst_unused:UNUSED_PAD src0_sel:WORD_1
	v_cvt_f32_f16_e32 v10, v11
	v_cvt_f32_f16_sdwa v11, v11 dst_sel:DWORD dst_unused:UNUSED_PAD src0_sel:WORD_1
	v_pk_fma_f32 v[12:13], v[6:7], v[12:13], 0 op_sel_hi:[0,1,0]
	v_mov_b32_e32 v6, v7
	v_pk_fma_f32 v[4:5], v[6:7], v[4:5], v[12:13] op_sel_hi:[0,1,1]
	v_pk_fma_f32 v[4:5], v[8:9], v[58:59], v[4:5] op_sel_hi:[0,1,1]
	v_mov_b32_e32 v6, v9
	v_lshl_add_u64 v[2:3], v[2:3], 3, s[72:73]
	v_pk_fma_f32 v[4:5], v[6:7], v[10:11], v[4:5] op_sel_hi:[0,1,1]
	global_store_dwordx2 v[2:3], v[4:5], off
	v_mov_b32_e32 v2, 0
.LBB0_60:                               ;   in Loop: Header=BB0_12 Depth=1
	s_or_b64 exec, exec, s[8:9]
	s_movk_i32 s8, 0x47
	v_cmp_gt_i32_e64 s[8:9], s8, v2
	s_mov_b64 s[12:13], -1
	s_and_saveexec_b64 s[84:85], s[8:9]
; %bb.61:                               ;   in Loop: Header=BB0_12 Depth=1
	v_cmp_eq_u32_e64 s[8:9], 0, v2
	s_orn2_b64 s[12:13], s[8:9], exec
; %bb.62:                               ;   in Loop: Header=BB0_12 Depth=1
	s_or_b64 exec, exec, s[84:85]
	s_and_b64 exec, exec, s[12:13]
	s_cbranch_execz .LBB0_80
; %bb.63:                               ;   in Loop: Header=BB0_12 Depth=1
	v_add_u32_e32 v3, s53, v88
	v_cmp_gt_i32_e64 s[8:9], s36, v3
	s_and_b64 s[12:13], s[8:9], vcc
	v_mov_b32_e32 v2, 0x47
	s_and_saveexec_b64 s[8:9], s[12:13]
	s_cbranch_execz .LBB0_65
; %bb.64:                               ;   in Loop: Header=BB0_12 Depth=1
	v_mad_u64_u32 v[2:3], s[12:13], v3, s37, v[34:35]
	v_add_u32_e32 v10, v21, v89
	v_add_u32_e32 v3, 0, v89
	ds_read2st64_b32 v[4:5], v10 offset1:9
	v_add_u32_e32 v3, 0x80, v3
	ds_read2st64_b32 v[6:7], v3 offset1:9
	ds_read2st64_b32 v[8:9], v3 offset0:18 offset1:27
	ds_read2st64_b32 v[10:11], v10 offset0:18 offset1:27
	v_lshl_or_b32 v2, v2, 5, v16
	v_ashrrev_i32_e32 v3, 31, v2
	s_waitcnt lgkmcnt(3)
	v_cvt_f32_f16_e32 v12, v4
	v_cvt_f32_f16_sdwa v13, v4 dst_sel:DWORD dst_unused:UNUSED_PAD src0_sel:WORD_1
	v_cvt_f32_f16_e32 v4, v5
	v_cvt_f32_f16_sdwa v5, v5 dst_sel:DWORD dst_unused:UNUSED_PAD src0_sel:WORD_1
	s_waitcnt lgkmcnt(0)
	v_cvt_f32_f16_e32 v58, v10
	v_cvt_f32_f16_sdwa v59, v10 dst_sel:DWORD dst_unused:UNUSED_PAD src0_sel:WORD_1
	v_cvt_f32_f16_e32 v10, v11
	v_cvt_f32_f16_sdwa v11, v11 dst_sel:DWORD dst_unused:UNUSED_PAD src0_sel:WORD_1
	v_pk_fma_f32 v[12:13], v[6:7], v[12:13], 0 op_sel_hi:[0,1,0]
	v_mov_b32_e32 v6, v7
	v_pk_fma_f32 v[4:5], v[6:7], v[4:5], v[12:13] op_sel_hi:[0,1,1]
	v_pk_fma_f32 v[4:5], v[8:9], v[58:59], v[4:5] op_sel_hi:[0,1,1]
	v_mov_b32_e32 v6, v9
	v_lshl_add_u64 v[2:3], v[2:3], 3, s[72:73]
	v_pk_fma_f32 v[4:5], v[6:7], v[10:11], v[4:5] op_sel_hi:[0,1,1]
	global_store_dwordx2 v[2:3], v[4:5], off
	v_mov_b32_e32 v2, 0
.LBB0_65:                               ;   in Loop: Header=BB0_12 Depth=1
	s_or_b64 exec, exec, s[8:9]
	s_movk_i32 s8, 0x47
	v_cmp_gt_i32_e64 s[8:9], s8, v2
	s_mov_b64 s[12:13], -1
	s_and_saveexec_b64 s[84:85], s[8:9]
; %bb.66:                               ;   in Loop: Header=BB0_12 Depth=1
	v_cmp_eq_u32_e64 s[8:9], 0, v2
	s_orn2_b64 s[12:13], s[8:9], exec
; %bb.67:                               ;   in Loop: Header=BB0_12 Depth=1
	s_or_b64 exec, exec, s[84:85]
	s_and_b64 exec, exec, s[12:13]
	s_cbranch_execz .LBB0_80
; %bb.68:                               ;   in Loop: Header=BB0_12 Depth=1
	v_add_u32_e32 v3, s53, v100
	v_or_b32_e32 v2, s2, v40
	v_cmp_gt_i32_e64 s[8:9], s36, v3
	v_cmp_gt_i32_e64 s[12:13], s3, v2
	s_and_b64 s[12:13], s[8:9], s[12:13]
	v_mov_b32_e32 v2, 0x47
	s_and_saveexec_b64 s[8:9], s[12:13]
	s_cbranch_execz .LBB0_70
; %bb.69:                               ;   in Loop: Header=BB0_12 Depth=1
	v_mad_u64_u32 v[2:3], s[12:13], v3, s37, v[40:41]
	v_add_u32_e32 v10, v21, v90
	v_add_u32_e32 v3, 0, v90
	ds_read2st64_b32 v[4:5], v10 offset1:9
	v_add_u32_e32 v3, 0x80, v3
	ds_read2st64_b32 v[6:7], v3 offset1:9
	ds_read2st64_b32 v[8:9], v3 offset0:18 offset1:27
	ds_read2st64_b32 v[10:11], v10 offset0:18 offset1:27
	v_lshl_or_b32 v2, v2, 5, v16
	v_ashrrev_i32_e32 v3, 31, v2
	s_waitcnt lgkmcnt(3)
	v_cvt_f32_f16_e32 v12, v4
	v_cvt_f32_f16_sdwa v13, v4 dst_sel:DWORD dst_unused:UNUSED_PAD src0_sel:WORD_1
	v_cvt_f32_f16_e32 v4, v5
	v_cvt_f32_f16_sdwa v5, v5 dst_sel:DWORD dst_unused:UNUSED_PAD src0_sel:WORD_1
	s_waitcnt lgkmcnt(0)
	v_cvt_f32_f16_e32 v58, v10
	v_cvt_f32_f16_sdwa v59, v10 dst_sel:DWORD dst_unused:UNUSED_PAD src0_sel:WORD_1
	v_cvt_f32_f16_e32 v10, v11
	v_cvt_f32_f16_sdwa v11, v11 dst_sel:DWORD dst_unused:UNUSED_PAD src0_sel:WORD_1
	v_pk_fma_f32 v[12:13], v[6:7], v[12:13], 0 op_sel_hi:[0,1,0]
	v_mov_b32_e32 v6, v7
	v_pk_fma_f32 v[4:5], v[6:7], v[4:5], v[12:13] op_sel_hi:[0,1,1]
	v_pk_fma_f32 v[4:5], v[8:9], v[58:59], v[4:5] op_sel_hi:[0,1,1]
	v_mov_b32_e32 v6, v9
	v_lshl_add_u64 v[2:3], v[2:3], 3, s[72:73]
	v_pk_fma_f32 v[4:5], v[6:7], v[10:11], v[4:5] op_sel_hi:[0,1,1]
	global_store_dwordx2 v[2:3], v[4:5], off
	v_mov_b32_e32 v2, 0
.LBB0_70:                               ;   in Loop: Header=BB0_12 Depth=1
	s_or_b64 exec, exec, s[8:9]
	s_movk_i32 s8, 0x47
	v_cmp_gt_i32_e64 s[8:9], s8, v2
	s_mov_b64 s[12:13], -1
	s_and_saveexec_b64 s[84:85], s[8:9]
; %bb.71:                               ;   in Loop: Header=BB0_12 Depth=1
	v_cmp_eq_u32_e64 s[8:9], 0, v2
	s_orn2_b64 s[12:13], s[8:9], exec
; %bb.72:                               ;   in Loop: Header=BB0_12 Depth=1
	s_or_b64 exec, exec, s[84:85]
	s_and_b64 exec, exec, s[12:13]
	s_cbranch_execz .LBB0_80
; %bb.73:                               ;   in Loop: Header=BB0_12 Depth=1
	v_add_u32_e32 v3, s53, v91
	v_cmp_gt_i32_e64 s[8:9], s36, v3
	s_and_b64 s[12:13], s[8:9], vcc
	v_mov_b32_e32 v2, 0x47
	s_and_saveexec_b64 s[8:9], s[12:13]
	s_cbranch_execz .LBB0_75
; %bb.74:                               ;   in Loop: Header=BB0_12 Depth=1
	v_mad_u64_u32 v[2:3], s[12:13], v3, s37, v[34:35]
	v_add_u32_e32 v10, v21, v92
	v_add_u32_e32 v3, 0, v92
	ds_read2st64_b32 v[4:5], v10 offset1:9
	v_add_u32_e32 v3, 0x80, v3
	ds_read2st64_b32 v[6:7], v3 offset1:9
	ds_read2st64_b32 v[8:9], v3 offset0:18 offset1:27
	ds_read2st64_b32 v[10:11], v10 offset0:18 offset1:27
	v_lshl_or_b32 v2, v2, 5, v16
	v_ashrrev_i32_e32 v3, 31, v2
	s_waitcnt lgkmcnt(3)
	v_cvt_f32_f16_e32 v12, v4
	v_cvt_f32_f16_sdwa v13, v4 dst_sel:DWORD dst_unused:UNUSED_PAD src0_sel:WORD_1
	v_cvt_f32_f16_e32 v4, v5
	v_cvt_f32_f16_sdwa v5, v5 dst_sel:DWORD dst_unused:UNUSED_PAD src0_sel:WORD_1
	s_waitcnt lgkmcnt(0)
	v_cvt_f32_f16_e32 v58, v10
	v_cvt_f32_f16_sdwa v59, v10 dst_sel:DWORD dst_unused:UNUSED_PAD src0_sel:WORD_1
	v_cvt_f32_f16_e32 v10, v11
	v_cvt_f32_f16_sdwa v11, v11 dst_sel:DWORD dst_unused:UNUSED_PAD src0_sel:WORD_1
	v_pk_fma_f32 v[12:13], v[6:7], v[12:13], 0 op_sel_hi:[0,1,0]
	v_mov_b32_e32 v6, v7
	v_pk_fma_f32 v[4:5], v[6:7], v[4:5], v[12:13] op_sel_hi:[0,1,1]
	v_pk_fma_f32 v[4:5], v[8:9], v[58:59], v[4:5] op_sel_hi:[0,1,1]
	v_mov_b32_e32 v6, v9
	v_lshl_add_u64 v[2:3], v[2:3], 3, s[72:73]
	v_pk_fma_f32 v[4:5], v[6:7], v[10:11], v[4:5] op_sel_hi:[0,1,1]
	global_store_dwordx2 v[2:3], v[4:5], off
	v_mov_b32_e32 v2, 0
.LBB0_75:                               ;   in Loop: Header=BB0_12 Depth=1
	s_or_b64 exec, exec, s[8:9]
	s_movk_i32 s8, 0x47
	v_cmp_gt_i32_e32 vcc, s8, v2
	s_mov_b64 s[8:9], -1
	s_and_saveexec_b64 s[12:13], vcc
; %bb.76:                               ;   in Loop: Header=BB0_12 Depth=1
	v_cmp_eq_u32_e32 vcc, 0, v2
	s_orn2_b64 s[8:9], vcc, exec
; %bb.77:                               ;   in Loop: Header=BB0_12 Depth=1
	s_or_b64 exec, exec, s[12:13]
	s_and_b64 exec, exec, s[8:9]
	s_cbranch_execz .LBB0_80
; %bb.78:                               ;   in Loop: Header=BB0_12 Depth=1
	v_add_u32_e32 v2, s53, v101
	v_or_b32_e32 v3, s2, v42
	v_cmp_gt_i32_e32 vcc, s36, v2
	v_cmp_gt_i32_e64 s[8:9], s3, v3
	s_and_b64 s[8:9], vcc, s[8:9]
	s_and_b64 exec, exec, s[8:9]
	s_cbranch_execz .LBB0_80
; %bb.79:                               ;   in Loop: Header=BB0_12 Depth=1
	v_mad_u64_u32 v[2:3], s[8:9], v2, s37, v[42:43]
	v_add_u32_e32 v10, v21, v93
	v_add_u32_e32 v3, 0, v93
	ds_read2st64_b32 v[4:5], v10 offset1:9
	v_add_u32_e32 v3, 0x80, v3
	ds_read2st64_b32 v[6:7], v3 offset1:9
	ds_read2st64_b32 v[8:9], v3 offset0:18 offset1:27
	ds_read2st64_b32 v[10:11], v10 offset0:18 offset1:27
	v_lshl_or_b32 v2, v2, 5, v16
	v_ashrrev_i32_e32 v3, 31, v2
	s_waitcnt lgkmcnt(3)
	v_cvt_f32_f16_e32 v12, v4
	v_cvt_f32_f16_sdwa v13, v4 dst_sel:DWORD dst_unused:UNUSED_PAD src0_sel:WORD_1
	v_cvt_f32_f16_e32 v4, v5
	v_cvt_f32_f16_sdwa v5, v5 dst_sel:DWORD dst_unused:UNUSED_PAD src0_sel:WORD_1
	s_waitcnt lgkmcnt(0)
	v_cvt_f32_f16_e32 v58, v10
	v_cvt_f32_f16_sdwa v59, v10 dst_sel:DWORD dst_unused:UNUSED_PAD src0_sel:WORD_1
	v_cvt_f32_f16_e32 v10, v11
	v_cvt_f32_f16_sdwa v11, v11 dst_sel:DWORD dst_unused:UNUSED_PAD src0_sel:WORD_1
	v_pk_fma_f32 v[12:13], v[6:7], v[12:13], 0 op_sel_hi:[0,1,0]
	v_mov_b32_e32 v6, v7
	v_pk_fma_f32 v[4:5], v[6:7], v[4:5], v[12:13] op_sel_hi:[0,1,1]
	v_pk_fma_f32 v[4:5], v[8:9], v[58:59], v[4:5] op_sel_hi:[0,1,1]
	v_mov_b32_e32 v6, v9
	v_lshl_add_u64 v[2:3], v[2:3], 3, s[72:73]
	v_pk_fma_f32 v[4:5], v[6:7], v[10:11], v[4:5] op_sel_hi:[0,1,1]
	global_store_dwordx2 v[2:3], v[4:5], off
.LBB0_80:                               ;   in Loop: Header=BB0_12 Depth=1
	s_or_b64 exec, exec, s[82:83]
	s_barrier
	s_branch .LBB0_11
.LBB0_81:                               ;   in Loop: Header=BB0_12 Depth=1
	s_lshl_b32 s56, s56, 2
	v_add_u32_e32 v2, s56, v96
	v_cmp_le_i32_e64 s[8:9], s3, v45
	v_cmp_le_i32_e64 s[12:13], s36, v2
	v_cmp_gt_i32_e32 vcc, s3, v45
	s_or_b64 s[8:9], s[12:13], s[8:9]
	s_and_saveexec_b64 s[12:13], s[8:9]
	s_xor_b64 s[8:9], exec, s[12:13]
; %bb.82:                               ;   in Loop: Header=BB0_12 Depth=1
	v_add_u32_e32 v2, v21, v70
	ds_write_b32 v2, v19
                                        ; implicit-def: $vgpr2
; %bb.83:                               ;   in Loop: Header=BB0_12 Depth=1
	s_andn2_saveexec_b64 s[8:9], s[8:9]
	s_cbranch_execz .LBB0_85
; %bb.84:                               ;   in Loop: Header=BB0_12 Depth=1
	v_mad_u64_u32 v[2:3], s[12:13], v2, s55, v[44:45]
	v_ashrrev_i32_e32 v3, 31, v2
	v_lshl_add_u64 v[2:3], v[2:3], 3, s[78:79]
	global_load_dwordx2 v[2:3], v[2:3], off
	s_waitcnt vmcnt(0)
	v_cvt_pk_f16_f32 v2, v2, v3
	v_pk_mul_f16 v2, v2, v15
	v_add_u32_e32 v3, v21, v70
	ds_write_b32 v3, v2
.LBB0_85:                               ;   in Loop: Header=BB0_12 Depth=1
	s_or_b64 exec, exec, s[8:9]
	v_add_u32_e32 v2, s56, v81
	v_cmp_le_i32_e64 s[8:9], s36, v2
	s_xor_b64 s[12:13], vcc, -1
	s_or_b64 s[8:9], s[8:9], s[12:13]
	s_and_saveexec_b64 s[12:13], s[8:9]
	s_xor_b64 s[8:9], exec, s[12:13]
; %bb.86:                               ;   in Loop: Header=BB0_12 Depth=1
	v_add_u32_e32 v2, v21, v82
	ds_write_b32 v2, v19
                                        ; implicit-def: $vgpr2
; %bb.87:                               ;   in Loop: Header=BB0_12 Depth=1
	s_andn2_saveexec_b64 s[8:9], s[8:9]
	s_cbranch_execz .LBB0_89
; %bb.88:                               ;   in Loop: Header=BB0_12 Depth=1
	v_mad_u64_u32 v[2:3], s[12:13], v2, s55, v[44:45]
	v_ashrrev_i32_e32 v3, 31, v2
	v_lshl_add_u64 v[2:3], v[2:3], 3, s[78:79]
	global_load_dwordx2 v[2:3], v[2:3], off
	s_waitcnt vmcnt(0)
	v_cvt_pk_f16_f32 v2, v2, v3
	v_pk_mul_f16 v2, v2, v15
	v_add_u32_e32 v3, v21, v82
	ds_write_b32 v3, v2
.LBB0_89:                               ;   in Loop: Header=BB0_12 Depth=1
	s_or_b64 exec, exec, s[8:9]
	s_waitcnt lgkmcnt(0)
	s_barrier
	ds_read2_b64 v[6:9], v47 offset1:4
	ds_read2_b64 v[2:5], v47 offset0:8 offset1:12
	s_cmp_lt_i32 s65, 2
	s_waitcnt lgkmcnt(0)
	s_barrier
	s_cbranch_scc1 .LBB0_94
; %bb.90:                               ;   in Loop: Header=BB0_12 Depth=1
	v_add_u32_e32 v10, s56, v43
	v_mul_hi_u32 v11, s34, v10
	v_add_u32_e32 v11, v10, v11
	v_lshrrev_b32_e32 v11, s35, v11
	v_mul_lo_u32 v11, v11, s36
	v_sub_u32_e32 v12, v10, v11
	v_and_b32_e32 v10, 64, v102
	v_add_u32_e32 v10, 64, v10
	v_xor_b32_e32 v11, 32, v102
	v_cmp_lt_i32_e32 vcc, v11, v10
	v_readlane_b32 s8, v124, 21
	v_readlane_b32 s9, v124, 22
	v_cndmask_b32_e32 v11, v102, v11, vcc
	v_lshlrev_b32_e32 v18, 2, v11
	v_xor_b32_e32 v11, 16, v102
	v_cmp_lt_i32_e32 vcc, v11, v10
	s_add_i32 s12, s65, -1
	v_mov_b32_e32 v113, 0xfeffffff
	v_cndmask_b32_e32 v10, v102, v11, vcc
	v_lshlrev_b32_e32 v105, 2, v10
	v_mov_b64_e32 v[10:11], s[80:81]
	v_mad_i64_i32 v[10:11], s[8:9], s8, v12, v[10:11]
	s_add_u32 s8, s99, s42
	s_addc_u32 s9, s60, s59
	v_lshl_add_u64 v[60:61], v[50:51], 0, s[8:9]
	v_lshl_add_u64 v[62:63], v[52:53], 0, s[8:9]
	s_add_u32 s8, s94, s95
	s_addc_u32 s9, s92, s97
	v_lshl_add_u64 v[58:59], v[30:31], 0, v[10:11]
	v_lshl_add_u64 v[64:65], v[54:55], 0, s[8:9]
	v_lshl_add_u64 v[66:67], v[56:57], 0, s[8:9]
	v_mov_b32_e32 v11, 0
	v_mov_b32_e32 v12, 0
	s_mov_b32 s13, s12
	v_mov_b32_e32 v111, 0
	v_mov_b32_e32 v110, 0
	;; [unrolled: 1-line block ×7, first 2 shown]
	s_and_saveexec_b64 s[8:9], s[0:1]
	s_cbranch_execz .LBB0_92
.LBB0_91:                               ;   in Loop: Header=BB0_12 Depth=1
	global_load_dword v13, v[58:59], off
	s_waitcnt vmcnt(0)
	ds_write_b32 v71, v13 offset:9216
.LBB0_92:                               ;   Parent Loop BB0_12 Depth=1
                                        ; =>  This Inner Loop Header: Depth=2
	s_or_b64 exec, exec, s[8:9]
	v_lshl_add_u64 v[68:69], v[64:65], 0, v[32:33]
	global_load_dwordx4 v[114:117], v[68:69], off
	v_lshl_add_u64 v[118:119], v[66:67], 0, v[32:33]
	v_add_u32_e32 v13, 0x2400, v74
	s_add_i32 s13, s13, -1
	s_mov_b64 s[8:9], 0x80
	v_lshl_add_u64 v[58:59], v[58:59], 0, s[8:9]
	v_lshl_add_u64 v[64:65], v[64:65], 0, s[70:71]
	;; [unrolled: 1-line block ×3, first 2 shown]
	s_cmp_lg_u32 s13, 0
	s_waitcnt vmcnt(0)
	ds_write_b128 v72, v[114:117]
	global_load_dwordx4 v[114:117], v[118:119], off
	s_waitcnt vmcnt(0)
	ds_write_b128 v95, v[114:117]
	s_waitcnt lgkmcnt(0)
	s_barrier
	ds_read2_b64 v[114:117], v73 offset1:4
	s_waitcnt lgkmcnt(0)
	v_mfma_f32_16x16x16_f16 v[118:121], v[114:115], v[6:7], 0
	v_mfma_f32_16x16x16_f16 v[114:117], v[116:117], v[8:9], v[118:121]
	s_nop 6
	ds_read2_b64 v[118:121], v73 offset0:8 offset1:12
	s_waitcnt lgkmcnt(0)
	s_barrier
	ds_read2_b32 v[68:69], v13 offset1:1
	v_mfma_f32_16x16x16_f16 v[114:117], v[118:119], v[2:3], v[114:117]
	s_waitcnt lgkmcnt(0)
	v_cvt_f32_f16_e32 v13, v68
	v_cvt_f32_f16_sdwa v45, v68 dst_sel:DWORD dst_unused:UNUSED_PAD src0_sel:WORD_1
	v_cvt_f32_f16_e32 v68, v69
	v_mfma_f32_16x16x16_f16 v[114:117], v[120:121], v[4:5], v[114:117]
	v_cvt_f32_f16_sdwa v69, v69 dst_sel:DWORD dst_unused:UNUSED_PAD src0_sel:WORD_1
	v_lshl_add_u64 v[118:119], v[62:63], 0, v[32:33]
	v_lshl_add_u64 v[62:63], v[62:63], 0, s[68:69]
	s_nop 4
	v_add_f32_e32 v13, v114, v13
	v_add_f32_e32 v45, v115, v45
	;; [unrolled: 1-line block ×6, first 2 shown]
	v_max3_f32 v68, v113, v68, v69
	v_add_f32_e32 v69, 0x40051340, v112
	v_add_f32_e32 v104, 0x40051340, v114
	v_max3_f32 v68, v68, v69, v104
	ds_bpermute_b32 v69, v18, v68
	s_waitcnt lgkmcnt(0)
	v_max_f32_e32 v69, v69, v69
	v_max_f32_e32 v68, v68, v69
	ds_bpermute_b32 v69, v105, v68
	s_waitcnt lgkmcnt(0)
	v_max_f32_e32 v69, v69, v69
	v_max_f32_e32 v104, v68, v69
	v_sub_f32_e32 v13, v13, v104
	v_mul_f32_e32 v68, 0x3fb8aa3b, v13
	v_fma_f32 v69, v13, s45, -v68
	v_rndne_f32_e32 v115, v68
	v_fmac_f32_e32 v69, 0x32a5705f, v13
	v_sub_f32_e32 v68, v68, v115
	v_add_f32_e32 v68, v68, v69
	v_exp_f32_e32 v68, v68
	v_cvt_i32_f32_e32 v69, v115
	v_cmp_ngt_f32_e32 vcc, s67, v13
	v_sub_f32_e32 v45, v45, v104
	v_sub_f32_e32 v113, v113, v104
	v_ldexp_f32 v68, v68, v69
	v_cndmask_b32_e32 v68, 0, v68, vcc
	v_cmp_nlt_f32_e32 vcc, s66, v13
	s_nop 1
	v_cndmask_b32_e32 v13, v103, v68, vcc
	v_mul_f32_e32 v68, 0x3fb8aa3b, v45
	v_fma_f32 v69, v45, s45, -v68
	v_rndne_f32_e32 v115, v68
	v_fmac_f32_e32 v69, 0x32a5705f, v45
	v_sub_f32_e32 v68, v68, v115
	v_add_f32_e32 v68, v68, v69
	v_exp_f32_e32 v68, v68
	v_cvt_i32_f32_e32 v69, v115
	v_cmp_ngt_f32_e32 vcc, s67, v45
	v_ldexp_f32 v68, v68, v69
	v_sub_f32_e32 v69, v112, v104
	v_mul_f32_e32 v112, 0x3fb8aa3b, v69
	v_fma_f32 v115, v69, s45, -v112
	v_rndne_f32_e32 v116, v112
	v_fmac_f32_e32 v115, 0x32a5705f, v69
	v_sub_f32_e32 v112, v112, v116
	v_add_f32_e32 v112, v112, v115
	v_exp_f32_e32 v112, v112
	v_cvt_i32_f32_e32 v115, v116
	v_cndmask_b32_e32 v68, 0, v68, vcc
	v_cmp_nlt_f32_e32 vcc, s66, v45
	v_ldexp_f32 v112, v112, v115
	s_nop 0
	v_cndmask_b32_e32 v68, v103, v68, vcc
	v_cmp_ngt_f32_e32 vcc, s67, v69
	v_add_f32_e32 v45, v13, v68
	v_cvt_pk_f16_f32 v68, v13, v68
	v_cndmask_b32_e32 v112, 0, v112, vcc
	v_cmp_nlt_f32_e32 vcc, s66, v69
	s_nop 1
	v_cndmask_b32_e32 v69, v103, v112, vcc
	v_sub_f32_e32 v112, v114, v104
	v_mul_f32_e32 v114, 0x3fb8aa3b, v112
	v_fma_f32 v115, v112, s45, -v114
	v_rndne_f32_e32 v116, v114
	v_fmac_f32_e32 v115, 0x32a5705f, v112
	v_sub_f32_e32 v114, v114, v116
	v_add_f32_e32 v114, v114, v115
	v_exp_f32_e32 v114, v114
	v_cvt_i32_f32_e32 v115, v116
	v_cmp_ngt_f32_e32 vcc, s67, v112
	v_add_f32_e32 v45, v69, v45
	v_ldexp_f32 v114, v114, v115
	v_cndmask_b32_e32 v114, 0, v114, vcc
	v_cmp_nlt_f32_e32 vcc, s66, v112
	s_nop 1
	v_cndmask_b32_e32 v112, v103, v114, vcc
	v_mul_f32_e32 v114, 0x3fb8aa3b, v113
	v_fma_f32 v115, v113, s45, -v114
	v_rndne_f32_e32 v116, v114
	v_fmac_f32_e32 v115, 0x32a5705f, v113
	v_sub_f32_e32 v114, v114, v116
	v_add_f32_e32 v114, v114, v115
	v_exp_f32_e32 v114, v114
	v_cvt_i32_f32_e32 v115, v116
	v_cmp_ngt_f32_e32 vcc, s67, v113
	v_add_f32_e32 v45, v112, v45
	v_cvt_pk_f16_f32 v69, v69, v112
	v_ldexp_f32 v114, v114, v115
	v_cndmask_b32_e32 v114, 0, v114, vcc
	v_cmp_nlt_f32_e32 vcc, s66, v113
	s_nop 1
	v_cndmask_b32_e32 v114, v103, v114, vcc
	v_cmp_le_f32_e32 vcc, s33, v113
	s_nop 1
	v_cndmask_b32_e32 v113, 0, v114, vcc
	v_lshl_add_u64 v[114:115], v[60:61], 0, v[32:33]
	global_load_dwordx4 v[114:117], v[114:115], off
	v_fmac_f32_e32 v45, v12, v113
	v_cvt_f16_f32_e32 v12, v113
	v_lshl_add_u64 v[60:61], v[60:61], 0, s[68:69]
	v_mul_u32_u24_e32 v113, 0x10001, v12
	v_pk_mul_f16 v12, v11, v113
	v_pk_mul_f16 v11, v111, v113
	;; [unrolled: 1-line block ×8, first 2 shown]
	v_cvt_f32_f16_sdwa v113, v12 dst_sel:DWORD dst_unused:UNUSED_PAD src0_sel:WORD_1
	s_waitcnt vmcnt(0)
	ds_write_b128 v72, v[114:117]
	global_load_dwordx4 v[114:117], v[118:119], off
	s_waitcnt vmcnt(0)
	ds_write_b128 v95, v[114:117]
	s_waitcnt lgkmcnt(0)
	s_barrier
	ds_read_u16 v10, v75 offset:144
	ds_read_u16 v13, v76
	ds_read_u16 v118, v76 offset:32
	ds_read_u16 v112, v77
	ds_read_u16 v119, v77 offset:32
	v_cvt_f32_f16_e32 v114, v11
	v_cvt_f32_f16_sdwa v115, v11 dst_sel:DWORD dst_unused:UNUSED_PAD src0_sel:WORD_1
	s_waitcnt lgkmcnt(1)
	v_perm_b32 v117, v112, v13, s86
	ds_read_u16 v13, v75
	ds_read_u16 v120, v75 offset:32
	v_cvt_f32_f16_e32 v112, v12
	s_waitcnt lgkmcnt(1)
	v_perm_b32 v116, v10, v13, s86
	s_nop 1
	v_mfma_f32_16x16x16_f16 v[10:13], v[116:117], v[68:69], v[112:115]
	s_nop 2
	ds_read_u16 v112, v75 offset:176
	v_perm_b32 v117, v119, v118, s86
	v_cvt_f32_f16_sdwa v113, v111 dst_sel:DWORD dst_unused:UNUSED_PAD src0_sel:WORD_1
	v_cvt_f32_f16_e32 v114, v110
	v_cvt_f32_f16_sdwa v115, v110 dst_sel:DWORD dst_unused:UNUSED_PAD src0_sel:WORD_1
	s_waitcnt lgkmcnt(0)
	v_perm_b32 v116, v112, v120, s86
	v_cvt_f32_f16_e32 v112, v111
	v_cvt_f32_f16_e32 v118, v108
	v_cvt_f32_f16_sdwa v119, v108 dst_sel:DWORD dst_unused:UNUSED_PAD src0_sel:WORD_1
	v_mfma_f32_16x16x16_f16 v[112:115], v[116:117], v[68:69], v[112:115]
	ds_read_u16 v110, v75 offset:64
	ds_read_u16 v116, v75 offset:208
	ds_read_u16 v111, v76 offset:64
	ds_read_u16 v117, v77 offset:64
	v_cvt_pk_f16_f32 v11, v10, v11
	s_waitcnt lgkmcnt(2)
	v_perm_b32 v110, v116, v110, s86
	v_cvt_f32_f16_e32 v116, v109
	s_waitcnt lgkmcnt(0)
	v_perm_b32 v111, v117, v111, s86
	v_cvt_f32_f16_sdwa v117, v109 dst_sel:DWORD dst_unused:UNUSED_PAD src0_sel:WORD_1
	s_nop 1
	v_mfma_f32_16x16x16_f16 v[116:119], v[110:111], v[68:69], v[116:119]
	ds_read_u16 v108, v75 offset:96
	ds_read_u16 v109, v75 offset:240
	;; [unrolled: 1-line block ×4, first 2 shown]
	s_waitcnt lgkmcnt(0)
	s_barrier
	v_perm_b32 v120, v109, v108, s86
	v_cvt_f32_f16_e32 v108, v107
	v_perm_b32 v121, v111, v110, s86
	v_cvt_f32_f16_sdwa v109, v107 dst_sel:DWORD dst_unused:UNUSED_PAD src0_sel:WORD_1
	v_cvt_f32_f16_e32 v110, v106
	v_cvt_f32_f16_sdwa v111, v106 dst_sel:DWORD dst_unused:UNUSED_PAD src0_sel:WORD_1
	v_cvt_pk_f16_f32 v107, v118, v119
	s_nop 0
	v_mfma_f32_16x16x16_f16 v[120:123], v[120:121], v[68:69], v[108:111]
	s_nop 2
	v_cvt_pk_f16_f32 v111, v12, v13
	v_cvt_pk_f16_f32 v110, v112, v113
	;; [unrolled: 1-line block ×4, first 2 shown]
	s_nop 0
	v_cvt_pk_f16_f32 v106, v120, v121
	v_cvt_pk_f16_f32 v10, v122, v123
	s_cbranch_scc0 .LBB0_95
; %bb.93:                               ;   in Loop: Header=BB0_92 Depth=2
	v_mov_b32_e32 v12, v45
	v_mov_b32_e32 v113, v104
	s_and_saveexec_b64 s[8:9], s[0:1]
	s_cbranch_execnz .LBB0_91
	s_branch .LBB0_92
.LBB0_94:                               ;   in Loop: Header=BB0_12 Depth=1
	v_mov_b32_e32 v104, 0xfeffffff
	v_mov_b32_e32 v45, 0
	s_mov_b64 s[8:9], 0
	v_mov_b32_e32 v10, 0
	v_mov_b32_e32 v106, 0
	;; [unrolled: 1-line block ×8, first 2 shown]
	s_and_saveexec_b64 s[12:13], s[0:1]
	s_cbranch_execnz .LBB0_96
	s_branch .LBB0_97
.LBB0_95:                               ;   in Loop: Header=BB0_12 Depth=1
	s_lshl_b32 s60, s12, 6
	s_mov_b64 s[8:9], s[60:61]
	s_and_saveexec_b64 s[12:13], s[0:1]
	s_cbranch_execz .LBB0_97
.LBB0_96:                               ;   in Loop: Header=BB0_12 Depth=1
	v_or_b32_e32 v12, s56, v43
	v_mul_hi_u32 v13, s34, v12
	s_lshl_b64 s[78:79], s[8:9], 1
	v_add_u32_e32 v13, v12, v13
	s_add_u32 s76, s76, s78
	v_lshrrev_b32_e32 v13, s35, v13
	s_addc_u32 s77, s77, s79
	v_mul_lo_u32 v13, v13, s36
	v_readlane_b32 s78, v124, 19
	v_sub_u32_e32 v12, v12, v13
	v_readlane_b32 s79, v124, 20
	v_mad_i64_i32 v[12:13], s[78:79], v12, s78, 0
	v_lshl_add_u64 v[12:13], v[12:13], 1, s[76:77]
	v_lshlrev_b32_e32 v18, 1, v14
	v_lshl_add_u64 v[12:13], v[12:13], 0, v[18:19]
	global_load_dword v12, v[12:13], off
	s_waitcnt vmcnt(0)
	ds_write_b32 v71, v12 offset:9216
.LBB0_97:                               ;   in Loop: Header=BB0_12 Depth=1
	s_or_b64 exec, exec, s[12:13]
	s_mul_i32 s9, s8, s39
	s_mul_hi_u32 s12, s8, s38
	s_add_i32 s13, s12, s9
	s_mul_i32 s12, s8, s38
	s_lshl_b64 s[12:13], s[12:13], 2
	s_add_u32 s12, s63, s12
	s_addc_u32 s13, s64, s13
	v_lshl_add_u64 v[12:13], v[22:23], 2, s[12:13]
	v_lshlrev_b32_e32 v18, 2, v20
	v_lshl_add_u64 v[58:59], v[24:25], 2, s[12:13]
	v_lshl_add_u64 v[12:13], v[12:13], 0, v[18:19]
	;; [unrolled: 1-line block ×3, first 2 shown]
	global_load_dwordx4 v[58:61], v[12:13], off
	s_nop 0
	global_load_dwordx4 v[62:65], v[62:63], off
	v_and_b32_e32 v13, 64, v102
	v_xor_b32_e32 v66, 32, v102
	v_add_u32_e32 v13, 64, v13
	v_xor_b32_e32 v67, 16, v102
	v_cmp_lt_i32_e32 vcc, v66, v13
	v_add_u32_e32 v12, 0x2400, v74
	s_mul_i32 s9, s8, s15
	s_mul_hi_u32 s12, s8, s14
	s_mul_i32 s8, s8, s14
	s_add_i32 s9, s12, s9
	s_lshl_b64 s[8:9], s[8:9], 2
	s_add_u32 s8, s44, s8
	s_addc_u32 s9, s62, s9
	s_cmp_lg_u64 s[74:75], 0
	s_waitcnt vmcnt(1)
	ds_write_b128 v72, v[58:61]
	s_waitcnt vmcnt(0)
	ds_write_b128 v95, v[62:65]
	s_waitcnt lgkmcnt(0)
	s_barrier
	ds_read2_b64 v[62:65], v73 offset1:4
	v_cndmask_b32_e32 v58, v102, v66, vcc
	v_cmp_lt_i32_e32 vcc, v67, v13
	s_waitcnt lgkmcnt(0)
	v_mfma_f32_16x16x16_f16 v[112:115], v[62:63], v[6:7], 0
	v_cndmask_b32_e32 v59, v102, v67, vcc
	ds_read2_b64 v[66:69], v73 offset0:8 offset1:12
	s_waitcnt lgkmcnt(0)
	v_mfma_f32_16x16x16_f16 v[6:9], v[64:65], v[8:9], v[112:115]
	s_barrier
	ds_read2_b32 v[12:13], v12 offset1:1
	v_mfma_f32_16x16x16_f16 v[6:9], v[66:67], v[2:3], v[6:9]
	v_lshlrev_b32_e32 v60, 2, v58
	s_waitcnt lgkmcnt(0)
	v_cvt_f32_f16_e32 v58, v12
	v_cvt_f32_f16_sdwa v12, v12 dst_sel:DWORD dst_unused:UNUSED_PAD src0_sel:WORD_1
	v_mfma_f32_16x16x16_f16 v[2:5], v[68:69], v[4:5], v[6:9]
	v_lshlrev_b32_e32 v61, 2, v59
	v_cvt_f32_f16_e32 v59, v13
	v_cvt_f32_f16_sdwa v13, v13 dst_sel:DWORD dst_unused:UNUSED_PAD src0_sel:WORD_1
	s_nop 4
	v_add_f32_e32 v62, v2, v58
	v_add_f32_e32 v12, v3, v12
	;; [unrolled: 1-line block ×8, first 2 shown]
	v_max3_f32 v2, v104, v2, v3
	v_max3_f32 v6, v2, v4, v5
	ds_bpermute_b32 v7, v60, v6
	v_lshl_add_u64 v[2:3], v[26:27], 2, s[8:9]
	v_lshl_add_u64 v[4:5], v[28:29], 2, s[8:9]
	;; [unrolled: 1-line block ×3, first 2 shown]
	s_cselect_b64 s[8:9], -1, 0
	s_waitcnt lgkmcnt(0)
	v_max_f32_e32 v7, v7, v7
	v_max_f32_e32 v58, v6, v7
	v_lshl_add_u64 v[6:7], v[4:5], 0, v[18:19]
	global_load_dwordx4 v[2:5], v[2:3], off
	s_nop 0
	global_load_dwordx4 v[6:9], v[6:7], off
	ds_bpermute_b32 v63, v61, v58
	s_and_b64 s[12:13], s[10:11], s[8:9]
	s_waitcnt vmcnt(1)
	ds_write_b128 v72, v[2:5]
	s_waitcnt vmcnt(0)
	ds_write_b128 v95, v[6:9]
	s_waitcnt lgkmcnt(2)
	v_max_f32_e32 v18, v63, v63
	v_max_f32_e32 v58, v58, v18
	v_sub_f32_e32 v18, v62, v58
	v_sub_f32_e32 v12, v12, v58
	v_mul_f32_e32 v63, 0x3fb8aa3b, v18
	v_sub_f32_e32 v59, v59, v58
	v_mul_f32_e32 v64, 0x3fb8aa3b, v12
	v_fma_f32 v68, v18, s45, -v63
	v_rndne_f32_e32 v69, v63
	v_sub_f32_e32 v13, v13, v58
	v_sub_f32_e32 v62, v104, v58
	v_mul_f32_e32 v65, 0x3fb8aa3b, v59
	v_fma_f32 v104, v12, s45, -v64
	v_rndne_f32_e32 v105, v64
	v_fmac_f32_e32 v68, 0x32a5705f, v18
	v_sub_f32_e32 v63, v63, v69
	v_mul_f32_e32 v66, 0x3fb8aa3b, v13
	v_fma_f32 v112, v59, s45, -v65
	v_rndne_f32_e32 v113, v65
	v_fmac_f32_e32 v104, 0x32a5705f, v12
	v_sub_f32_e32 v64, v64, v105
	v_add_f32_e32 v63, v63, v68
	v_mul_f32_e32 v67, 0x3fb8aa3b, v62
	v_fma_f32 v114, v13, s45, -v66
	v_rndne_f32_e32 v115, v66
	v_cvt_i32_f32_e32 v69, v69
	v_fmac_f32_e32 v112, 0x32a5705f, v59
	v_sub_f32_e32 v65, v65, v113
	v_add_f32_e32 v64, v64, v104
	v_exp_f32_e32 v63, v63
	v_fma_f32 v116, v62, s45, -v67
	v_rndne_f32_e32 v117, v67
	v_cvt_i32_f32_e32 v105, v105
	v_fmac_f32_e32 v114, 0x32a5705f, v13
	v_sub_f32_e32 v66, v66, v115
	v_add_f32_e32 v65, v65, v112
	v_exp_f32_e32 v64, v64
	v_cvt_i32_f32_e32 v113, v113
	v_fmac_f32_e32 v116, 0x32a5705f, v62
	v_sub_f32_e32 v67, v67, v117
	v_add_f32_e32 v66, v66, v114
	v_exp_f32_e32 v65, v65
	v_cvt_i32_f32_e32 v115, v115
	v_add_f32_e32 v67, v67, v116
	v_exp_f32_e32 v66, v66
	v_cvt_i32_f32_e32 v117, v117
	v_exp_f32_e32 v67, v67
	v_ldexp_f32 v63, v63, v69
	v_cmp_ngt_f32_e32 vcc, s67, v18
	v_ldexp_f32 v64, v64, v105
	v_ldexp_f32 v65, v65, v113
	v_cndmask_b32_e32 v63, 0, v63, vcc
	v_cmp_ngt_f32_e32 vcc, s67, v12
	v_ldexp_f32 v66, v66, v115
	v_ldexp_f32 v67, v67, v117
	v_cndmask_b32_e32 v64, 0, v64, vcc
	v_cmp_ngt_f32_e32 vcc, s67, v59
	s_waitcnt lgkmcnt(0)
	s_barrier
	v_cndmask_b32_e32 v65, 0, v65, vcc
	v_cmp_ngt_f32_e32 vcc, s67, v13
	s_nop 1
	v_cndmask_b32_e32 v66, 0, v66, vcc
	v_cmp_ngt_f32_e32 vcc, s67, v62
	s_nop 1
	v_cndmask_b32_e32 v67, 0, v67, vcc
	v_cmp_nlt_f32_e32 vcc, s66, v18
	s_nop 1
	v_cndmask_b32_e32 v18, v103, v63, vcc
	v_cmp_nlt_f32_e32 vcc, s66, v12
	;; [unrolled: 3-line block ×3, first 2 shown]
	v_add_f32_e32 v64, v18, v12
	s_nop 0
	v_cndmask_b32_e32 v59, v103, v65, vcc
	v_cmp_nlt_f32_e32 vcc, s66, v13
	v_add_f32_e32 v64, v59, v64
	s_nop 0
	v_cndmask_b32_e32 v13, v103, v66, vcc
	v_cmp_nlt_f32_e32 vcc, s66, v62
	v_add_f32_e32 v66, v13, v64
	s_nop 0
	v_cndmask_b32_e32 v63, v103, v67, vcc
	v_cmp_le_f32_e32 vcc, s33, v62
	s_nop 1
	v_cndmask_b32_e32 v62, 0, v63, vcc
	v_cvt_f16_f32_e32 v63, v62
	v_fmac_f32_e32 v66, v45, v62
	v_mul_u32_u24_e32 v45, 0x10001, v63
	v_pk_mul_f16 v65, v109, v45
	v_pk_mul_f16 v67, v108, v45
	;; [unrolled: 1-line block ×4, first 2 shown]
	ds_read_u16 v2, v76
	ds_read_u16 v104, v76 offset:32
	ds_read_u16 v3, v77
	ds_read_u16 v105, v77 offset:32
	ds_read_u16 v106, v76 offset:64
	;; [unrolled: 1-line block ×5, first 2 shown]
	v_pk_mul_f16 v11, v11, v45
	v_pk_mul_f16 v62, v111, v45
	;; [unrolled: 1-line block ×3, first 2 shown]
	s_waitcnt lgkmcnt(5)
	v_perm_b32 v7, v3, v2, s86
	ds_read_u16 v2, v75 offset:144
	ds_read_u16 v3, v75
	ds_read_u16 v110, v75 offset:32
	ds_read_u16 v111, v75 offset:176
	ds_read_u16 v112, v75 offset:64
	ds_read_u16 v113, v75 offset:208
	ds_read_u16 v114, v75 offset:240
	ds_read_u16 v115, v75 offset:96
	s_waitcnt lgkmcnt(6)
	v_perm_b32 v6, v2, v3, s86
	v_cvt_f32_f16_e32 v2, v11
	v_cvt_f32_f16_sdwa v3, v11 dst_sel:DWORD dst_unused:UNUSED_PAD src0_sel:WORD_1
	v_cvt_f32_f16_e32 v4, v62
	v_cvt_f32_f16_sdwa v5, v62 dst_sel:DWORD dst_unused:UNUSED_PAD src0_sel:WORD_1
	v_cvt_pk_f16_f32 v63, v59, v13
	v_cvt_pk_f16_f32 v62, v18, v12
	v_pk_mul_f16 v45, v10, v45
	s_waitcnt lgkmcnt(0)
	v_mfma_f32_16x16x16_f16 v[8:11], v[6:7], v[62:63], v[2:5]
	v_perm_b32 v7, v105, v104, s86
	v_perm_b32 v6, v111, v110, s86
	s_barrier
	v_cvt_f32_f16_e32 v2, v64
	v_cvt_f32_f16_sdwa v3, v64 dst_sel:DWORD dst_unused:UNUSED_PAD src0_sel:WORD_1
	s_nop 2
	v_cvt_f16_f32_e32 v10, v10
	v_cvt_f16_f32_e32 v11, v11
	v_cvt_f32_f16_e32 v4, v65
	v_cvt_f32_f16_sdwa v5, v65 dst_sel:DWORD dst_unused:UNUSED_PAD src0_sel:WORD_1
	v_perm_b32 v65, v108, v109, s86
	v_perm_b32 v18, v11, v10, s86
	v_mfma_f32_16x16x16_f16 v[10:13], v[6:7], v[62:63], v[2:5]
	v_perm_b32 v7, v107, v106, s86
	v_perm_b32 v6, v113, v112, s86
	s_nop 0
	v_cvt_f32_f16_e32 v2, v67
	v_cvt_f32_f16_sdwa v3, v67 dst_sel:DWORD dst_unused:UNUSED_PAD src0_sel:WORD_1
	v_cvt_f32_f16_e32 v4, v68
	v_cvt_f32_f16_sdwa v5, v68 dst_sel:DWORD dst_unused:UNUSED_PAD src0_sel:WORD_1
	s_nop 0
	v_cvt_f16_f32_e32 v12, v12
	v_cvt_f16_f32_e32 v13, v13
	v_mfma_f32_16x16x16_f16 v[2:5], v[6:7], v[62:63], v[2:5]
	v_perm_b32 v64, v114, v115, s86
	v_perm_b32 v12, v13, v12, s86
	v_cvt_f32_f16_e32 v6, v45
	v_cvt_f32_f16_sdwa v7, v45 dst_sel:DWORD dst_unused:UNUSED_PAD src0_sel:WORD_1
	s_nop 3
	v_cvt_f16_f32_e32 v13, v4
	v_cvt_f16_f32_e32 v59, v5
	v_cvt_f32_f16_e32 v4, v69
	v_cvt_f32_f16_sdwa v5, v69 dst_sel:DWORD dst_unused:UNUSED_PAD src0_sel:WORD_1
	ds_bpermute_b32 v45, v60, v66
	v_perm_b32 v13, v59, v13, s86
	v_mfma_f32_16x16x16_f16 v[4:7], v[64:65], v[62:63], v[4:7]
	v_cvt_f16_f32_e32 v104, v8
	s_waitcnt lgkmcnt(0)
	v_add_f32_e32 v45, v66, v45
	ds_bpermute_b32 v59, v61, v45
	v_cvt_f16_f32_e32 v105, v9
	v_cvt_f16_f32_e32 v67, v10
	;; [unrolled: 1-line block ×9, first 2 shown]
	s_waitcnt lgkmcnt(0)
	v_add_f32_e32 v59, v45, v59
	v_perm_b32 v45, v68, v67, s86
	v_perm_b32 v6, v7, v6, s86
	;; [unrolled: 1-line block ×5, first 2 shown]
	s_and_saveexec_b64 s[8:9], s[12:13]
	s_cbranch_execz .LBB0_99
; %bb.98:                               ;   in Loop: Header=BB0_12 Depth=1
	v_lshlrev_b32_e32 v7, 2, v46
	global_load_dword v7, v7, s[74:75]
	v_cvt_pk_f16_f32 v45, v8, v9
	v_max_f32_e32 v8, v58, v58
	v_cvt_pk_f16_f32 v10, v10, v11
	v_cvt_pk_f16_f32 v2, v2, v3
	;; [unrolled: 1-line block ×3, first 2 shown]
	s_waitcnt vmcnt(0)
	v_max_f32_e32 v9, v7, v7
	v_max_f32_e32 v8, v8, v9
	v_sub_f32_e32 v9, v58, v8
	v_sub_f32_e32 v7, v7, v8
	v_mul_f32_e32 v11, 0x3fb8aa3b, v9
	v_mul_f32_e32 v58, 0x3fb8aa3b, v7
	v_fma_f32 v62, v9, s45, -v11
	v_rndne_f32_e32 v63, v11
	v_fma_f32 v64, v7, s45, -v58
	v_rndne_f32_e32 v65, v58
	v_fmac_f32_e32 v62, 0x32a5705f, v9
	v_sub_f32_e32 v11, v11, v63
	v_fmac_f32_e32 v64, 0x32a5705f, v7
	v_sub_f32_e32 v58, v58, v65
	v_add_f32_e32 v11, v11, v62
	v_cvt_i32_f32_e32 v63, v63
	v_add_f32_e32 v58, v58, v64
	v_exp_f32_e32 v11, v11
	v_cvt_i32_f32_e32 v65, v65
	v_exp_f32_e32 v58, v58
	v_cmp_ngt_f32_e32 vcc, s67, v9
	v_ldexp_f32 v4, v11, v63
	v_ldexp_f32 v5, v58, v65
	v_cndmask_b32_e32 v4, 0, v4, vcc
	v_cmp_ngt_f32_e32 vcc, s67, v7
	s_nop 1
	v_cndmask_b32_e32 v5, 0, v5, vcc
	v_cmp_nlt_f32_e32 vcc, s66, v9
	s_nop 1
	v_cndmask_b32_e32 v4, v103, v4, vcc
	v_cmp_le_f32_e32 vcc, s33, v9
	s_nop 1
	v_cndmask_b32_e32 v4, 0, v4, vcc
	v_cvt_f16_f32_e32 v11, v4
	v_cmp_nlt_f32_e32 vcc, s66, v7
	s_nop 1
	v_cndmask_b32_e32 v9, v103, v5, vcc
	v_fmac_f32_e32 v9, v59, v4
	v_mul_u32_u24_e32 v4, 0x10001, v11
	v_pk_mul_f16 v7, v45, v4
	v_pk_mul_f16 v18, v18, v4
	v_pk_mul_f16 v45, v10, v4
	v_pk_mul_f16 v12, v12, v4
	v_pk_mul_f16 v62, v2, v4
	v_pk_mul_f16 v13, v13, v4
	v_pk_mul_f16 v63, v3, v4
	v_pk_mul_f16 v6, v6, v4
	v_mov_b64_e32 v[58:59], v[8:9]
.LBB0_99:                               ;   in Loop: Header=BB0_12 Depth=1
	s_or_b64 exec, exec, s[8:9]
	s_and_saveexec_b64 s[8:9], s[6:7]
; %bb.100:                              ;   in Loop: Header=BB0_12 Depth=1
	v_add_u32_e32 v2, 0, v78
	ds_write2_b32 v2, v58, v59 offset0:32 offset1:33
; %bb.101:                              ;   in Loop: Header=BB0_12 Depth=1
	s_or_b64 exec, exec, s[8:9]
	s_waitcnt lgkmcnt(0)
	s_barrier
	s_and_saveexec_b64 s[8:9], s[4:5]
	s_xor_b64 s[8:9], exec, s[8:9]
	s_cbranch_execz .LBB0_103
; %bb.102:                              ;   in Loop: Header=BB0_12 Depth=1
	s_barrier
                                        ; implicit-def: $vgpr60
                                        ; implicit-def: $vgpr61
.LBB0_103:                              ;   in Loop: Header=BB0_12 Depth=1
	s_andn2_saveexec_b64 s[8:9], s[8:9]
	s_cbranch_execz .LBB0_105
; %bb.104:                              ;   in Loop: Header=BB0_12 Depth=1
	v_add_u32_e32 v4, 0, v78
	ds_read_b64 v[2:3], v4 offset:128
	s_waitcnt lgkmcnt(0)
	s_barrier
	ds_bpermute_b32 v5, v60, v2
	v_max_f32_e32 v8, v2, v2
	s_waitcnt lgkmcnt(0)
	v_max_f32_e32 v5, v5, v5
	v_max_f32_e32 v5, v8, v5
	ds_bpermute_b32 v8, v61, v5
	s_waitcnt lgkmcnt(0)
	v_max_f32_e32 v8, v8, v8
	v_max_f32_e32 v5, v5, v8
	v_sub_f32_e32 v2, v2, v5
	v_mul_f32_e32 v5, 0x3fb8aa3b, v2
	v_fma_f32 v8, v2, s45, -v5
	v_rndne_f32_e32 v9, v5
	v_fmac_f32_e32 v8, 0x32a5705f, v2
	v_sub_f32_e32 v5, v5, v9
	v_add_f32_e32 v5, v5, v8
	v_cvt_i32_f32_e32 v9, v9
	v_exp_f32_e32 v5, v5
	v_cmp_ngt_f32_e32 vcc, s67, v2
	v_ldexp_f32 v5, v5, v9
	s_nop 0
	v_cndmask_b32_e32 v5, 0, v5, vcc
	v_cmp_nlt_f32_e32 vcc, s66, v2
	s_nop 1
	v_cndmask_b32_e32 v2, v103, v5, vcc
	v_mul_f32_e32 v5, v3, v2
	ds_bpermute_b32 v5, v60, v5
	s_waitcnt lgkmcnt(0)
	v_fmac_f32_e32 v5, v3, v2
	ds_bpermute_b32 v3, v61, v5
	s_waitcnt lgkmcnt(0)
	v_add_f32_e32 v3, v5, v3
	ds_write_b64 v4, v[2:3] offset:128
.LBB0_105:                              ;   in Loop: Header=BB0_12 Depth=1
	s_or_b64 exec, exec, s[8:9]
	v_add_u32_e32 v2, v79, v80
	ds_write2_b32 v2, v7, v18 offset1:1
	ds_write2_b32 v2, v45, v12 offset0:8 offset1:9
	ds_write2_b32 v2, v62, v13 offset0:16 offset1:17
	ds_write2_b32 v2, v63, v6 offset0:24 offset1:25
	s_waitcnt lgkmcnt(0)
	s_barrier
	s_and_saveexec_b64 s[74:75], s[10:11]
	s_cbranch_execz .LBB0_10
; %bb.106:                              ;   in Loop: Header=BB0_12 Depth=1
	v_add_u32_e32 v3, s56, v97
	v_or_b32_e32 v2, s2, v34
	v_cmp_gt_i32_e32 vcc, s36, v3
	v_cmp_gt_i32_e64 s[8:9], s3, v2
	s_and_b64 s[62:63], vcc, s[8:9]
	v_mov_b32_e32 v2, 0x47
	s_and_saveexec_b64 s[12:13], s[62:63]
	s_cbranch_execz .LBB0_108
; %bb.107:                              ;   in Loop: Header=BB0_12 Depth=1
	v_add_u32_e32 v12, v21, v83
	v_add_u32_e32 v18, 0, v83
	ds_read2st64_b32 v[4:5], v12 offset1:9
	ds_read2_b32 v[6:7], v18 offset0:32 offset1:33
	v_mad_u64_u32 v[2:3], s[62:63], v3, s37, v[34:35]
	v_add_u32_e32 v3, 0x80, v18
	s_waitcnt lgkmcnt(1)
	v_cvt_f32_f16_e32 v8, v4
	v_cvt_f32_f16_sdwa v9, v4 dst_sel:DWORD dst_unused:UNUSED_PAD src0_sel:WORD_1
	ds_read2st64_b32 v[10:11], v3 offset0:9 offset1:18
	ds_read2st64_b32 v[12:13], v12 offset0:18 offset1:27
	ds_read_b32 v4, v18 offset:7040
	v_cvt_f32_f16_e32 v58, v5
	v_cvt_f32_f16_sdwa v59, v5 dst_sel:DWORD dst_unused:UNUSED_PAD src0_sel:WORD_1
	s_waitcnt lgkmcnt(3)
	v_pk_fma_f32 v[8:9], v[6:7], v[8:9], 0 op_sel_hi:[0,1,0]
	s_waitcnt lgkmcnt(1)
	v_cvt_f32_f16_e32 v60, v12
	v_cvt_f32_f16_sdwa v61, v12 dst_sel:DWORD dst_unused:UNUSED_PAD src0_sel:WORD_1
	v_cvt_f32_f16_e32 v12, v13
	v_cvt_f32_f16_sdwa v13, v13 dst_sel:DWORD dst_unused:UNUSED_PAD src0_sel:WORD_1
	v_pk_fma_f32 v[8:9], v[10:11], v[58:59], v[8:9] op_sel_hi:[0,1,1]
	v_mov_b32_e32 v6, v11
	v_pk_fma_f32 v[8:9], v[6:7], v[60:61], v[8:9] op_sel_hi:[0,1,1]
	s_waitcnt lgkmcnt(0)
	v_pk_fma_f32 v[4:5], v[4:5], v[12:13], v[8:9] op_sel_hi:[0,1,1]
	v_div_scale_f32 v6, s[62:63], v7, v7, v5
	v_rcp_f32_e32 v8, v6
	v_lshl_or_b32 v2, v2, 5, v16
	v_ashrrev_i32_e32 v3, 31, v2
	v_lshl_add_u64 v[2:3], v[2:3], 3, s[72:73]
	v_fma_f32 v9, -v6, v8, 1.0
	v_fmac_f32_e32 v8, v9, v8
	v_div_scale_f32 v9, vcc, v5, v7, v5
	v_mul_f32_e32 v10, v9, v8
	v_fma_f32 v11, -v6, v10, v9
	v_fmac_f32_e32 v10, v11, v8
	v_fma_f32 v6, -v6, v10, v9
	v_div_scale_f32 v9, s[62:63], v7, v7, v4
	v_rcp_f32_e32 v11, v9
	v_div_fmas_f32 v6, v6, v8, v10
	v_div_fixup_f32 v5, v6, v7, v5
	v_fma_f32 v6, -v9, v11, 1.0
	v_fmac_f32_e32 v11, v6, v11
	v_div_scale_f32 v6, vcc, v4, v7, v4
	v_mul_f32_e32 v8, v6, v11
	v_fma_f32 v10, -v9, v8, v6
	v_fmac_f32_e32 v8, v10, v11
	v_fma_f32 v6, -v9, v8, v6
	v_div_fmas_f32 v6, v6, v11, v8
	v_div_fixup_f32 v4, v6, v7, v4
	global_store_dwordx2 v[2:3], v[4:5], off
	v_mov_b32_e32 v2, 0
.LBB0_108:                              ;   in Loop: Header=BB0_12 Depth=1
	s_or_b64 exec, exec, s[12:13]
	s_movk_i32 s12, 0x47
	v_cmp_gt_i32_e32 vcc, s12, v2
	s_mov_b64 s[12:13], -1
	s_and_saveexec_b64 s[76:77], vcc
; %bb.109:                              ;   in Loop: Header=BB0_12 Depth=1
	v_cmp_eq_u32_e32 vcc, 0, v2
	s_orn2_b64 s[12:13], vcc, exec
; %bb.110:                              ;   in Loop: Header=BB0_12 Depth=1
	s_or_b64 exec, exec, s[76:77]
	s_and_b64 exec, exec, s[12:13]
	s_cbranch_execz .LBB0_10
; %bb.111:                              ;   in Loop: Header=BB0_12 Depth=1
	v_add_u32_e32 v3, s56, v98
	v_or_b32_e32 v2, s2, v36
	v_cmp_gt_i32_e32 vcc, s36, v3
	v_cmp_gt_i32_e64 s[12:13], s3, v2
	s_and_b64 s[62:63], vcc, s[12:13]
	v_mov_b32_e32 v2, 0x47
	s_and_saveexec_b64 s[12:13], s[62:63]
	s_cbranch_execz .LBB0_113
; %bb.112:                              ;   in Loop: Header=BB0_12 Depth=1
	v_add_u32_e32 v12, v21, v84
	v_add_u32_e32 v18, 0, v84
	ds_read2st64_b32 v[4:5], v12 offset1:9
	ds_read2_b32 v[6:7], v18 offset0:32 offset1:33
	v_mad_u64_u32 v[2:3], s[62:63], v3, s37, v[36:37]
	v_add_u32_e32 v3, 0x80, v18
	s_waitcnt lgkmcnt(1)
	v_cvt_f32_f16_e32 v8, v4
	v_cvt_f32_f16_sdwa v9, v4 dst_sel:DWORD dst_unused:UNUSED_PAD src0_sel:WORD_1
	ds_read2st64_b32 v[10:11], v3 offset0:9 offset1:18
	ds_read2st64_b32 v[12:13], v12 offset0:18 offset1:27
	ds_read_b32 v4, v18 offset:7040
	v_cvt_f32_f16_e32 v58, v5
	v_cvt_f32_f16_sdwa v59, v5 dst_sel:DWORD dst_unused:UNUSED_PAD src0_sel:WORD_1
	s_waitcnt lgkmcnt(3)
	v_pk_fma_f32 v[8:9], v[6:7], v[8:9], 0 op_sel_hi:[0,1,0]
	s_waitcnt lgkmcnt(1)
	v_cvt_f32_f16_e32 v60, v12
	v_cvt_f32_f16_sdwa v61, v12 dst_sel:DWORD dst_unused:UNUSED_PAD src0_sel:WORD_1
	v_cvt_f32_f16_e32 v12, v13
	v_cvt_f32_f16_sdwa v13, v13 dst_sel:DWORD dst_unused:UNUSED_PAD src0_sel:WORD_1
	v_pk_fma_f32 v[8:9], v[10:11], v[58:59], v[8:9] op_sel_hi:[0,1,1]
	v_mov_b32_e32 v6, v11
	v_pk_fma_f32 v[8:9], v[6:7], v[60:61], v[8:9] op_sel_hi:[0,1,1]
	s_waitcnt lgkmcnt(0)
	v_pk_fma_f32 v[4:5], v[4:5], v[12:13], v[8:9] op_sel_hi:[0,1,1]
	v_div_scale_f32 v6, s[62:63], v7, v7, v5
	v_rcp_f32_e32 v8, v6
	v_lshl_or_b32 v2, v2, 5, v16
	v_ashrrev_i32_e32 v3, 31, v2
	v_lshl_add_u64 v[2:3], v[2:3], 3, s[72:73]
	v_fma_f32 v9, -v6, v8, 1.0
	v_fmac_f32_e32 v8, v9, v8
	v_div_scale_f32 v9, vcc, v5, v7, v5
	v_mul_f32_e32 v10, v9, v8
	v_fma_f32 v11, -v6, v10, v9
	v_fmac_f32_e32 v10, v11, v8
	v_fma_f32 v6, -v6, v10, v9
	v_div_scale_f32 v9, s[62:63], v7, v7, v4
	v_rcp_f32_e32 v11, v9
	v_div_fmas_f32 v6, v6, v8, v10
	v_div_fixup_f32 v5, v6, v7, v5
	v_fma_f32 v6, -v9, v11, 1.0
	v_fmac_f32_e32 v11, v6, v11
	v_div_scale_f32 v6, vcc, v4, v7, v4
	v_mul_f32_e32 v8, v6, v11
	v_fma_f32 v10, -v9, v8, v6
	v_fmac_f32_e32 v8, v10, v11
	v_fma_f32 v6, -v9, v8, v6
	v_div_fmas_f32 v6, v6, v11, v8
	v_div_fixup_f32 v4, v6, v7, v4
	global_store_dwordx2 v[2:3], v[4:5], off
	v_mov_b32_e32 v2, 0
.LBB0_113:                              ;   in Loop: Header=BB0_12 Depth=1
	s_or_b64 exec, exec, s[12:13]
	s_movk_i32 s12, 0x47
	v_cmp_gt_i32_e32 vcc, s12, v2
	s_mov_b64 s[12:13], -1
	s_and_saveexec_b64 s[76:77], vcc
; %bb.114:                              ;   in Loop: Header=BB0_12 Depth=1
	v_cmp_eq_u32_e32 vcc, 0, v2
	s_orn2_b64 s[12:13], vcc, exec
; %bb.115:                              ;   in Loop: Header=BB0_12 Depth=1
	s_or_b64 exec, exec, s[76:77]
	s_and_b64 exec, exec, s[12:13]
	s_cbranch_execz .LBB0_10
; %bb.116:                              ;   in Loop: Header=BB0_12 Depth=1
	v_add_u32_e32 v3, s56, v85
	v_cmp_gt_i32_e32 vcc, s36, v3
	s_and_b64 s[62:63], vcc, s[8:9]
	v_mov_b32_e32 v2, 0x47
	s_and_saveexec_b64 s[12:13], s[62:63]
	s_cbranch_execz .LBB0_118
; %bb.117:                              ;   in Loop: Header=BB0_12 Depth=1
	v_add_u32_e32 v12, v21, v86
	v_add_u32_e32 v18, 0, v86
	ds_read2st64_b32 v[4:5], v12 offset1:9
	ds_read2_b32 v[6:7], v18 offset0:32 offset1:33
	v_mad_u64_u32 v[2:3], s[62:63], v3, s37, v[34:35]
	v_add_u32_e32 v3, 0x80, v18
	s_waitcnt lgkmcnt(1)
	v_cvt_f32_f16_e32 v8, v4
	v_cvt_f32_f16_sdwa v9, v4 dst_sel:DWORD dst_unused:UNUSED_PAD src0_sel:WORD_1
	ds_read2st64_b32 v[10:11], v3 offset0:9 offset1:18
	ds_read2st64_b32 v[12:13], v12 offset0:18 offset1:27
	ds_read_b32 v4, v18 offset:7040
	v_cvt_f32_f16_e32 v58, v5
	v_cvt_f32_f16_sdwa v59, v5 dst_sel:DWORD dst_unused:UNUSED_PAD src0_sel:WORD_1
	s_waitcnt lgkmcnt(3)
	v_pk_fma_f32 v[8:9], v[6:7], v[8:9], 0 op_sel_hi:[0,1,0]
	s_waitcnt lgkmcnt(1)
	v_cvt_f32_f16_e32 v60, v12
	v_cvt_f32_f16_sdwa v61, v12 dst_sel:DWORD dst_unused:UNUSED_PAD src0_sel:WORD_1
	v_cvt_f32_f16_e32 v12, v13
	v_cvt_f32_f16_sdwa v13, v13 dst_sel:DWORD dst_unused:UNUSED_PAD src0_sel:WORD_1
	v_pk_fma_f32 v[8:9], v[10:11], v[58:59], v[8:9] op_sel_hi:[0,1,1]
	v_mov_b32_e32 v6, v11
	v_pk_fma_f32 v[8:9], v[6:7], v[60:61], v[8:9] op_sel_hi:[0,1,1]
	s_waitcnt lgkmcnt(0)
	v_pk_fma_f32 v[4:5], v[4:5], v[12:13], v[8:9] op_sel_hi:[0,1,1]
	v_div_scale_f32 v6, s[62:63], v7, v7, v5
	v_rcp_f32_e32 v8, v6
	v_lshl_or_b32 v2, v2, 5, v16
	v_ashrrev_i32_e32 v3, 31, v2
	v_lshl_add_u64 v[2:3], v[2:3], 3, s[72:73]
	v_fma_f32 v9, -v6, v8, 1.0
	v_fmac_f32_e32 v8, v9, v8
	v_div_scale_f32 v9, vcc, v5, v7, v5
	v_mul_f32_e32 v10, v9, v8
	v_fma_f32 v11, -v6, v10, v9
	v_fmac_f32_e32 v10, v11, v8
	v_fma_f32 v6, -v6, v10, v9
	v_div_scale_f32 v9, s[62:63], v7, v7, v4
	v_rcp_f32_e32 v11, v9
	v_div_fmas_f32 v6, v6, v8, v10
	v_div_fixup_f32 v5, v6, v7, v5
	v_fma_f32 v6, -v9, v11, 1.0
	v_fmac_f32_e32 v11, v6, v11
	v_div_scale_f32 v6, vcc, v4, v7, v4
	v_mul_f32_e32 v8, v6, v11
	v_fma_f32 v10, -v9, v8, v6
	v_fmac_f32_e32 v8, v10, v11
	v_fma_f32 v6, -v9, v8, v6
	v_div_fmas_f32 v6, v6, v11, v8
	v_div_fixup_f32 v4, v6, v7, v4
	global_store_dwordx2 v[2:3], v[4:5], off
	v_mov_b32_e32 v2, 0
.LBB0_118:                              ;   in Loop: Header=BB0_12 Depth=1
	s_or_b64 exec, exec, s[12:13]
	s_movk_i32 s12, 0x47
	v_cmp_gt_i32_e32 vcc, s12, v2
	s_mov_b64 s[12:13], -1
	s_and_saveexec_b64 s[76:77], vcc
; %bb.119:                              ;   in Loop: Header=BB0_12 Depth=1
	v_cmp_eq_u32_e32 vcc, 0, v2
	s_orn2_b64 s[12:13], vcc, exec
; %bb.120:                              ;   in Loop: Header=BB0_12 Depth=1
	s_or_b64 exec, exec, s[76:77]
	s_and_b64 exec, exec, s[12:13]
	s_cbranch_execz .LBB0_10
; %bb.121:                              ;   in Loop: Header=BB0_12 Depth=1
	v_add_u32_e32 v3, s56, v99
	v_or_b32_e32 v2, s2, v38
	v_cmp_gt_i32_e32 vcc, s36, v3
	v_cmp_gt_i32_e64 s[12:13], s3, v2
	s_and_b64 s[62:63], vcc, s[12:13]
	v_mov_b32_e32 v2, 0x47
	s_and_saveexec_b64 s[12:13], s[62:63]
	s_cbranch_execz .LBB0_123
; %bb.122:                              ;   in Loop: Header=BB0_12 Depth=1
	v_add_u32_e32 v12, v21, v87
	v_add_u32_e32 v18, 0, v87
	ds_read2st64_b32 v[4:5], v12 offset1:9
	ds_read2_b32 v[6:7], v18 offset0:32 offset1:33
	v_mad_u64_u32 v[2:3], s[62:63], v3, s37, v[38:39]
	v_add_u32_e32 v3, 0x80, v18
	s_waitcnt lgkmcnt(1)
	v_cvt_f32_f16_e32 v8, v4
	v_cvt_f32_f16_sdwa v9, v4 dst_sel:DWORD dst_unused:UNUSED_PAD src0_sel:WORD_1
	ds_read2st64_b32 v[10:11], v3 offset0:9 offset1:18
	ds_read2st64_b32 v[12:13], v12 offset0:18 offset1:27
	ds_read_b32 v4, v18 offset:7040
	v_cvt_f32_f16_e32 v58, v5
	v_cvt_f32_f16_sdwa v59, v5 dst_sel:DWORD dst_unused:UNUSED_PAD src0_sel:WORD_1
	s_waitcnt lgkmcnt(3)
	v_pk_fma_f32 v[8:9], v[6:7], v[8:9], 0 op_sel_hi:[0,1,0]
	s_waitcnt lgkmcnt(1)
	v_cvt_f32_f16_e32 v60, v12
	v_cvt_f32_f16_sdwa v61, v12 dst_sel:DWORD dst_unused:UNUSED_PAD src0_sel:WORD_1
	v_cvt_f32_f16_e32 v12, v13
	v_cvt_f32_f16_sdwa v13, v13 dst_sel:DWORD dst_unused:UNUSED_PAD src0_sel:WORD_1
	v_pk_fma_f32 v[8:9], v[10:11], v[58:59], v[8:9] op_sel_hi:[0,1,1]
	v_mov_b32_e32 v6, v11
	v_pk_fma_f32 v[8:9], v[6:7], v[60:61], v[8:9] op_sel_hi:[0,1,1]
	s_waitcnt lgkmcnt(0)
	v_pk_fma_f32 v[4:5], v[4:5], v[12:13], v[8:9] op_sel_hi:[0,1,1]
	v_div_scale_f32 v6, s[62:63], v7, v7, v5
	v_rcp_f32_e32 v8, v6
	v_lshl_or_b32 v2, v2, 5, v16
	v_ashrrev_i32_e32 v3, 31, v2
	v_lshl_add_u64 v[2:3], v[2:3], 3, s[72:73]
	v_fma_f32 v9, -v6, v8, 1.0
	v_fmac_f32_e32 v8, v9, v8
	v_div_scale_f32 v9, vcc, v5, v7, v5
	v_mul_f32_e32 v10, v9, v8
	v_fma_f32 v11, -v6, v10, v9
	v_fmac_f32_e32 v10, v11, v8
	v_fma_f32 v6, -v6, v10, v9
	v_div_scale_f32 v9, s[62:63], v7, v7, v4
	v_rcp_f32_e32 v11, v9
	v_div_fmas_f32 v6, v6, v8, v10
	v_div_fixup_f32 v5, v6, v7, v5
	v_fma_f32 v6, -v9, v11, 1.0
	v_fmac_f32_e32 v11, v6, v11
	v_div_scale_f32 v6, vcc, v4, v7, v4
	v_mul_f32_e32 v8, v6, v11
	v_fma_f32 v10, -v9, v8, v6
	v_fmac_f32_e32 v8, v10, v11
	v_fma_f32 v6, -v9, v8, v6
	v_div_fmas_f32 v6, v6, v11, v8
	v_div_fixup_f32 v4, v6, v7, v4
	global_store_dwordx2 v[2:3], v[4:5], off
	v_mov_b32_e32 v2, 0
.LBB0_123:                              ;   in Loop: Header=BB0_12 Depth=1
	s_or_b64 exec, exec, s[12:13]
	s_movk_i32 s12, 0x47
	v_cmp_gt_i32_e32 vcc, s12, v2
	s_mov_b64 s[12:13], -1
	s_and_saveexec_b64 s[76:77], vcc
; %bb.124:                              ;   in Loop: Header=BB0_12 Depth=1
	v_cmp_eq_u32_e32 vcc, 0, v2
	s_orn2_b64 s[12:13], vcc, exec
; %bb.125:                              ;   in Loop: Header=BB0_12 Depth=1
	s_or_b64 exec, exec, s[76:77]
	s_and_b64 exec, exec, s[12:13]
	s_cbranch_execz .LBB0_10
; %bb.126:                              ;   in Loop: Header=BB0_12 Depth=1
	v_add_u32_e32 v3, s56, v88
	v_cmp_gt_i32_e32 vcc, s36, v3
	s_and_b64 s[62:63], vcc, s[8:9]
	v_mov_b32_e32 v2, 0x47
	s_and_saveexec_b64 s[12:13], s[62:63]
	s_cbranch_execz .LBB0_128
; %bb.127:                              ;   in Loop: Header=BB0_12 Depth=1
	v_add_u32_e32 v12, v21, v89
	v_add_u32_e32 v18, 0, v89
	ds_read2st64_b32 v[4:5], v12 offset1:9
	ds_read2_b32 v[6:7], v18 offset0:32 offset1:33
	v_mad_u64_u32 v[2:3], s[62:63], v3, s37, v[34:35]
	v_add_u32_e32 v3, 0x80, v18
	s_waitcnt lgkmcnt(1)
	v_cvt_f32_f16_e32 v8, v4
	v_cvt_f32_f16_sdwa v9, v4 dst_sel:DWORD dst_unused:UNUSED_PAD src0_sel:WORD_1
	ds_read2st64_b32 v[10:11], v3 offset0:9 offset1:18
	ds_read2st64_b32 v[12:13], v12 offset0:18 offset1:27
	ds_read_b32 v4, v18 offset:7040
	v_cvt_f32_f16_e32 v58, v5
	v_cvt_f32_f16_sdwa v59, v5 dst_sel:DWORD dst_unused:UNUSED_PAD src0_sel:WORD_1
	s_waitcnt lgkmcnt(3)
	v_pk_fma_f32 v[8:9], v[6:7], v[8:9], 0 op_sel_hi:[0,1,0]
	s_waitcnt lgkmcnt(1)
	v_cvt_f32_f16_e32 v60, v12
	v_cvt_f32_f16_sdwa v61, v12 dst_sel:DWORD dst_unused:UNUSED_PAD src0_sel:WORD_1
	v_cvt_f32_f16_e32 v12, v13
	v_cvt_f32_f16_sdwa v13, v13 dst_sel:DWORD dst_unused:UNUSED_PAD src0_sel:WORD_1
	v_pk_fma_f32 v[8:9], v[10:11], v[58:59], v[8:9] op_sel_hi:[0,1,1]
	v_mov_b32_e32 v6, v11
	v_pk_fma_f32 v[8:9], v[6:7], v[60:61], v[8:9] op_sel_hi:[0,1,1]
	s_waitcnt lgkmcnt(0)
	v_pk_fma_f32 v[4:5], v[4:5], v[12:13], v[8:9] op_sel_hi:[0,1,1]
	v_div_scale_f32 v6, s[62:63], v7, v7, v5
	v_rcp_f32_e32 v8, v6
	v_lshl_or_b32 v2, v2, 5, v16
	v_ashrrev_i32_e32 v3, 31, v2
	v_lshl_add_u64 v[2:3], v[2:3], 3, s[72:73]
	v_fma_f32 v9, -v6, v8, 1.0
	v_fmac_f32_e32 v8, v9, v8
	v_div_scale_f32 v9, vcc, v5, v7, v5
	v_mul_f32_e32 v10, v9, v8
	v_fma_f32 v11, -v6, v10, v9
	v_fmac_f32_e32 v10, v11, v8
	v_fma_f32 v6, -v6, v10, v9
	v_div_scale_f32 v9, s[62:63], v7, v7, v4
	v_rcp_f32_e32 v11, v9
	v_div_fmas_f32 v6, v6, v8, v10
	v_div_fixup_f32 v5, v6, v7, v5
	v_fma_f32 v6, -v9, v11, 1.0
	v_fmac_f32_e32 v11, v6, v11
	v_div_scale_f32 v6, vcc, v4, v7, v4
	v_mul_f32_e32 v8, v6, v11
	v_fma_f32 v10, -v9, v8, v6
	v_fmac_f32_e32 v8, v10, v11
	v_fma_f32 v6, -v9, v8, v6
	v_div_fmas_f32 v6, v6, v11, v8
	v_div_fixup_f32 v4, v6, v7, v4
	global_store_dwordx2 v[2:3], v[4:5], off
	v_mov_b32_e32 v2, 0
.LBB0_128:                              ;   in Loop: Header=BB0_12 Depth=1
	s_or_b64 exec, exec, s[12:13]
	s_movk_i32 s12, 0x47
	v_cmp_gt_i32_e32 vcc, s12, v2
	s_mov_b64 s[12:13], -1
	s_and_saveexec_b64 s[76:77], vcc
; %bb.129:                              ;   in Loop: Header=BB0_12 Depth=1
	v_cmp_eq_u32_e32 vcc, 0, v2
	s_orn2_b64 s[12:13], vcc, exec
; %bb.130:                              ;   in Loop: Header=BB0_12 Depth=1
	s_or_b64 exec, exec, s[76:77]
	s_and_b64 exec, exec, s[12:13]
	s_cbranch_execz .LBB0_10
; %bb.131:                              ;   in Loop: Header=BB0_12 Depth=1
	v_add_u32_e32 v3, s56, v100
	v_or_b32_e32 v2, s2, v40
	v_cmp_gt_i32_e32 vcc, s36, v3
	v_cmp_gt_i32_e64 s[12:13], s3, v2
	s_and_b64 s[62:63], vcc, s[12:13]
	v_mov_b32_e32 v2, 0x47
	s_and_saveexec_b64 s[12:13], s[62:63]
	s_cbranch_execz .LBB0_133
; %bb.132:                              ;   in Loop: Header=BB0_12 Depth=1
	v_add_u32_e32 v12, v21, v90
	v_add_u32_e32 v18, 0, v90
	ds_read2st64_b32 v[4:5], v12 offset1:9
	ds_read2_b32 v[6:7], v18 offset0:32 offset1:33
	v_mad_u64_u32 v[2:3], s[62:63], v3, s37, v[40:41]
	v_add_u32_e32 v3, 0x80, v18
	s_waitcnt lgkmcnt(1)
	v_cvt_f32_f16_e32 v8, v4
	v_cvt_f32_f16_sdwa v9, v4 dst_sel:DWORD dst_unused:UNUSED_PAD src0_sel:WORD_1
	ds_read2st64_b32 v[10:11], v3 offset0:9 offset1:18
	ds_read2st64_b32 v[12:13], v12 offset0:18 offset1:27
	ds_read_b32 v4, v18 offset:7040
	v_cvt_f32_f16_e32 v58, v5
	v_cvt_f32_f16_sdwa v59, v5 dst_sel:DWORD dst_unused:UNUSED_PAD src0_sel:WORD_1
	s_waitcnt lgkmcnt(3)
	v_pk_fma_f32 v[8:9], v[6:7], v[8:9], 0 op_sel_hi:[0,1,0]
	s_waitcnt lgkmcnt(1)
	v_cvt_f32_f16_e32 v60, v12
	v_cvt_f32_f16_sdwa v61, v12 dst_sel:DWORD dst_unused:UNUSED_PAD src0_sel:WORD_1
	v_cvt_f32_f16_e32 v12, v13
	v_cvt_f32_f16_sdwa v13, v13 dst_sel:DWORD dst_unused:UNUSED_PAD src0_sel:WORD_1
	v_pk_fma_f32 v[8:9], v[10:11], v[58:59], v[8:9] op_sel_hi:[0,1,1]
	v_mov_b32_e32 v6, v11
	v_pk_fma_f32 v[8:9], v[6:7], v[60:61], v[8:9] op_sel_hi:[0,1,1]
	s_waitcnt lgkmcnt(0)
	v_pk_fma_f32 v[4:5], v[4:5], v[12:13], v[8:9] op_sel_hi:[0,1,1]
	v_div_scale_f32 v6, s[62:63], v7, v7, v5
	v_rcp_f32_e32 v8, v6
	v_lshl_or_b32 v2, v2, 5, v16
	v_ashrrev_i32_e32 v3, 31, v2
	v_lshl_add_u64 v[2:3], v[2:3], 3, s[72:73]
	v_fma_f32 v9, -v6, v8, 1.0
	v_fmac_f32_e32 v8, v9, v8
	v_div_scale_f32 v9, vcc, v5, v7, v5
	v_mul_f32_e32 v10, v9, v8
	v_fma_f32 v11, -v6, v10, v9
	v_fmac_f32_e32 v10, v11, v8
	v_fma_f32 v6, -v6, v10, v9
	v_div_scale_f32 v9, s[62:63], v7, v7, v4
	v_rcp_f32_e32 v11, v9
	v_div_fmas_f32 v6, v6, v8, v10
	v_div_fixup_f32 v5, v6, v7, v5
	v_fma_f32 v6, -v9, v11, 1.0
	v_fmac_f32_e32 v11, v6, v11
	v_div_scale_f32 v6, vcc, v4, v7, v4
	v_mul_f32_e32 v8, v6, v11
	v_fma_f32 v10, -v9, v8, v6
	v_fmac_f32_e32 v8, v10, v11
	v_fma_f32 v6, -v9, v8, v6
	v_div_fmas_f32 v6, v6, v11, v8
	v_div_fixup_f32 v4, v6, v7, v4
	global_store_dwordx2 v[2:3], v[4:5], off
	v_mov_b32_e32 v2, 0
.LBB0_133:                              ;   in Loop: Header=BB0_12 Depth=1
	s_or_b64 exec, exec, s[12:13]
	s_movk_i32 s12, 0x47
	v_cmp_gt_i32_e32 vcc, s12, v2
	s_mov_b64 s[12:13], -1
	s_and_saveexec_b64 s[76:77], vcc
; %bb.134:                              ;   in Loop: Header=BB0_12 Depth=1
	v_cmp_eq_u32_e32 vcc, 0, v2
	s_orn2_b64 s[12:13], vcc, exec
; %bb.135:                              ;   in Loop: Header=BB0_12 Depth=1
	s_or_b64 exec, exec, s[76:77]
	s_and_b64 exec, exec, s[12:13]
	s_cbranch_execz .LBB0_10
; %bb.136:                              ;   in Loop: Header=BB0_12 Depth=1
	v_add_u32_e32 v3, s56, v91
	v_cmp_gt_i32_e32 vcc, s36, v3
	s_and_b64 s[12:13], vcc, s[8:9]
	v_mov_b32_e32 v2, 0x47
	s_and_saveexec_b64 s[8:9], s[12:13]
	s_cbranch_execz .LBB0_138
; %bb.137:                              ;   in Loop: Header=BB0_12 Depth=1
	v_add_u32_e32 v12, v21, v92
	v_add_u32_e32 v18, 0, v92
	ds_read2st64_b32 v[4:5], v12 offset1:9
	ds_read2_b32 v[6:7], v18 offset0:32 offset1:33
	v_mad_u64_u32 v[2:3], s[12:13], v3, s37, v[34:35]
	v_add_u32_e32 v3, 0x80, v18
	s_waitcnt lgkmcnt(1)
	v_cvt_f32_f16_e32 v8, v4
	v_cvt_f32_f16_sdwa v9, v4 dst_sel:DWORD dst_unused:UNUSED_PAD src0_sel:WORD_1
	ds_read2st64_b32 v[10:11], v3 offset0:9 offset1:18
	ds_read2st64_b32 v[12:13], v12 offset0:18 offset1:27
	ds_read_b32 v4, v18 offset:7040
	v_cvt_f32_f16_e32 v58, v5
	v_cvt_f32_f16_sdwa v59, v5 dst_sel:DWORD dst_unused:UNUSED_PAD src0_sel:WORD_1
	s_waitcnt lgkmcnt(3)
	v_pk_fma_f32 v[8:9], v[6:7], v[8:9], 0 op_sel_hi:[0,1,0]
	s_waitcnt lgkmcnt(1)
	v_cvt_f32_f16_e32 v60, v12
	v_cvt_f32_f16_sdwa v61, v12 dst_sel:DWORD dst_unused:UNUSED_PAD src0_sel:WORD_1
	v_cvt_f32_f16_e32 v12, v13
	v_cvt_f32_f16_sdwa v13, v13 dst_sel:DWORD dst_unused:UNUSED_PAD src0_sel:WORD_1
	v_pk_fma_f32 v[8:9], v[10:11], v[58:59], v[8:9] op_sel_hi:[0,1,1]
	v_mov_b32_e32 v6, v11
	v_pk_fma_f32 v[8:9], v[6:7], v[60:61], v[8:9] op_sel_hi:[0,1,1]
	s_waitcnt lgkmcnt(0)
	v_pk_fma_f32 v[4:5], v[4:5], v[12:13], v[8:9] op_sel_hi:[0,1,1]
	v_div_scale_f32 v6, s[12:13], v7, v7, v5
	v_rcp_f32_e32 v8, v6
	v_lshl_or_b32 v2, v2, 5, v16
	v_ashrrev_i32_e32 v3, 31, v2
	v_lshl_add_u64 v[2:3], v[2:3], 3, s[72:73]
	v_fma_f32 v9, -v6, v8, 1.0
	v_fmac_f32_e32 v8, v9, v8
	v_div_scale_f32 v9, vcc, v5, v7, v5
	v_mul_f32_e32 v10, v9, v8
	v_fma_f32 v11, -v6, v10, v9
	v_fmac_f32_e32 v10, v11, v8
	v_fma_f32 v6, -v6, v10, v9
	v_div_scale_f32 v9, s[12:13], v7, v7, v4
	v_rcp_f32_e32 v11, v9
	v_div_fmas_f32 v6, v6, v8, v10
	v_div_fixup_f32 v5, v6, v7, v5
	v_fma_f32 v6, -v9, v11, 1.0
	v_fmac_f32_e32 v11, v6, v11
	v_div_scale_f32 v6, vcc, v4, v7, v4
	v_mul_f32_e32 v8, v6, v11
	v_fma_f32 v10, -v9, v8, v6
	v_fmac_f32_e32 v8, v10, v11
	v_fma_f32 v6, -v9, v8, v6
	v_div_fmas_f32 v6, v6, v11, v8
	v_div_fixup_f32 v4, v6, v7, v4
	global_store_dwordx2 v[2:3], v[4:5], off
	v_mov_b32_e32 v2, 0
.LBB0_138:                              ;   in Loop: Header=BB0_12 Depth=1
	s_or_b64 exec, exec, s[8:9]
	s_movk_i32 s8, 0x47
	v_cmp_gt_i32_e32 vcc, s8, v2
	s_mov_b64 s[8:9], -1
	s_and_saveexec_b64 s[12:13], vcc
; %bb.139:                              ;   in Loop: Header=BB0_12 Depth=1
	v_cmp_eq_u32_e32 vcc, 0, v2
	s_orn2_b64 s[8:9], vcc, exec
; %bb.140:                              ;   in Loop: Header=BB0_12 Depth=1
	s_or_b64 exec, exec, s[12:13]
	s_and_b64 exec, exec, s[8:9]
	s_cbranch_execz .LBB0_10
; %bb.141:                              ;   in Loop: Header=BB0_12 Depth=1
	v_add_u32_e32 v2, s56, v101
	v_or_b32_e32 v3, s2, v42
	v_cmp_gt_i32_e32 vcc, s36, v2
	v_cmp_gt_i32_e64 s[8:9], s3, v3
	s_and_b64 s[8:9], vcc, s[8:9]
	s_and_b64 exec, exec, s[8:9]
	s_cbranch_execz .LBB0_10
; %bb.142:                              ;   in Loop: Header=BB0_12 Depth=1
	v_add_u32_e32 v12, v21, v93
	v_add_u32_e32 v18, 0, v93
	ds_read2st64_b32 v[4:5], v12 offset1:9
	ds_read2_b32 v[6:7], v18 offset0:32 offset1:33
	v_mad_u64_u32 v[2:3], s[8:9], v2, s37, v[42:43]
	v_add_u32_e32 v3, 0x80, v18
	s_waitcnt lgkmcnt(1)
	v_cvt_f32_f16_e32 v8, v4
	v_cvt_f32_f16_sdwa v9, v4 dst_sel:DWORD dst_unused:UNUSED_PAD src0_sel:WORD_1
	ds_read2st64_b32 v[10:11], v3 offset0:9 offset1:18
	ds_read2st64_b32 v[12:13], v12 offset0:18 offset1:27
	ds_read_b32 v4, v18 offset:7040
	v_cvt_f32_f16_e32 v58, v5
	v_cvt_f32_f16_sdwa v59, v5 dst_sel:DWORD dst_unused:UNUSED_PAD src0_sel:WORD_1
	s_waitcnt lgkmcnt(3)
	v_pk_fma_f32 v[8:9], v[6:7], v[8:9], 0 op_sel_hi:[0,1,0]
	s_waitcnt lgkmcnt(1)
	v_cvt_f32_f16_e32 v60, v12
	v_cvt_f32_f16_sdwa v61, v12 dst_sel:DWORD dst_unused:UNUSED_PAD src0_sel:WORD_1
	v_cvt_f32_f16_e32 v12, v13
	v_cvt_f32_f16_sdwa v13, v13 dst_sel:DWORD dst_unused:UNUSED_PAD src0_sel:WORD_1
	v_pk_fma_f32 v[8:9], v[10:11], v[58:59], v[8:9] op_sel_hi:[0,1,1]
	v_mov_b32_e32 v6, v11
	v_pk_fma_f32 v[8:9], v[6:7], v[60:61], v[8:9] op_sel_hi:[0,1,1]
	s_waitcnt lgkmcnt(0)
	v_pk_fma_f32 v[4:5], v[4:5], v[12:13], v[8:9] op_sel_hi:[0,1,1]
	v_div_scale_f32 v6, s[8:9], v7, v7, v5
	v_rcp_f32_e32 v8, v6
	v_lshl_or_b32 v2, v2, 5, v16
	v_ashrrev_i32_e32 v3, 31, v2
	v_lshl_add_u64 v[2:3], v[2:3], 3, s[72:73]
	v_fma_f32 v9, -v6, v8, 1.0
	v_fmac_f32_e32 v8, v9, v8
	v_div_scale_f32 v9, vcc, v5, v7, v5
	v_mul_f32_e32 v10, v9, v8
	v_fma_f32 v11, -v6, v10, v9
	v_fmac_f32_e32 v10, v11, v8
	v_fma_f32 v6, -v6, v10, v9
	v_div_scale_f32 v9, s[8:9], v7, v7, v4
	v_rcp_f32_e32 v11, v9
	v_div_fmas_f32 v6, v6, v8, v10
	v_div_fixup_f32 v5, v6, v7, v5
	v_fma_f32 v6, -v9, v11, 1.0
	v_fmac_f32_e32 v11, v6, v11
	v_div_scale_f32 v6, vcc, v4, v7, v4
	v_mul_f32_e32 v8, v6, v11
	v_fma_f32 v10, -v9, v8, v6
	v_fmac_f32_e32 v8, v10, v11
	v_fma_f32 v6, -v9, v8, v6
	v_div_fmas_f32 v6, v6, v11, v8
	v_div_fixup_f32 v4, v6, v7, v4
	global_store_dwordx2 v[2:3], v[4:5], off
	s_branch .LBB0_10
.LBB0_143:
	v_readlane_b32 s33, v124, 9
	v_readlane_b32 s44, v124, 4
	;; [unrolled: 1-line block ×7, first 2 shown]
	s_andn2_b64 vcc, exec, s[8:9]
	s_cbranch_vccnz .LBB0_8
.LBB0_144:
	s_abs_i32 s0, s89
	v_cvt_f32_u32_e32 v2, s0
	s_sub_i32 s4, 0, s0
	s_abs_i32 s2, s54
	s_xor_b32 s1, s54, s89
	v_rcp_iflag_f32_e32 v2, v2
	s_ashr_i32 s1, s1, 31
	v_mov_b32_e32 v8, s65
	v_mul_f32_e32 v2, 0x4f7ffffe, v2
	v_cvt_u32_f32_e32 v2, v2
	s_nop 0
	v_readfirstlane_b32 s5, v2
	s_mul_i32 s4, s4, s5
	s_mul_hi_u32 s4, s5, s4
	s_add_i32 s5, s5, s4
	s_mul_hi_u32 s4, s2, s5
	s_mul_i32 s5, s4, s0
	s_sub_i32 s2, s2, s5
	s_add_i32 s6, s4, 1
	s_sub_i32 s5, s2, s0
	s_cmp_ge_u32 s2, s0
	s_cselect_b32 s4, s6, s4
	s_cselect_b32 s2, s5, s2
	s_add_i32 s5, s4, 1
	s_cmp_ge_u32 s2, s0
	s_cselect_b32 s0, s5, s4
	s_abs_i32 s4, s88
	v_cvt_f32_u32_e32 v2, s4
	s_xor_b32 s0, s0, s1
	s_sub_i32 s5, 0, s4
	s_sub_i32 s2, s0, s1
	v_rcp_iflag_f32_e32 v2, v2
	s_mul_i32 s0, s2, s89
	s_sub_i32 s0, s54, s0
	s_abs_i32 s6, s0
	v_mul_f32_e32 v2, 0x4f7ffffe, v2
	v_cvt_u32_f32_e32 v2, v2
	s_xor_b32 s1, s0, s88
	s_ashr_i32 s1, s1, 31
	v_readfirstlane_b32 s7, v2
	s_mul_i32 s5, s5, s7
	s_mul_hi_u32 s5, s7, s5
	s_add_i32 s7, s7, s5
	s_mul_hi_u32 s5, s6, s7
	s_mul_i32 s7, s5, s4
	s_sub_i32 s6, s6, s7
	s_add_i32 s8, s5, 1
	s_sub_i32 s7, s6, s4
	s_cmp_ge_u32 s6, s4
	s_cselect_b32 s5, s8, s5
	s_cselect_b32 s6, s7, s6
	s_add_i32 s7, s5, 1
	s_cmp_ge_u32 s6, s4
	s_cselect_b32 s4, s7, s5
	s_abs_i32 s5, s87
	v_cvt_f32_u32_e32 v2, s5
	s_xor_b32 s4, s4, s1
	s_sub_i32 s6, 0, s5
	s_sub_i32 s8, s4, s1
	v_rcp_iflag_f32_e32 v2, v2
	s_mul_i32 s1, s8, s88
	s_sub_i32 s1, s0, s1
	s_abs_i32 s4, s1
	v_mul_f32_e32 v2, 0x4f7ffffe, v2
	v_cvt_u32_f32_e32 v2, v2
	s_xor_b32 s0, s1, s87
	s_ashr_i32 s0, s0, 31
	v_readfirstlane_b32 s7, v2
	s_mul_i32 s6, s6, s7
	s_mul_hi_u32 s6, s7, s6
	s_add_i32 s7, s7, s6
	s_mul_hi_u32 s6, s4, s7
	s_mul_i32 s7, s6, s5
	s_sub_i32 s4, s4, s7
	s_add_i32 s9, s6, 1
	s_sub_i32 s7, s4, s5
	s_cmp_ge_u32 s4, s5
	s_cselect_b32 s6, s9, s6
	s_cselect_b32 s4, s7, s4
	s_add_i32 s7, s6, 1
	s_cmp_ge_u32 s4, s5
	s_cselect_b32 s4, s7, s6
	s_xor_b32 s4, s4, s0
	s_sub_i32 s0, s4, s0
	s_mul_i32 s4, s0, s87
	s_sub_i32 s1, s1, s4
	s_ashr_i32 s4, s1, 31
	v_readlane_b32 s5, v124, 3
	s_abs_i32 s1, s1
	s_xor_b32 s4, s4, s5
	s_mul_hi_u32 s5, s1, s52
	s_mul_i32 s6, s5, s91
	s_sub_i32 s1, s1, s6
	s_add_i32 s6, s5, 1
	s_sub_i32 s7, s1, s91
	s_cmp_ge_u32 s1, s91
	s_cselect_b32 s5, s6, s5
	s_cselect_b32 s1, s7, s1
	s_add_i32 s6, s5, 1
	s_cmp_ge_u32 s1, s91
	s_cselect_b32 s1, s6, s5
	s_abs_i32 s9, s56
	v_cvt_f32_u32_e32 v2, s9
	s_xor_b32 s1, s1, s4
	s_sub_i32 s5, 0, s9
	s_sub_i32 s1, s1, s4
	v_rcp_iflag_f32_e32 v2, v2
	s_cmp_eq_u64 s[26:27], 0
	v_mul_f32_e32 v2, 0x4f7ffffe, v2
	v_cvt_u32_f32_e32 v2, v2
	s_nop 0
	v_readfirstlane_b32 s11, v2
	s_mul_i32 s4, s5, s11
	s_cbranch_scc1 .LBB0_146
; %bb.145:
	v_readlane_b32 s5, v124, 0
	s_mul_i32 s5, s2, s5
	s_add_i32 s6, s1, s5
	s_ashr_i32 s7, s6, 31
	s_lshl_b64 s[6:7], s[6:7], 2
	s_add_u32 s6, s26, s6
	s_addc_u32 s7, s27, s7
	v_mov_b32_e32 v2, 0
	global_load_dword v2, v2, s[6:7]
	s_waitcnt vmcnt(0)
	v_ashrrev_i32_e32 v3, 31, v2
	v_lshrrev_b32_e32 v3, 26, v3
	v_add_u32_e32 v2, v2, v3
	v_ashrrev_i32_e32 v2, 6, v2
	v_min_i32_e32 v8, s65, v2
.LBB0_146:
	s_mul_hi_u32 s12, s11, s4
	s_mul_i32 s4, s8, s3
	s_lshl_b32 s0, s0, 2
	s_mul_i32 s5, s2, s47
	s_add_i32 s4, s0, s4
	s_ashr_i32 s6, s5, 31
	s_add_u32 s5, s16, s5
	s_mul_i32 s4, s4, s46
	s_addc_u32 s7, s17, s6
	s_ashr_i32 s10, s4, 31
	v_and_b32_e32 v2, 3, v43
	s_add_u32 s6, s5, s4
	v_or_b32_e32 v3, s0, v2
	s_addc_u32 s7, s7, s10
	s_lshl_b32 s10, s1, 2
	v_cmp_gt_i32_e32 vcc, s3, v3
	v_cmp_le_i32_e64 s[0:1], s3, v3
	v_mad_u64_u32 v[2:3], s[4:5], s53, v2, v[16:17]
	v_lshrrev_b32_e32 v3, 2, v43
	v_add_u32_e32 v3, s10, v3
	v_cmp_le_i32_e64 s[4:5], s36, v3
	s_mov_b32 s13, 0x10001
	v_lshl_add_u32 v22, v16, 2, 0
	s_or_b64 s[0:1], s[4:5], s[0:1]
	s_and_saveexec_b64 s[4:5], s[0:1]
	s_xor_b64 s[0:1], exec, s[4:5]
; %bb.147:
	s_movk_i32 s3, 0x90
	v_mad_u32_u24 v3, v43, s3, v22
	v_mov_b32_e32 v4, 0
	ds_write_b32 v3, v4
                                        ; implicit-def: $vgpr3
; %bb.148:
	s_or_saveexec_b64 s[0:1], s[0:1]
	s_abs_i32 s3, s2
	s_add_i32 s11, s11, s12
	v_mul_lo_u32 v1, v1, s13
	s_xor_b64 exec, exec, s[0:1]
	s_cbranch_execz .LBB0_150
; %bb.149:
	v_mad_u64_u32 v[4:5], s[4:5], v3, s55, v[2:3]
	v_ashrrev_i32_e32 v5, 31, v4
	v_lshl_add_u64 v[4:5], v[4:5], 3, s[6:7]
	global_load_dwordx2 v[4:5], v[4:5], off
	s_movk_i32 s4, 0x90
	s_waitcnt vmcnt(0)
	v_cvt_pk_f16_f32 v3, v4, v5
	v_pk_mul_f16 v3, v3, v1
	v_mad_u32_u24 v4, v43, s4, v22
	ds_write_b32 v4, v3
.LBB0_150:
	s_or_b64 exec, exec, s[0:1]
	v_add_u32_e32 v3, 8, v43
	v_lshrrev_b32_e32 v4, 2, v3
	v_add_u32_e32 v4, s10, v4
	v_cmp_le_i32_e64 s[0:1], s36, v4
	s_xor_b64 s[12:13], vcc, -1
	s_mul_hi_u32 s4, s3, s11
	s_or_b64 s[0:1], s[0:1], s[12:13]
	s_and_saveexec_b64 s[12:13], s[0:1]
	s_xor_b64 s[0:1], exec, s[12:13]
; %bb.151:
	s_movk_i32 s5, 0x90
	v_mad_u32_u24 v1, v3, s5, v22
	v_mov_b32_e32 v2, 0
	ds_write_b32 v1, v2
                                        ; implicit-def: $vgpr2_vgpr3
                                        ; implicit-def: $vgpr4
                                        ; implicit-def: $vgpr1
                                        ; implicit-def: $vgpr3
; %bb.152:
	s_or_saveexec_b64 s[0:1], s[0:1]
	s_ashr_i32 s13, s2, 31
	v_and_b32_e32 v23, 0x3ff, v0
	s_xor_b64 exec, exec, s[0:1]
	s_cbranch_execz .LBB0_154
; %bb.153:
	v_mad_u64_u32 v[4:5], s[16:17], v4, s55, v[2:3]
	v_ashrrev_i32_e32 v5, 31, v4
	v_lshl_add_u64 v[4:5], v[4:5], 3, s[6:7]
	global_load_dwordx2 v[4:5], v[4:5], off
	s_movk_i32 s5, 0x90
	s_waitcnt vmcnt(0)
	v_cvt_pk_f16_f32 v0, v4, v5
	v_pk_mul_f16 v0, v0, v1
	v_mad_u32_u24 v1, v3, s5, v22
	ds_write_b32 v1, v0
.LBB0_154:
	s_or_b64 exec, exec, s[0:1]
	s_mul_hi_u32 s0, s40, s2
	s_mul_i32 s1, s40, s13
	s_add_i32 s0, s0, s1
	s_mul_i32 s1, s41, s2
	v_readlane_b32 s6, v124, 1
	s_add_i32 s0, s0, s1
	s_mul_i32 s1, s40, s2
	v_readlane_b32 s7, v124, 2
	s_add_u32 s1, s18, s1
	s_mul_i32 s5, s8, s7
	s_addc_u32 s0, s19, s0
	s_ashr_i32 s6, s5, 31
	s_add_u32 s11, s1, s5
	s_mul_i32 s4, s4, s9
	s_addc_u32 s12, s0, s6
	s_sub_i32 s0, s3, s4
	s_sub_i32 s1, s0, s9
	s_cmp_ge_u32 s0, s9
	s_cselect_b32 s0, s1, s0
	s_sub_i32 s1, s0, s9
	s_cmp_ge_u32 s0, s9
	s_cselect_b32 s0, s1, s0
	s_xor_b32 s0, s0, s13
	s_sub_i32 s0, s0, s13
	s_ashr_i32 s1, s0, 31
	s_mul_i32 s1, s50, s1
	s_mul_hi_u32 s3, s50, s0
	s_add_i32 s1, s3, s1
	s_mul_i32 s3, s51, s0
	s_add_i32 s1, s1, s3
	s_mul_i32 s0, s50, s0
	v_lshrrev_b32_e32 v10, 3, v23
	s_add_u32 s4, s22, s0
	v_and_b32_e32 v9, 0xff0, v39
	s_movk_i32 s6, 0x90
	v_and_b32_e32 v24, 15, v23
	v_and_b32_e32 v1, 0x7e, v10
	s_addc_u32 s5, s23, s1
	s_mul_hi_u32 s0, s48, s2
	s_mul_i32 s1, s48, s13
	v_mad_u32_u24 v0, v9, s6, 0
	v_mul_u32_u24_e32 v32, 0x90, v24
	v_lshlrev_b32_e32 v25, 2, v1
	s_add_i32 s0, s0, s1
	s_mul_i32 s1, s49, s2
	v_add3_u32 v0, v0, v32, v25
	s_add_i32 s0, s0, s1
	s_mul_i32 s1, s48, s2
	s_waitcnt lgkmcnt(0)
	s_barrier
	ds_read2_b64 v[4:7], v0 offset1:4
	ds_read2_b64 v[0:3], v0 offset0:8 offset1:12
	s_add_u32 s1, s20, s1
	s_mul_i32 s8, s8, s43
	s_addc_u32 s0, s21, s0
	s_ashr_i32 s3, s8, 31
	v_add_u32_e32 v47, -1, v8
	s_add_u32 s2, s1, s8
	v_cmp_ge_i32_e32 vcc, s82, v47
	s_addc_u32 s3, s0, s3
	s_and_b64 vcc, exec, vcc
	v_cmp_gt_u32_e64 s[0:1], 4, v43
	v_lshl_add_u32 v34, v35, 3, v10
	v_lshrrev_b32_e32 v42, 2, v23
	v_and_or_b32 v44, v23, 12, v9
	v_lshlrev_b32_e32 v27, 1, v10
	v_lshlrev_b32_e32 v26, 1, v24
	s_waitcnt lgkmcnt(0)
	s_barrier
	s_cbranch_vccnz .LBB0_161
; %bb.155:
	v_and_b32_e32 v18, 48, v37
	v_and_b32_e32 v20, 0xfc, v42
	v_mad_u32_u24 v28, v18, s6, 0
	v_add_u16_e32 v18, v18, v20
	v_add_u32_e32 v8, s10, v43
	v_lshrrev_b32_e32 v19, 2, v44
	v_lshrrev_b16_e32 v18, 1, v18
	v_mul_hi_u32 v9, s34, v8
	v_mul_u32_u24_e32 v19, 0x90, v19
	v_lshlrev_b32_e32 v18, 2, v18
	v_add_u32_e32 v9, v8, v9
	v_add3_u32 v29, 0, v19, v18
	v_mbcnt_hi_u32_b32 v18, -1, v41
	v_lshrrev_b32_e32 v9, s35, v9
	v_and_b32_e32 v19, 64, v18
	v_mul_lo_u32 v9, v9, s36
	v_lshlrev_b32_e32 v12, 2, v23
	v_add_u32_e32 v19, 64, v19
	v_xor_b32_e32 v20, 32, v18
	v_sub_u32_e32 v9, v8, v9
	v_mul_u32_u24_e32 v10, 0x90, v43
	v_and_b32_e32 v8, 0x7c, v12
	v_cmp_lt_i32_e32 vcc, v20, v19
	v_add3_u32 v48, 0, v10, v8
	v_mad_i64_i32 v[10:11], s[8:9], v9, s62, 0
	v_cndmask_b32_e32 v20, v18, v20, vcc
	v_lshl_add_u64 v[10:11], v[10:11], 1, s[4:5]
	v_mov_b32_e32 v9, 0
	v_lshlrev_b32_e32 v52, 2, v20
	v_xor_b32_e32 v20, 16, v18
	v_lshl_add_u64 v[10:11], v[10:11], 0, v[8:9]
	v_and_b32_e32 v8, 28, v12
	v_cmp_lt_i32_e32 vcc, v20, v19
	v_mul_u32_u24_e32 v13, 0x90, v34
	v_lshlrev_b32_e32 v12, 2, v8
	v_cndmask_b32_e32 v18, v18, v20, vcc
	v_add3_u32 v49, 0, v13, v12
	v_mul_lo_u32 v12, s38, v34
	v_lshlrev_b32_e32 v53, 2, v18
	v_mul_lo_u32 v18, s14, v34
	v_and_b32_e32 v30, 0xfc, v27
	v_or_b32_e32 v31, 2, v27
	v_or_b32_e32 v33, 3, v27
	v_lshl_add_u32 v14, s38, 5, v12
	v_lshl_add_u32 v20, s14, 5, v18
	v_mul_u32_u24_e32 v30, 0x90, v30
	v_mul_u32_u24_e32 v31, 0x90, v31
	;; [unrolled: 1-line block ×3, first 2 shown]
	v_ashrrev_i32_e32 v13, 31, v12
	v_add_u32_e32 v50, 0x1200, v49
	v_ashrrev_i32_e32 v15, 31, v14
	v_add3_u32 v51, v28, v32, v25
	v_ashrrev_i32_e32 v19, 31, v18
	v_ashrrev_i32_e32 v21, 31, v20
	v_add3_u32 v54, v28, v30, v26
	v_add3_u32 v55, v28, v31, v26
	;; [unrolled: 1-line block ×3, first 2 shown]
	s_lshl_b32 s6, s82, 6
	v_mov_b32_e32 v46, 0xfeffffff
	v_lshlrev_b32_e32 v8, 2, v8
	v_add_u32_e32 v57, 0x2400, v29
	s_mov_b32 s13, 0x3fb8aa3b
	s_mov_b32 s15, 0xc2ce8ed0
	s_mov_b32 s16, 0x42b17218
	s_mov_b32 s17, 0xc1a00000
	s_mov_b32 s18, 0x5040100
	v_mov_b32_e32 v58, 0x7f800000
	v_mov_b32_e32 v59, v9
	v_mov_b32_e32 v40, v9
	v_mov_b32_e32 v38, v9
	v_mov_b32_e32 v36, v9
	v_mov_b32_e32 v33, v9
	v_mov_b32_e32 v31, v9
	v_mov_b32_e32 v30, v9
	v_mov_b32_e32 v29, v9
	v_mov_b32_e32 v28, v9
	s_ashr_i32 s7, s6, 31
	s_and_saveexec_b64 s[8:9], s[0:1]
	s_cbranch_execz .LBB0_157
.LBB0_156:
	v_lshl_add_u64 v[60:61], s[6:7], 1, v[10:11]
	global_load_dword v45, v[60:61], off
	s_waitcnt vmcnt(0)
	ds_write_b32 v48, v45 offset:9216
.LBB0_157:                              ; =>This Inner Loop Header: Depth=1
	s_or_b64 exec, exec, s[8:9]
	s_mul_hi_i32 s9, s6, s38
	s_mul_i32 s8, s6, s38
	s_lshl_b64 s[8:9], s[8:9], 2
	s_add_u32 s8, s11, s8
	s_addc_u32 s9, s12, s9
	v_lshl_add_u64 v[60:61], v[12:13], 2, s[8:9]
	v_lshl_add_u64 v[68:69], v[60:61], 0, v[8:9]
	;; [unrolled: 1-line block ×4, first 2 shown]
	global_load_dwordx4 v[60:63], v[68:69], off
	global_load_dwordx4 v[64:67], v[70:71], off
	s_mul_hi_i32 s9, s6, s14
	s_mul_i32 s8, s6, s14
	s_lshl_b64 s[8:9], s[8:9], 2
	s_add_u32 s8, s2, s8
	s_addc_u32 s9, s3, s9
	s_add_i32 s82, s82, 1
	s_add_i32 s6, s6, 64
	s_waitcnt vmcnt(1)
	ds_write_b128 v49, v[60:63]
	s_waitcnt vmcnt(0)
	ds_write_b128 v50, v[64:67]
	s_waitcnt lgkmcnt(0)
	s_barrier
	ds_read2_b64 v[60:63], v51 offset1:4
	ds_read2_b64 v[64:67], v51 offset0:8 offset1:12
	s_waitcnt lgkmcnt(1)
	v_mfma_f32_16x16x16_f16 v[68:71], v[60:61], v[4:5], 0
	s_waitcnt lgkmcnt(0)
	s_barrier
	v_mfma_f32_16x16x16_f16 v[60:63], v[62:63], v[6:7], v[68:71]
	ds_read2_b32 v[72:73], v57 offset1:1
	s_waitcnt lgkmcnt(0)
	v_cvt_f32_f16_e32 v45, v72
	v_mfma_f32_16x16x16_f16 v[60:63], v[64:65], v[0:1], v[60:63]
	v_cvt_f32_f16_sdwa v64, v72 dst_sel:DWORD dst_unused:UNUSED_PAD src0_sel:WORD_1
	v_cvt_f32_f16_e32 v65, v73
	v_cvt_f32_f16_sdwa v68, v73 dst_sel:DWORD dst_unused:UNUSED_PAD src0_sel:WORD_1
	v_mfma_f32_16x16x16_f16 v[60:63], v[66:67], v[2:3], v[60:63]
	s_nop 7
	v_add_f32_e32 v72, v60, v45
	v_add_f32_e32 v73, v61, v64
	;; [unrolled: 1-line block ×8, first 2 shown]
	v_max3_f32 v45, v46, v45, v60
	v_max3_f32 v45, v45, v61, v62
	ds_bpermute_b32 v64, v52, v45
	v_lshl_add_u64 v[60:61], v[18:19], 2, s[8:9]
	v_lshl_add_u64 v[62:63], v[20:21], 2, s[8:9]
	;; [unrolled: 1-line block ×4, first 2 shown]
	s_waitcnt lgkmcnt(0)
	v_max_f32_e32 v64, v64, v64
	v_max_f32_e32 v45, v45, v64
	global_load_dwordx4 v[60:63], v[68:69], off
	global_load_dwordx4 v[64:67], v[70:71], off
	ds_bpermute_b32 v76, v53, v45
	s_waitcnt vmcnt(1)
	ds_write_b128 v49, v[60:63]
	s_waitcnt vmcnt(0)
	ds_write_b128 v50, v[64:67]
	s_waitcnt lgkmcnt(2)
	v_max_f32_e32 v68, v76, v76
	v_max_f32_e32 v45, v45, v68
	v_sub_f32_e32 v68, v72, v45
	v_sub_f32_e32 v69, v73, v45
	v_mul_f32_e32 v72, 0x3fb8aa3b, v68
	v_sub_f32_e32 v70, v74, v45
	v_mul_f32_e32 v73, 0x3fb8aa3b, v69
	v_fma_f32 v77, v68, s13, -v72
	v_rndne_f32_e32 v78, v72
	v_sub_f32_e32 v71, v75, v45
	v_mul_f32_e32 v74, 0x3fb8aa3b, v70
	v_fma_f32 v79, v69, s13, -v73
	v_rndne_f32_e32 v80, v73
	v_fmac_f32_e32 v77, 0x32a5705f, v68
	v_sub_f32_e32 v72, v72, v78
	v_sub_f32_e32 v46, v46, v45
	v_mul_f32_e32 v75, 0x3fb8aa3b, v71
	v_fma_f32 v81, v70, s13, -v74
	v_rndne_f32_e32 v82, v74
	v_fmac_f32_e32 v79, 0x32a5705f, v69
	v_sub_f32_e32 v73, v73, v80
	v_add_f32_e32 v72, v72, v77
	v_mul_f32_e32 v76, 0x3fb8aa3b, v46
	v_fma_f32 v83, v71, s13, -v75
	v_rndne_f32_e32 v84, v75
	v_cvt_i32_f32_e32 v78, v78
	v_fmac_f32_e32 v81, 0x32a5705f, v70
	v_sub_f32_e32 v74, v74, v82
	v_add_f32_e32 v73, v73, v79
	v_exp_f32_e32 v72, v72
	v_fma_f32 v85, v46, s13, -v76
	v_rndne_f32_e32 v86, v76
	v_cvt_i32_f32_e32 v80, v80
	v_fmac_f32_e32 v83, 0x32a5705f, v71
	v_sub_f32_e32 v75, v75, v84
	v_add_f32_e32 v74, v74, v81
	v_exp_f32_e32 v73, v73
	v_cvt_i32_f32_e32 v82, v82
	v_fmac_f32_e32 v85, 0x32a5705f, v46
	v_sub_f32_e32 v76, v76, v86
	v_add_f32_e32 v75, v75, v83
	v_exp_f32_e32 v74, v74
	v_cvt_i32_f32_e32 v84, v84
	v_add_f32_e32 v76, v76, v85
	v_exp_f32_e32 v75, v75
	v_cvt_i32_f32_e32 v86, v86
	v_exp_f32_e32 v76, v76
	v_ldexp_f32 v72, v72, v78
	v_cmp_ngt_f32_e32 vcc, s15, v68
	v_ldexp_f32 v73, v73, v80
	v_ldexp_f32 v74, v74, v82
	v_cndmask_b32_e32 v72, 0, v72, vcc
	v_cmp_ngt_f32_e32 vcc, s15, v69
	v_ldexp_f32 v75, v75, v84
	v_ldexp_f32 v76, v76, v86
	v_cndmask_b32_e32 v73, 0, v73, vcc
	v_cmp_ngt_f32_e32 vcc, s15, v70
	s_waitcnt lgkmcnt(0)
	s_barrier
	v_cndmask_b32_e32 v74, 0, v74, vcc
	v_cmp_ngt_f32_e32 vcc, s15, v71
	s_nop 1
	v_cndmask_b32_e32 v75, 0, v75, vcc
	v_cmp_ngt_f32_e32 vcc, s15, v46
	s_nop 1
	v_cndmask_b32_e32 v76, 0, v76, vcc
	v_cmp_nlt_f32_e32 vcc, s16, v68
	s_nop 1
	v_cndmask_b32_e32 v78, v58, v72, vcc
	v_cmp_nlt_f32_e32 vcc, s16, v69
	;; [unrolled: 3-line block ×4, first 2 shown]
	s_nop 1
	v_cndmask_b32_e32 v68, v58, v76, vcc
	v_cmp_le_f32_e32 vcc, s17, v46
	v_cvt_pk_f16_f32 v76, v78, v79
	s_nop 0
	v_cndmask_b32_e32 v81, 0, v68, vcc
	v_cvt_f16_f32_e32 v46, v81
	v_cmp_nlt_f32_e32 vcc, s16, v71
	v_mul_u32_u24_e32 v46, 0x10001, v46
	v_pk_mul_f16 v40, v40, v46
	v_pk_mul_f16 v38, v38, v46
	;; [unrolled: 1-line block ×5, first 2 shown]
	v_cvt_f32_f16_e32 v68, v40
	v_cvt_f32_f16_sdwa v69, v40 dst_sel:DWORD dst_unused:UNUSED_PAD src0_sel:WORD_1
	v_cvt_f32_f16_e32 v70, v38
	v_cvt_f32_f16_sdwa v71, v38 dst_sel:DWORD dst_unused:UNUSED_PAD src0_sel:WORD_1
	;; [unrolled: 2-line block ×3, first 2 shown]
	ds_read_u16 v30, v54 offset:144
	ds_read_u16 v36, v54
	ds_read_u16 v38, v54 offset:32
	ds_read_u16 v40, v54 offset:176
	;; [unrolled: 1-line block ×6, first 2 shown]
	ds_read_u16 v31, v55
	ds_read_u16 v60, v55 offset:32
	ds_read_u16 v61, v56
	ds_read_u16 v62, v56 offset:32
	ds_read_u16 v88, v55 offset:64
	;; [unrolled: 1-line block ×5, first 2 shown]
	s_waitcnt lgkmcnt(5)
	v_perm_b32 v31, v61, v31, s18
	v_perm_b32 v30, v30, v36, s18
	v_pk_mul_f16 v33, v33, v46
	s_waitcnt lgkmcnt(4)
	v_perm_b32 v67, v62, v60, s18
	v_perm_b32 v66, v40, v38, s18
	v_cndmask_b32_e32 v82, v58, v75, vcc
	v_cvt_f32_f16_e32 v74, v33
	v_cvt_f32_f16_sdwa v75, v33 dst_sel:DWORD dst_unused:UNUSED_PAD src0_sel:WORD_1
	v_cvt_pk_f16_f32 v77, v80, v82
	v_cvt_f32_f16_e32 v64, v83
	v_pk_mul_f16 v29, v29, v46
	v_mfma_f32_16x16x16_f16 v[60:63], v[30:31], v[76:77], v[68:71]
	s_waitcnt lgkmcnt(2)
	v_perm_b32 v31, v89, v88, s18
	v_perm_b32 v30, v85, v65, s18
	v_cvt_f32_f16_sdwa v65, v83 dst_sel:DWORD dst_unused:UNUSED_PAD src0_sel:WORD_1
	v_mfma_f32_16x16x16_f16 v[68:71], v[66:67], v[76:77], v[72:75]
	v_cvt_f32_f16_e32 v66, v84
	v_cvt_f32_f16_sdwa v67, v84 dst_sel:DWORD dst_unused:UNUSED_PAD src0_sel:WORD_1
	v_pk_mul_f16 v36, v28, v46
	s_waitcnt lgkmcnt(0)
	v_perm_b32 v73, v90, v91, s18
	v_perm_b32 v72, v86, v87, s18
	v_mfma_f32_16x16x16_f16 v[64:67], v[30:31], v[76:77], v[64:67]
	v_cvt_f32_f16_e32 v28, v29
	v_cvt_f32_f16_sdwa v29, v29 dst_sel:DWORD dst_unused:UNUSED_PAD src0_sel:WORD_1
	v_cvt_f32_f16_e32 v30, v36
	v_cvt_f32_f16_sdwa v31, v36 dst_sel:DWORD dst_unused:UNUSED_PAD src0_sel:WORD_1
	v_add_f32_e32 v33, v78, v79
	v_add_f32_e32 v33, v80, v33
	v_mfma_f32_16x16x16_f16 v[72:75], v[72:73], v[76:77], v[28:31]
	v_add_f32_e32 v46, v82, v33
	v_cmp_lt_i32_e32 vcc, s82, v47
	v_fmac_f32_e32 v46, v59, v81
	v_cvt_pk_f16_f32 v40, v60, v61
	v_cvt_pk_f16_f32 v38, v62, v63
	;; [unrolled: 1-line block ×8, first 2 shown]
	s_barrier
	s_cbranch_vccz .LBB0_162
; %bb.158:                              ;   in Loop: Header=BB0_157 Depth=1
	v_mov_b32_e32 v59, v46
	v_mov_b32_e32 v46, v45
	s_ashr_i32 s7, s6, 31
	s_and_saveexec_b64 s[8:9], s[0:1]
	s_cbranch_execnz .LBB0_156
	s_branch .LBB0_157
.LBB0_159:
                                        ; implicit-def: $sgpr54_sgpr55
	s_load_dwordx2 s[46:47], s[0:1], 0x74
	v_cvt_f32_u32_e32 v1, s44
	s_branch .LBB0_2
.LBB0_160:
                                        ; implicit-def: $sgpr58_sgpr59
	s_load_dwordx2 s[34:35], s[0:1], 0x5c
	s_branch .LBB0_5
.LBB0_161:
	v_mov_b32_e32 v45, 0xfeffffff
	v_mov_b32_e32 v46, 0
	;; [unrolled: 1-line block ×10, first 2 shown]
.LBB0_162:
	s_lshl_b32 s0, s82, 6
	s_ashr_i32 s1, s0, 31
	v_cmp_gt_u32_e32 vcc, 4, v43
	s_and_saveexec_b64 s[6:7], vcc
	s_cbranch_execz .LBB0_164
; %bb.163:
	v_or_b32_e32 v8, s10, v43
	v_mul_hi_u32 v9, s34, v8
	v_add_u32_e32 v9, v8, v9
	v_lshrrev_b32_e32 v9, s35, v9
	s_lshl_b64 s[8:9], s[0:1], 1
	v_mul_lo_u32 v9, v9, s36
	s_add_u32 s4, s4, s8
	v_sub_u32_e32 v9, v8, v9
	s_addc_u32 s5, s5, s9
	v_lshlrev_b32_e32 v8, 2, v23
	v_mad_i64_i32 v[10:11], s[8:9], v9, s62, 0
	v_and_b32_e32 v8, 0x7c, v8
	v_lshl_add_u64 v[10:11], v[10:11], 1, s[4:5]
	v_mov_b32_e32 v9, 0
	v_lshl_add_u64 v[10:11], v[10:11], 0, v[8:9]
	global_load_dword v9, v[10:11], off
	v_mul_u32_u24_e32 v10, 0x90, v43
	v_add3_u32 v8, 0, v10, v8
	s_waitcnt vmcnt(0)
	ds_write_b32 v8, v9 offset:9216
.LBB0_164:
	s_or_b64 exec, exec, s[6:7]
	s_mul_hi_i32 s5, s0, s38
	s_mul_i32 s4, s0, s38
	s_lshl_b64 s[4:5], s[4:5], 2
	v_lshlrev_b32_e32 v8, 4, v23
	s_add_u32 s4, s11, s4
	v_and_b32_e32 v48, 0x70, v8
	v_mul_lo_u32 v8, s38, v34
	s_addc_u32 s5, s12, s5
	v_ashrrev_i32_e32 v9, 31, v8
	v_lshl_add_u64 v[10:11], v[8:9], 2, s[4:5]
	v_lshl_add_u32 v8, s38, 5, v8
	v_mov_b32_e32 v49, 0
	v_ashrrev_i32_e32 v9, 31, v8
	v_lshl_add_u64 v[18:19], v[10:11], 0, v[48:49]
	v_lshl_add_u64 v[8:9], v[8:9], 2, s[4:5]
	;; [unrolled: 1-line block ×3, first 2 shown]
	global_load_dwordx4 v[8:11], v[18:19], off
	global_load_dwordx4 v[12:15], v[20:21], off
	s_movk_i32 s6, 0x90
	v_and_b32_e32 v19, 48, v37
	v_mul_u32_u24_e32 v18, 0x90, v34
	v_and_b32_e32 v21, 0xfc, v42
	v_mul_lo_u32 v42, s14, v34
	v_mad_u32_u24 v34, v19, s6, 0
	v_add3_u32 v53, 0, v18, v48
	v_add3_u32 v18, v34, v32, v25
	v_mbcnt_hi_u32_b32 v41, -1, v41
	v_add_u16_e32 v19, v19, v21
	v_and_b32_e32 v21, 64, v41
	v_lshrrev_b32_e32 v20, 2, v44
	v_xor_b32_e32 v47, 32, v41
	v_lshrrev_b16_e32 v19, 1, v19
	v_add_u32_e32 v21, 64, v21
	s_movk_i32 s7, 0x2400
	v_mad_u32_u24 v20, v20, s6, 0
	v_xor_b32_e32 v52, 16, v41
	v_lshlrev_b32_e32 v19, 2, v19
	v_cmp_lt_i32_e32 vcc, v47, v21
	s_mul_hi_i32 s9, s0, s14
	s_mul_i32 s8, s0, s14
	v_cndmask_b32_e32 v32, v41, v47, vcc
	v_cmp_lt_i32_e32 vcc, v52, v21
	v_add3_u32 v47, v20, v19, s7
	s_lshl_b64 s[8:9], s[8:9], 2
	s_add_u32 s2, s2, s8
	v_ashrrev_i32_e32 v43, 31, v42
	v_lshl_add_u32 v50, s14, 5, v42
	s_addc_u32 s3, s3, s9
	v_ashrrev_i32_e32 v51, 31, v50
	v_cndmask_b32_e32 v41, v41, v52, vcc
	s_mov_b32 s5, 0x3fb8aa3b
	s_mov_b32 s1, 0xc2ce8ed0
	;; [unrolled: 1-line block ×3, first 2 shown]
	v_mov_b32_e32 v44, 0x7f800000
	s_mov_b32 s0, 0xc1a00000
	s_waitcnt vmcnt(1)
	ds_write_b128 v53, v[8:11]
	s_waitcnt vmcnt(0)
	ds_write_b128 v53, v[12:15] offset:4608
	s_waitcnt lgkmcnt(0)
	s_barrier
	ds_read2_b64 v[8:11], v18 offset1:4
	ds_read2_b64 v[12:15], v18 offset0:8 offset1:12
	s_waitcnt lgkmcnt(1)
	v_mfma_f32_16x16x16_f16 v[18:21], v[8:9], v[4:5], 0
	s_waitcnt lgkmcnt(0)
	s_barrier
	v_mfma_f32_16x16x16_f16 v[4:7], v[10:11], v[6:7], v[18:21]
	ds_read2_b32 v[8:9], v47 offset1:1
	s_waitcnt lgkmcnt(0)
	v_cvt_f32_f16_e32 v10, v8
	v_mfma_f32_16x16x16_f16 v[4:7], v[12:13], v[0:1], v[4:7]
	v_cvt_f32_f16_sdwa v8, v8 dst_sel:DWORD dst_unused:UNUSED_PAD src0_sel:WORD_1
	v_cvt_f32_f16_e32 v11, v9
	v_cvt_f32_f16_sdwa v9, v9 dst_sel:DWORD dst_unused:UNUSED_PAD src0_sel:WORD_1
	v_mfma_f32_16x16x16_f16 v[0:3], v[14:15], v[2:3], v[4:7]
	v_lshlrev_b32_e32 v21, 2, v32
	v_lshlrev_b32_e32 v19, 2, v41
	s_nop 5
	v_add_f32_e32 v12, v0, v10
	v_add_f32_e32 v13, v1, v8
	;; [unrolled: 1-line block ×8, first 2 shown]
	v_max3_f32 v0, v45, v0, v1
	v_max3_f32 v4, v0, v2, v3
	ds_bpermute_b32 v5, v21, v4
	v_lshl_add_u64 v[0:1], v[42:43], 2, s[2:3]
	v_lshl_add_u64 v[2:3], v[50:51], 2, s[2:3]
	;; [unrolled: 1-line block ×4, first 2 shown]
	s_waitcnt lgkmcnt(0)
	v_max_f32_e32 v5, v5, v5
	v_max_f32_e32 v18, v4, v5
	global_load_dwordx4 v[0:3], v[8:9], off
	global_load_dwordx4 v[4:7], v[10:11], off
	ds_bpermute_b32 v20, v19, v18
	s_waitcnt vmcnt(1)
	ds_write_b128 v53, v[0:3]
	s_waitcnt vmcnt(0)
	ds_write_b128 v53, v[4:7] offset:4608
	s_waitcnt lgkmcnt(2)
	v_max_f32_e32 v8, v20, v20
	v_max_f32_e32 v18, v18, v8
	v_sub_f32_e32 v8, v12, v18
	v_sub_f32_e32 v9, v13, v18
	v_mul_f32_e32 v12, 0x3fb8aa3b, v8
	v_sub_f32_e32 v10, v14, v18
	v_mul_f32_e32 v13, 0x3fb8aa3b, v9
	v_fma_f32 v20, v8, s5, -v12
	v_rndne_f32_e32 v32, v12
	v_mul_f32_e32 v14, 0x3fb8aa3b, v10
	v_fma_f32 v41, v9, s5, -v13
	v_rndne_f32_e32 v42, v13
	v_fmac_f32_e32 v20, 0x32a5705f, v8
	v_sub_f32_e32 v12, v12, v32
	v_fma_f32 v43, v10, s5, -v14
	v_rndne_f32_e32 v47, v14
	v_fmac_f32_e32 v41, 0x32a5705f, v9
	v_sub_f32_e32 v13, v13, v42
	v_add_f32_e32 v12, v12, v20
	v_cvt_i32_f32_e32 v32, v32
	v_fmac_f32_e32 v43, 0x32a5705f, v10
	v_sub_f32_e32 v14, v14, v47
	v_add_f32_e32 v13, v13, v41
	v_exp_f32_e32 v12, v12
	v_cvt_i32_f32_e32 v42, v42
	v_add_f32_e32 v14, v14, v43
	v_exp_f32_e32 v13, v13
	v_cvt_i32_f32_e32 v47, v47
	v_exp_f32_e32 v14, v14
	v_sub_f32_e32 v20, v45, v18
	v_ldexp_f32 v12, v12, v32
	v_cmp_ngt_f32_e32 vcc, s1, v8
	v_mul_f32_e32 v32, 0x3fb8aa3b, v20
	v_ldexp_f32 v13, v13, v42
	v_cndmask_b32_e32 v12, 0, v12, vcc
	v_cmp_ngt_f32_e32 vcc, s1, v9
	v_fma_f32 v41, v20, s5, -v32
	v_rndne_f32_e32 v42, v32
	v_ldexp_f32 v14, v14, v47
	v_cndmask_b32_e32 v13, 0, v13, vcc
	v_cmp_ngt_f32_e32 vcc, s1, v10
	v_fmac_f32_e32 v41, 0x32a5705f, v20
	v_sub_f32_e32 v32, v32, v42
	v_sub_f32_e32 v11, v15, v18
	v_cndmask_b32_e32 v14, 0, v14, vcc
	v_cmp_nlt_f32_e32 vcc, s4, v8
	v_add_f32_e32 v32, v32, v41
	v_mul_f32_e32 v15, 0x3fb8aa3b, v11
	v_cndmask_b32_e32 v8, v44, v12, vcc
	v_cmp_nlt_f32_e32 vcc, s4, v9
	v_exp_f32_e32 v32, v32
	v_cvt_i32_f32_e32 v41, v42
	v_fma_f32 v48, v11, s5, -v15
	v_cndmask_b32_e32 v9, v44, v13, vcc
	v_rndne_f32_e32 v13, v15
	v_fmac_f32_e32 v48, 0x32a5705f, v11
	v_sub_f32_e32 v15, v15, v13
	v_add_f32_e32 v15, v15, v48
	v_cmp_nlt_f32_e32 vcc, s4, v10
	v_exp_f32_e32 v15, v15
	v_cvt_i32_f32_e32 v13, v13
	v_cndmask_b32_e32 v10, v44, v14, vcc
	v_ldexp_f32 v14, v32, v41
	v_cmp_ngt_f32_e32 vcc, s1, v20
	v_ldexp_f32 v13, v15, v13
	s_waitcnt lgkmcnt(0)
	v_cndmask_b32_e32 v14, 0, v14, vcc
	v_cmp_nlt_f32_e32 vcc, s4, v20
	s_barrier
	s_nop 0
	v_cndmask_b32_e32 v14, v44, v14, vcc
	v_cmp_le_f32_e32 vcc, s0, v20
	s_mov_b32 s0, 0x5040100
	v_add_f32_e32 v12, v8, v9
	v_cndmask_b32_e32 v14, 0, v14, vcc
	v_cvt_f16_f32_e32 v15, v14
	v_cmp_ngt_f32_e32 vcc, s1, v11
	v_add_f32_e32 v12, v10, v12
	v_mul_u32_u24_e32 v15, 0x10001, v15
	v_pk_mul_f16 v20, v38, v15
	v_or_b32_e32 v38, 2, v27
	v_pk_mul_f16 v32, v36, v15
	v_and_b32_e32 v36, 0xfc, v27
	v_mul_u32_u24_e32 v38, 0x90, v38
	v_or_b32_e32 v27, 3, v27
	v_cndmask_b32_e32 v13, 0, v13, vcc
	v_cmp_nlt_f32_e32 vcc, s4, v11
	v_mul_u32_u24_e32 v36, 0x90, v36
	v_mul_u32_u24_e32 v27, 0x90, v27
	v_add3_u32 v1, v34, v38, v26
	v_cndmask_b32_e32 v11, v44, v13, vcc
	v_pk_mul_f16 v13, v40, v15
	v_add3_u32 v0, v34, v36, v26
	v_add3_u32 v2, v34, v27, v26
	ds_read_u16 v3, v1
	ds_read_u16 v6, v1 offset:32
	ds_read_u16 v4, v2
	ds_read_u16 v7, v2 offset:32
	ds_read_u16 v34, v1 offset:64
	;; [unrolled: 1-line block ×5, first 2 shown]
	s_waitcnt lgkmcnt(5)
	v_perm_b32 v5, v4, v3, s0
	ds_read_u16 v1, v0 offset:144
	ds_read_u16 v2, v0
	ds_read_u16 v41, v0 offset:32
	ds_read_u16 v42, v0 offset:176
	;; [unrolled: 1-line block ×6, first 2 shown]
	s_waitcnt lgkmcnt(6)
	v_perm_b32 v4, v1, v2, s0
	v_cvt_f32_f16_e32 v0, v13
	v_cvt_f32_f16_sdwa v1, v13 dst_sel:DWORD dst_unused:UNUSED_PAD src0_sel:WORD_1
	v_cvt_f32_f16_e32 v2, v20
	v_cvt_f32_f16_sdwa v3, v20 dst_sel:DWORD dst_unused:UNUSED_PAD src0_sel:WORD_1
	v_pk_mul_f16 v13, v33, v15
	v_cvt_pk_f16_f32 v27, v10, v11
	v_cvt_pk_f16_f32 v26, v8, v9
	v_perm_b32 v9, v7, v6, s0
	s_waitcnt lgkmcnt(4)
	v_perm_b32 v8, v42, v41, s0
	v_mfma_f32_16x16x16_f16 v[0:3], v[4:5], v[26:27], v[0:3]
	v_cvt_f32_f16_e32 v4, v32
	v_cvt_f32_f16_sdwa v5, v32 dst_sel:DWORD dst_unused:UNUSED_PAD src0_sel:WORD_1
	v_cvt_f32_f16_e32 v6, v13
	v_cvt_f32_f16_sdwa v7, v13 dst_sel:DWORD dst_unused:UNUSED_PAD src0_sel:WORD_1
	v_add_f32_e32 v20, v11, v12
	v_pk_mul_f16 v10, v31, v15
	v_pk_mul_f16 v11, v30, v15
	v_perm_b32 v13, v36, v34, s0
	s_waitcnt lgkmcnt(2)
	v_perm_b32 v12, v44, v43, s0
	v_mfma_f32_16x16x16_f16 v[4:7], v[8:9], v[26:27], v[4:7]
	v_cvt_f32_f16_e32 v8, v10
	v_cvt_f32_f16_sdwa v9, v10 dst_sel:DWORD dst_unused:UNUSED_PAD src0_sel:WORD_1
	v_cvt_f32_f16_e32 v10, v11
	v_cvt_f32_f16_sdwa v11, v11 dst_sel:DWORD dst_unused:UNUSED_PAD src0_sel:WORD_1
	v_fmac_f32_e32 v20, v46, v14
	ds_bpermute_b32 v30, v21, v20
	v_pk_mul_f16 v14, v29, v15
	v_pk_mul_f16 v15, v28, v15
	v_perm_b32 v29, v38, v40, s0
	s_waitcnt lgkmcnt(1)
	v_perm_b32 v28, v45, v47, s0
	v_mfma_f32_16x16x16_f16 v[8:11], v[12:13], v[26:27], v[8:11]
	v_cvt_f32_f16_e32 v12, v14
	v_cvt_f32_f16_sdwa v13, v14 dst_sel:DWORD dst_unused:UNUSED_PAD src0_sel:WORD_1
	v_cvt_f32_f16_e32 v14, v15
	v_cvt_f32_f16_sdwa v15, v15 dst_sel:DWORD dst_unused:UNUSED_PAD src0_sel:WORD_1
	s_waitcnt lgkmcnt(0)
	v_add_f32_e32 v20, v20, v30
	v_cmp_gt_u32_e64 s[0:1], 16, v23
	v_mfma_f32_16x16x16_f16 v[12:15], v[28:29], v[26:27], v[12:15]
	ds_bpermute_b32 v26, v19, v20
	s_waitcnt lgkmcnt(0)
	s_barrier
	s_and_saveexec_b64 s[4:5], s[0:1]
; %bb.165:
	v_add_f32_e32 v20, v20, v26
	v_or_b32_e32 v26, v37, v23
	v_mad_u32_u24 v26, v26, s6, 0
	ds_write2_b32 v26, v18, v20 offset0:32 offset1:33
; %bb.166:
	s_or_b64 exec, exec, s[4:5]
	v_and_b32_e32 v18, 3, v35
	v_cmp_eq_u32_e32 vcc, 0, v18
	v_cmp_ne_u32_e64 s[4:5], 0, v18
	s_waitcnt lgkmcnt(0)
	s_barrier
	s_and_saveexec_b64 s[2:3], s[4:5]
	s_xor_b64 s[4:5], exec, s[2:3]
	s_cbranch_execz .LBB0_168
; %bb.167:
	s_barrier
                                        ; implicit-def: $vgpr23
                                        ; implicit-def: $vgpr21
                                        ; implicit-def: $vgpr19
                                        ; implicit-def: $vgpr39
.LBB0_168:
	s_andn2_saveexec_b64 s[6:7], s[4:5]
	s_cbranch_execz .LBB0_172
; %bb.169:
	v_add_u32_e32 v18, v37, v23
	s_movk_i32 s2, 0x90
	v_mad_u32_u24 v28, v18, s2, 0
	ds_read_b64 v[26:27], v28 offset:128
	s_mov_b32 s2, 0x3fb8aa3b
	s_mov_b32 s3, 0x42b17218
	s_mov_b32 s9, 0
	s_waitcnt lgkmcnt(0)
	ds_bpermute_b32 v18, v21, v26
	v_max_f32_e32 v20, v26, v26
	s_barrier
	s_waitcnt lgkmcnt(0)
	v_max_f32_e32 v18, v18, v18
	v_max_f32_e32 v18, v20, v18
	ds_bpermute_b32 v20, v19, v18
	s_waitcnt lgkmcnt(0)
	v_max_f32_e32 v20, v20, v20
	v_max_f32_e32 v18, v18, v20
	v_sub_f32_e32 v20, v26, v18
	v_mul_f32_e32 v26, 0x3fb8aa3b, v20
	v_fma_f32 v29, v20, s2, -v26
	v_rndne_f32_e32 v30, v26
	v_fmamk_f32 v29, v20, 0x32a5705f, v29
	v_sub_f32_e32 v26, v26, v30
	v_add_f32_e32 v26, v26, v29
	v_cvt_i32_f32_e32 v30, v30
	v_exp_f32_e32 v26, v26
	s_mov_b32 s2, 0xc2ce8ed0
	v_cmp_ngt_f32_e64 s[4:5], s2, v20
	v_mov_b32_e32 v29, 0x7f800000
	v_ldexp_f32 v26, v26, v30
	v_cndmask_b32_e64 v26, 0, v26, s[4:5]
	v_cmp_nlt_f32_e64 s[4:5], s3, v20
	s_nop 1
	v_cndmask_b32_e64 v20, v29, v26, s[4:5]
	v_mul_f32_e32 v26, v27, v20
	ds_bpermute_b32 v21, v21, v26
	s_waitcnt lgkmcnt(0)
	v_fmac_f32_e32 v21, v27, v20
	ds_bpermute_b32 v19, v19, v21
	s_waitcnt lgkmcnt(0)
	v_add_f32_e32 v21, v21, v19
	ds_write_b64 v28, v[20:21] offset:128
	s_and_saveexec_b64 s[4:5], s[0:1]
	s_cbranch_execz .LBB0_171
; %bb.170:
	s_add_i32 s0, s44, s33
	s_lshl_b32 s8, s0, 4
	s_lshl_b64 s[0:1], s[8:9], 3
	s_add_u32 s0, s30, s0
	v_or_b32_e32 v19, v39, v23
	s_addc_u32 s1, s31, s1
	v_lshlrev_b32_e32 v20, 3, v19
	v_mov_b32_e32 v19, v21
	global_store_dwordx2 v20, v[18:19], s[0:1]
.LBB0_171:
	s_or_b64 exec, exec, s[4:5]
.LBB0_172:
	s_or_b64 exec, exec, s[6:7]
	v_cvt_pk_f16_f32 v2, v2, v3
	v_cvt_pk_f16_f32 v3, v4, v5
	;; [unrolled: 1-line block ×3, first 2 shown]
	v_or_b32_e32 v8, v37, v24
	v_mul_u32_u24_e32 v8, 0x90, v8
	v_cvt_pk_f16_f32 v0, v0, v1
	s_mov_b32 s3, 0
	s_movk_i32 s4, 0x90
	v_add3_u32 v8, 0, v25, v8
	v_cvt_pk_f16_f32 v1, v6, v7
	v_cvt_pk_f16_f32 v4, v10, v11
	;; [unrolled: 1-line block ×4, first 2 shown]
	ds_write2_b32 v8, v0, v2 offset1:1
	ds_write2_b32 v8, v3, v1 offset0:8 offset1:9
	ds_write2_b32 v8, v5, v4 offset0:16 offset1:17
	;; [unrolled: 1-line block ×3, first 2 shown]
	s_waitcnt lgkmcnt(0)
	s_barrier
	s_and_saveexec_b64 s[0:1], vcc
	s_cbranch_execz .LBB0_174
; %bb.173:
	s_lshl_b32 s2, s33, 9
	s_lshl_b64 s[6:7], s[2:3], 3
	s_add_u32 s5, s30, s6
	v_lshrrev_b32_e32 v0, 1, v35
	s_addc_u32 s6, s31, s7
	s_lshl_b32 s2, s44, 5
	s_lshl_b64 s[2:3], s[2:3], 3
	v_add_u32_e32 v12, v0, v17
	s_add_u32 s2, s5, s2
	v_lshlrev_b32_e32 v0, 2, v12
	v_and_b32_e32 v1, 15, v12
	s_movk_i32 s5, 0xfc0
	v_and_or_b32 v2, v0, s5, v1
	v_mad_u32_u24 v8, v2, s4, v22
	ds_read2st64_b32 v[0:1], v8 offset1:9
	v_mad_u32_u24 v2, v2, s4, 0
	v_add_u32_e32 v4, 0x80, v2
	ds_read2st64_b32 v[2:3], v4 offset1:9
	ds_read2st64_b32 v[4:5], v4 offset0:18 offset1:27
	ds_read2st64_b32 v[8:9], v8 offset0:18 offset1:27
	s_waitcnt lgkmcnt(3)
	v_cvt_f32_f16_e32 v6, v0
	v_cvt_f32_f16_sdwa v7, v0 dst_sel:DWORD dst_unused:UNUSED_PAD src0_sel:WORD_1
	v_cvt_f32_f16_e32 v0, v1
	v_cvt_f32_f16_sdwa v1, v1 dst_sel:DWORD dst_unused:UNUSED_PAD src0_sel:WORD_1
	s_waitcnt lgkmcnt(0)
	v_cvt_f32_f16_e32 v10, v8
	v_cvt_f32_f16_sdwa v11, v8 dst_sel:DWORD dst_unused:UNUSED_PAD src0_sel:WORD_1
	v_cvt_f32_f16_e32 v8, v9
	v_cvt_f32_f16_sdwa v9, v9 dst_sel:DWORD dst_unused:UNUSED_PAD src0_sel:WORD_1
	v_pk_fma_f32 v[6:7], v[2:3], v[6:7], 0 op_sel_hi:[0,1,0]
	v_mov_b32_e32 v2, v3
	v_pk_fma_f32 v[0:1], v[2:3], v[0:1], v[6:7] op_sel_hi:[0,1,1]
	v_pk_fma_f32 v[0:1], v[4:5], v[10:11], v[0:1] op_sel_hi:[0,1,1]
	v_mov_b32_e32 v2, v5
	v_add_u32_e32 v10, 2, v12
	v_pk_fma_f32 v[0:1], v[2:3], v[8:9], v[0:1] op_sel_hi:[0,1,1]
	v_lshlrev_b32_e32 v2, 2, v10
	v_and_b32_e32 v3, 15, v10
	s_movk_i32 s5, 0x1fc0
	v_lshlrev_b32_e32 v13, 3, v16
	v_and_or_b32 v4, v2, s5, v3
	s_addc_u32 s3, s6, s3
	v_lshl_or_b32 v14, v12, 8, v13
	v_mad_u32_u24 v8, v4, s4, v22
	ds_read2st64_b32 v[2:3], v8 offset1:9
	global_store_dwordx2 v14, v[0:1], s[2:3]
	v_mad_u32_u24 v0, v4, s4, 0
	v_add_u32_e32 v6, 0x80, v0
	ds_read2st64_b32 v[0:1], v6 offset1:9
	ds_read2st64_b32 v[6:7], v6 offset0:18 offset1:27
	ds_read2st64_b32 v[8:9], v8 offset0:18 offset1:27
	s_waitcnt lgkmcnt(3)
	v_cvt_f32_f16_e32 v4, v2
	v_cvt_f32_f16_sdwa v5, v2 dst_sel:DWORD dst_unused:UNUSED_PAD src0_sel:WORD_1
	v_cvt_f32_f16_e32 v2, v3
	v_cvt_f32_f16_sdwa v3, v3 dst_sel:DWORD dst_unused:UNUSED_PAD src0_sel:WORD_1
	v_lshl_or_b32 v14, v10, 8, v13
	s_waitcnt lgkmcnt(0)
	v_cvt_f32_f16_e32 v10, v8
	v_cvt_f32_f16_sdwa v11, v8 dst_sel:DWORD dst_unused:UNUSED_PAD src0_sel:WORD_1
	v_cvt_f32_f16_e32 v8, v9
	v_cvt_f32_f16_sdwa v9, v9 dst_sel:DWORD dst_unused:UNUSED_PAD src0_sel:WORD_1
	v_pk_fma_f32 v[4:5], v[0:1], v[4:5], 0 op_sel_hi:[0,1,0]
	v_mov_b32_e32 v0, v1
	v_pk_fma_f32 v[0:1], v[0:1], v[2:3], v[4:5] op_sel_hi:[0,1,1]
	v_pk_fma_f32 v[0:1], v[6:7], v[10:11], v[0:1] op_sel_hi:[0,1,1]
	v_mov_b32_e32 v2, v7
	v_add_u32_e32 v10, 4, v12
	v_pk_fma_f32 v[0:1], v[2:3], v[8:9], v[0:1] op_sel_hi:[0,1,1]
	v_lshlrev_b32_e32 v2, 2, v10
	v_and_b32_e32 v3, 15, v10
	v_and_or_b32 v4, v2, s5, v3
	v_mad_u32_u24 v8, v4, s4, v22
	ds_read2st64_b32 v[2:3], v8 offset1:9
	global_store_dwordx2 v14, v[0:1], s[2:3]
	v_mad_u32_u24 v0, v4, s4, 0
	v_add_u32_e32 v6, 0x80, v0
	ds_read2st64_b32 v[0:1], v6 offset1:9
	ds_read2st64_b32 v[6:7], v6 offset0:18 offset1:27
	ds_read2st64_b32 v[8:9], v8 offset0:18 offset1:27
	s_waitcnt lgkmcnt(3)
	v_cvt_f32_f16_e32 v4, v2
	v_cvt_f32_f16_sdwa v5, v2 dst_sel:DWORD dst_unused:UNUSED_PAD src0_sel:WORD_1
	v_cvt_f32_f16_e32 v2, v3
	v_cvt_f32_f16_sdwa v3, v3 dst_sel:DWORD dst_unused:UNUSED_PAD src0_sel:WORD_1
	v_lshl_or_b32 v14, v10, 8, v13
	s_waitcnt lgkmcnt(0)
	v_cvt_f32_f16_e32 v10, v8
	v_cvt_f32_f16_sdwa v11, v8 dst_sel:DWORD dst_unused:UNUSED_PAD src0_sel:WORD_1
	v_cvt_f32_f16_e32 v8, v9
	v_cvt_f32_f16_sdwa v9, v9 dst_sel:DWORD dst_unused:UNUSED_PAD src0_sel:WORD_1
	v_pk_fma_f32 v[4:5], v[0:1], v[4:5], 0 op_sel_hi:[0,1,0]
	v_mov_b32_e32 v0, v1
	v_pk_fma_f32 v[0:1], v[0:1], v[2:3], v[4:5] op_sel_hi:[0,1,1]
	v_pk_fma_f32 v[0:1], v[6:7], v[10:11], v[0:1] op_sel_hi:[0,1,1]
	v_mov_b32_e32 v2, v7
	v_add_u32_e32 v10, 6, v12
	v_pk_fma_f32 v[0:1], v[2:3], v[8:9], v[0:1] op_sel_hi:[0,1,1]
	v_lshlrev_b32_e32 v2, 2, v10
	v_and_b32_e32 v3, 15, v10
	v_and_or_b32 v4, v2, s5, v3
	;; [unrolled: 29-line block ×6, first 2 shown]
	v_mad_u32_u24 v8, v4, s4, v22
	ds_read2st64_b32 v[2:3], v8 offset1:9
	global_store_dwordx2 v14, v[0:1], s[2:3]
	v_mad_u32_u24 v0, v4, s4, 0
	v_add_u32_e32 v6, 0x80, v0
	ds_read2st64_b32 v[0:1], v6 offset1:9
	ds_read2st64_b32 v[6:7], v6 offset0:18 offset1:27
	ds_read2st64_b32 v[8:9], v8 offset0:18 offset1:27
	s_waitcnt lgkmcnt(3)
	v_cvt_f32_f16_e32 v4, v2
	v_cvt_f32_f16_sdwa v5, v2 dst_sel:DWORD dst_unused:UNUSED_PAD src0_sel:WORD_1
	v_cvt_f32_f16_e32 v2, v3
	v_cvt_f32_f16_sdwa v3, v3 dst_sel:DWORD dst_unused:UNUSED_PAD src0_sel:WORD_1
	v_lshl_or_b32 v12, v10, 8, v13
	s_waitcnt lgkmcnt(0)
	v_cvt_f32_f16_e32 v10, v8
	v_cvt_f32_f16_sdwa v11, v8 dst_sel:DWORD dst_unused:UNUSED_PAD src0_sel:WORD_1
	v_cvt_f32_f16_e32 v8, v9
	v_cvt_f32_f16_sdwa v9, v9 dst_sel:DWORD dst_unused:UNUSED_PAD src0_sel:WORD_1
	v_pk_fma_f32 v[4:5], v[0:1], v[4:5], 0 op_sel_hi:[0,1,0]
	v_mov_b32_e32 v0, v1
	v_pk_fma_f32 v[0:1], v[0:1], v[2:3], v[4:5] op_sel_hi:[0,1,1]
	v_pk_fma_f32 v[0:1], v[6:7], v[10:11], v[0:1] op_sel_hi:[0,1,1]
	v_mov_b32_e32 v2, v7
	v_pk_fma_f32 v[0:1], v[2:3], v[8:9], v[0:1] op_sel_hi:[0,1,1]
	global_store_dwordx2 v12, v[0:1], s[2:3]
.LBB0_174:
	s_or_b64 exec, exec, s[0:1]
	s_barrier
	s_endpgm
	.section	.rodata,"a",@progbits
	.p2align	6, 0x0
	.amdhsa_kernel _ZL18flash_attn_ext_f16ILi64ELi64ELi4ELi4ELb0ELb0EEvPKcS1_S1_S1_S1_PKiPfP15HIP_vector_typeIfLj2EEffffjfiS5_IjLj3EEiiiiiiiiiiiliiliiiiil
		.amdhsa_group_segment_fixed_size 0
		.amdhsa_private_segment_fixed_size 0
		.amdhsa_kernarg_size 464
		.amdhsa_user_sgpr_count 2
		.amdhsa_user_sgpr_dispatch_ptr 0
		.amdhsa_user_sgpr_queue_ptr 0
		.amdhsa_user_sgpr_kernarg_segment_ptr 1
		.amdhsa_user_sgpr_dispatch_id 0
		.amdhsa_user_sgpr_kernarg_preload_length 0
		.amdhsa_user_sgpr_kernarg_preload_offset 0
		.amdhsa_user_sgpr_private_segment_size 0
		.amdhsa_uses_dynamic_stack 0
		.amdhsa_enable_private_segment 0
		.amdhsa_system_sgpr_workgroup_id_x 1
		.amdhsa_system_sgpr_workgroup_id_y 0
		.amdhsa_system_sgpr_workgroup_id_z 0
		.amdhsa_system_sgpr_workgroup_info 0
		.amdhsa_system_vgpr_workitem_id 1
		.amdhsa_next_free_vgpr 125
		.amdhsa_next_free_sgpr 100
		.amdhsa_accum_offset 128
		.amdhsa_reserve_vcc 1
		.amdhsa_float_round_mode_32 0
		.amdhsa_float_round_mode_16_64 0
		.amdhsa_float_denorm_mode_32 3
		.amdhsa_float_denorm_mode_16_64 3
		.amdhsa_dx10_clamp 1
		.amdhsa_ieee_mode 1
		.amdhsa_fp16_overflow 0
		.amdhsa_tg_split 0
		.amdhsa_exception_fp_ieee_invalid_op 0
		.amdhsa_exception_fp_denorm_src 0
		.amdhsa_exception_fp_ieee_div_zero 0
		.amdhsa_exception_fp_ieee_overflow 0
		.amdhsa_exception_fp_ieee_underflow 0
		.amdhsa_exception_fp_ieee_inexact 0
		.amdhsa_exception_int_div_zero 0
	.end_amdhsa_kernel
	.section	.text._ZL18flash_attn_ext_f16ILi64ELi64ELi4ELi4ELb0ELb0EEvPKcS1_S1_S1_S1_PKiPfP15HIP_vector_typeIfLj2EEffffjfiS5_IjLj3EEiiiiiiiiiiiliiliiiiil,"axG",@progbits,_ZL18flash_attn_ext_f16ILi64ELi64ELi4ELi4ELb0ELb0EEvPKcS1_S1_S1_S1_PKiPfP15HIP_vector_typeIfLj2EEffffjfiS5_IjLj3EEiiiiiiiiiiiliiliiiiil,comdat
.Lfunc_end0:
	.size	_ZL18flash_attn_ext_f16ILi64ELi64ELi4ELi4ELb0ELb0EEvPKcS1_S1_S1_S1_PKiPfP15HIP_vector_typeIfLj2EEffffjfiS5_IjLj3EEiiiiiiiiiiiliiliiiiil, .Lfunc_end0-_ZL18flash_attn_ext_f16ILi64ELi64ELi4ELi4ELb0ELb0EEvPKcS1_S1_S1_S1_PKiPfP15HIP_vector_typeIfLj2EEffffjfiS5_IjLj3EEiiiiiiiiiiiliiliiiiil
                                        ; -- End function
	.set _ZL18flash_attn_ext_f16ILi64ELi64ELi4ELi4ELb0ELb0EEvPKcS1_S1_S1_S1_PKiPfP15HIP_vector_typeIfLj2EEffffjfiS5_IjLj3EEiiiiiiiiiiiliiliiiiil.num_vgpr, 125
	.set _ZL18flash_attn_ext_f16ILi64ELi64ELi4ELi4ELb0ELb0EEvPKcS1_S1_S1_S1_PKiPfP15HIP_vector_typeIfLj2EEffffjfiS5_IjLj3EEiiiiiiiiiiiliiliiiiil.num_agpr, 0
	.set _ZL18flash_attn_ext_f16ILi64ELi64ELi4ELi4ELb0ELb0EEvPKcS1_S1_S1_S1_PKiPfP15HIP_vector_typeIfLj2EEffffjfiS5_IjLj3EEiiiiiiiiiiiliiliiiiil.numbered_sgpr, 100
	.set _ZL18flash_attn_ext_f16ILi64ELi64ELi4ELi4ELb0ELb0EEvPKcS1_S1_S1_S1_PKiPfP15HIP_vector_typeIfLj2EEffffjfiS5_IjLj3EEiiiiiiiiiiiliiliiiiil.num_named_barrier, 0
	.set _ZL18flash_attn_ext_f16ILi64ELi64ELi4ELi4ELb0ELb0EEvPKcS1_S1_S1_S1_PKiPfP15HIP_vector_typeIfLj2EEffffjfiS5_IjLj3EEiiiiiiiiiiiliiliiiiil.private_seg_size, 0
	.set _ZL18flash_attn_ext_f16ILi64ELi64ELi4ELi4ELb0ELb0EEvPKcS1_S1_S1_S1_PKiPfP15HIP_vector_typeIfLj2EEffffjfiS5_IjLj3EEiiiiiiiiiiiliiliiiiil.uses_vcc, 1
	.set _ZL18flash_attn_ext_f16ILi64ELi64ELi4ELi4ELb0ELb0EEvPKcS1_S1_S1_S1_PKiPfP15HIP_vector_typeIfLj2EEffffjfiS5_IjLj3EEiiiiiiiiiiiliiliiiiil.uses_flat_scratch, 0
	.set _ZL18flash_attn_ext_f16ILi64ELi64ELi4ELi4ELb0ELb0EEvPKcS1_S1_S1_S1_PKiPfP15HIP_vector_typeIfLj2EEffffjfiS5_IjLj3EEiiiiiiiiiiiliiliiiiil.has_dyn_sized_stack, 0
	.set _ZL18flash_attn_ext_f16ILi64ELi64ELi4ELi4ELb0ELb0EEvPKcS1_S1_S1_S1_PKiPfP15HIP_vector_typeIfLj2EEffffjfiS5_IjLj3EEiiiiiiiiiiiliiliiiiil.has_recursion, 0
	.set _ZL18flash_attn_ext_f16ILi64ELi64ELi4ELi4ELb0ELb0EEvPKcS1_S1_S1_S1_PKiPfP15HIP_vector_typeIfLj2EEffffjfiS5_IjLj3EEiiiiiiiiiiiliiliiiiil.has_indirect_call, 0
	.section	.AMDGPU.csdata,"",@progbits
; Kernel info:
; codeLenInByte = 24884
; TotalNumSgprs: 106
; NumVgprs: 125
; NumAgprs: 0
; TotalNumVgprs: 125
; ScratchSize: 0
; MemoryBound: 0
; FloatMode: 240
; IeeeMode: 1
; LDSByteSize: 0 bytes/workgroup (compile time only)
; SGPRBlocks: 13
; VGPRBlocks: 15
; NumSGPRsForWavesPerEU: 106
; NumVGPRsForWavesPerEU: 125
; AccumOffset: 128
; Occupancy: 4
; WaveLimiterHint : 0
; COMPUTE_PGM_RSRC2:SCRATCH_EN: 0
; COMPUTE_PGM_RSRC2:USER_SGPR: 2
; COMPUTE_PGM_RSRC2:TRAP_HANDLER: 0
; COMPUTE_PGM_RSRC2:TGID_X_EN: 1
; COMPUTE_PGM_RSRC2:TGID_Y_EN: 0
; COMPUTE_PGM_RSRC2:TGID_Z_EN: 0
; COMPUTE_PGM_RSRC2:TIDIG_COMP_CNT: 1
; COMPUTE_PGM_RSRC3_GFX90A:ACCUM_OFFSET: 31
; COMPUTE_PGM_RSRC3_GFX90A:TG_SPLIT: 0
	.text
	.p2align	2                               ; -- Begin function __ockl_printf_append_string_n
	.type	__ockl_printf_append_string_n,@function
__ockl_printf_append_string_n:          ; @__ockl_printf_append_string_n
; %bb.0:
	s_waitcnt vmcnt(0) expcnt(0) lgkmcnt(0)
	s_getpc_b64 s[0:1]
	s_add_u32 s0, s0, __FUNCTION__._ZL18flash_attn_ext_f16ILi64ELi64ELi4ELi4ELb1ELb0EEvPKcS1_S1_S1_S1_PKiPfP15HIP_vector_typeIfLj2EEffffjfiS5_IjLj3EEiiiiiiiiiiiliiliiiiil@rel32@lo+4
	s_addc_u32 s1, s1, __FUNCTION__._ZL18flash_attn_ext_f16ILi64ELi64ELi4ELi4ELb1ELb0EEvPKcS1_S1_S1_S1_PKiPfP15HIP_vector_typeIfLj2EEffffjfiS5_IjLj3EEiiiiiiiiiiiliiliiiiil@rel32@hi+12
	v_mov_b32_e32 v2, v0
	s_mov_b64 s[2:3], 0
	s_cmp_lg_u64 s[0:1], 0
	v_mbcnt_lo_u32_b32 v3, -1, 0
	s_cbranch_scc0 .LBB1_87
; %bb.1:
	s_load_dwordx2 s[4:5], s[8:9], 0x50
	v_and_b32_e32 v0, -3, v2
	s_getpc_b64 s[0:1]
	s_add_u32 s0, s0, __FUNCTION__._ZL18flash_attn_ext_f16ILi64ELi64ELi4ELi4ELb1ELb0EEvPKcS1_S1_S1_S1_PKiPfP15HIP_vector_typeIfLj2EEffffjfiS5_IjLj3EEiiiiiiiiiiiliiliiiiil@rel32@lo+4
	s_addc_u32 s1, s1, __FUNCTION__._ZL18flash_attn_ext_f16ILi64ELi64ELi4ELi4ELb1ELb0EEvPKcS1_S1_S1_S1_PKiPfP15HIP_vector_typeIfLj2EEffffjfiS5_IjLj3EEiiiiiiiiiiiliiliiiiil@rel32@hi+12
	v_and_b32_e32 v26, 2, v2
	s_mov_b32 s16, 0
	v_mov_b32_e32 v29, 0
	v_mbcnt_hi_u32_b32 v30, -1, v3
	v_mov_b64_e32 v[32:33], s[0:1]
	s_movk_i32 s17, 0x1e0
	v_mov_b32_e32 v50, 2
	v_mov_b32_e32 v51, 1
	v_mov_b64_e32 v[6:7], v[0:1]
	s_branch .LBB1_3
.LBB1_2:                                ;   in Loop: Header=BB1_3 Depth=1
	s_or_b64 exec, exec, s[10:11]
	v_sub_co_u32_e32 v4, vcc, v4, v34
	v_lshl_add_u64 v[32:33], v[32:33], 0, v[34:35]
	s_nop 0
	v_subb_co_u32_e32 v5, vcc, v5, v35, vcc
	v_cmp_eq_u64_e32 vcc, 0, v[4:5]
	s_or_b64 s[2:3], vcc, s[2:3]
	s_andn2_b64 exec, exec, s[2:3]
	s_cbranch_execz .LBB1_85
.LBB1_3:                                ; =>This Loop Header: Depth=1
                                        ;     Child Loop BB1_6 Depth 2
                                        ;     Child Loop BB1_14 Depth 2
	;; [unrolled: 1-line block ×11, first 2 shown]
	v_cmp_gt_u64_e32 vcc, 56, v[4:5]
	v_lshl_add_u64 v[12:13], v[32:33], 0, 8
	s_nop 0
	v_cndmask_b32_e32 v35, 0, v5, vcc
	v_cndmask_b32_e32 v34, 56, v4, vcc
	v_cmp_gt_u64_e32 vcc, 8, v[4:5]
	s_and_saveexec_b64 s[0:1], vcc
	s_xor_b64 s[0:1], exec, s[0:1]
	s_cbranch_execz .LBB1_9
; %bb.4:                                ;   in Loop: Header=BB1_3 Depth=1
	v_mov_b64_e32 v[8:9], 0
	v_cmp_ne_u64_e32 vcc, 0, v[4:5]
	s_and_saveexec_b64 s[6:7], vcc
	s_cbranch_execz .LBB1_8
; %bb.5:                                ;   in Loop: Header=BB1_3 Depth=1
	v_lshlrev_b64 v[10:11], 3, v[34:35]
	s_mov_b64 s[10:11], 0
	v_mov_b64_e32 v[8:9], 0
	v_mov_b64_e32 v[12:13], v[32:33]
	s_mov_b64 s[12:13], 0
.LBB1_6:                                ;   Parent Loop BB1_3 Depth=1
                                        ; =>  This Inner Loop Header: Depth=2
	global_load_ubyte v0, v[12:13], off
	v_mov_b32_e32 v15, s16
	v_lshl_add_u64 v[12:13], v[12:13], 0, 1
	s_waitcnt vmcnt(0)
	v_and_b32_e32 v14, 0xffff, v0
	v_lshlrev_b64 v[14:15], s12, v[14:15]
	s_add_u32 s12, s12, 8
	s_addc_u32 s13, s13, 0
	v_cmp_eq_u32_e32 vcc, s12, v10
	v_or_b32_e32 v9, v15, v9
	s_or_b64 s[10:11], vcc, s[10:11]
	v_or_b32_e32 v8, v14, v8
	s_andn2_b64 exec, exec, s[10:11]
	s_cbranch_execnz .LBB1_6
; %bb.7:                                ;   in Loop: Header=BB1_3 Depth=1
	s_or_b64 exec, exec, s[10:11]
.LBB1_8:                                ;   in Loop: Header=BB1_3 Depth=1
	s_or_b64 exec, exec, s[6:7]
	v_mov_b64_e32 v[12:13], v[32:33]
.LBB1_9:                                ;   in Loop: Header=BB1_3 Depth=1
	s_or_saveexec_b64 s[0:1], s[0:1]
	v_mov_b32_e32 v0, 0
	s_xor_b64 exec, exec, s[0:1]
	s_cbranch_execz .LBB1_11
; %bb.10:                               ;   in Loop: Header=BB1_3 Depth=1
	global_load_dwordx2 v[8:9], v[32:33], off
	v_add_u32_e32 v0, -8, v34
.LBB1_11:                               ;   in Loop: Header=BB1_3 Depth=1
	s_or_b64 exec, exec, s[0:1]
	v_cmp_gt_u32_e32 vcc, 8, v0
	v_lshl_add_u64 v[14:15], v[12:13], 0, 8
                                        ; implicit-def: $vgpr10_vgpr11
	s_and_saveexec_b64 s[0:1], vcc
	s_xor_b64 s[0:1], exec, s[0:1]
	s_cbranch_execz .LBB1_17
; %bb.12:                               ;   in Loop: Header=BB1_3 Depth=1
	v_cmp_ne_u32_e32 vcc, 0, v0
	v_mov_b64_e32 v[10:11], 0
	s_and_saveexec_b64 s[6:7], vcc
	s_cbranch_execz .LBB1_16
; %bb.13:                               ;   in Loop: Header=BB1_3 Depth=1
	s_mov_b64 s[10:11], 0
	v_mov_b64_e32 v[10:11], 0
	s_mov_b64 s[12:13], 0
	s_mov_b64 s[14:15], 0
.LBB1_14:                               ;   Parent Loop BB1_3 Depth=1
                                        ; =>  This Inner Loop Header: Depth=2
	v_lshl_add_u64 v[14:15], v[12:13], 0, s[14:15]
	global_load_ubyte v14, v[14:15], off
	s_add_u32 s14, s14, 1
	v_mov_b32_e32 v15, s16
	s_addc_u32 s15, s15, 0
	v_cmp_eq_u32_e32 vcc, s14, v0
	s_waitcnt vmcnt(0)
	v_and_b32_e32 v14, 0xffff, v14
	v_lshlrev_b64 v[14:15], s12, v[14:15]
	s_add_u32 s12, s12, 8
	s_addc_u32 s13, s13, 0
	v_or_b32_e32 v11, v15, v11
	s_or_b64 s[10:11], vcc, s[10:11]
	v_or_b32_e32 v10, v14, v10
	s_andn2_b64 exec, exec, s[10:11]
	s_cbranch_execnz .LBB1_14
; %bb.15:                               ;   in Loop: Header=BB1_3 Depth=1
	s_or_b64 exec, exec, s[10:11]
.LBB1_16:                               ;   in Loop: Header=BB1_3 Depth=1
	s_or_b64 exec, exec, s[6:7]
	v_mov_b64_e32 v[14:15], v[12:13]
                                        ; implicit-def: $vgpr0
.LBB1_17:                               ;   in Loop: Header=BB1_3 Depth=1
	s_or_saveexec_b64 s[0:1], s[0:1]
	v_mov_b32_e32 v18, 0
	s_xor_b64 exec, exec, s[0:1]
	s_cbranch_execz .LBB1_19
; %bb.18:                               ;   in Loop: Header=BB1_3 Depth=1
	global_load_dwordx2 v[10:11], v[12:13], off
	v_add_u32_e32 v18, -8, v0
.LBB1_19:                               ;   in Loop: Header=BB1_3 Depth=1
	s_or_b64 exec, exec, s[0:1]
	v_cmp_gt_u32_e32 vcc, 8, v18
	v_lshl_add_u64 v[16:17], v[14:15], 0, 8
	s_and_saveexec_b64 s[0:1], vcc
	s_xor_b64 s[0:1], exec, s[0:1]
	s_cbranch_execz .LBB1_25
; %bb.20:                               ;   in Loop: Header=BB1_3 Depth=1
	v_cmp_ne_u32_e32 vcc, 0, v18
	v_mov_b64_e32 v[12:13], 0
	s_and_saveexec_b64 s[6:7], vcc
	s_cbranch_execz .LBB1_24
; %bb.21:                               ;   in Loop: Header=BB1_3 Depth=1
	s_mov_b64 s[10:11], 0
	v_mov_b64_e32 v[12:13], 0
	s_mov_b64 s[12:13], 0
	s_mov_b64 s[14:15], 0
.LBB1_22:                               ;   Parent Loop BB1_3 Depth=1
                                        ; =>  This Inner Loop Header: Depth=2
	v_lshl_add_u64 v[16:17], v[14:15], 0, s[14:15]
	global_load_ubyte v0, v[16:17], off
	s_add_u32 s14, s14, 1
	v_mov_b32_e32 v17, s16
	s_addc_u32 s15, s15, 0
	v_cmp_eq_u32_e32 vcc, s14, v18
	s_waitcnt vmcnt(0)
	v_and_b32_e32 v16, 0xffff, v0
	v_lshlrev_b64 v[16:17], s12, v[16:17]
	s_add_u32 s12, s12, 8
	s_addc_u32 s13, s13, 0
	v_or_b32_e32 v13, v17, v13
	s_or_b64 s[10:11], vcc, s[10:11]
	v_or_b32_e32 v12, v16, v12
	s_andn2_b64 exec, exec, s[10:11]
	s_cbranch_execnz .LBB1_22
; %bb.23:                               ;   in Loop: Header=BB1_3 Depth=1
	s_or_b64 exec, exec, s[10:11]
.LBB1_24:                               ;   in Loop: Header=BB1_3 Depth=1
	s_or_b64 exec, exec, s[6:7]
	v_mov_b64_e32 v[16:17], v[14:15]
                                        ; implicit-def: $vgpr18
.LBB1_25:                               ;   in Loop: Header=BB1_3 Depth=1
	s_or_saveexec_b64 s[0:1], s[0:1]
	v_mov_b32_e32 v0, 0
	s_xor_b64 exec, exec, s[0:1]
	s_cbranch_execz .LBB1_27
; %bb.26:                               ;   in Loop: Header=BB1_3 Depth=1
	global_load_dwordx2 v[12:13], v[14:15], off
	v_add_u32_e32 v0, -8, v18
.LBB1_27:                               ;   in Loop: Header=BB1_3 Depth=1
	s_or_b64 exec, exec, s[0:1]
	v_cmp_gt_u32_e32 vcc, 8, v0
	v_lshl_add_u64 v[18:19], v[16:17], 0, 8
                                        ; implicit-def: $vgpr14_vgpr15
	s_and_saveexec_b64 s[0:1], vcc
	s_xor_b64 s[0:1], exec, s[0:1]
	s_cbranch_execz .LBB1_33
; %bb.28:                               ;   in Loop: Header=BB1_3 Depth=1
	v_cmp_ne_u32_e32 vcc, 0, v0
	v_mov_b64_e32 v[14:15], 0
	s_and_saveexec_b64 s[6:7], vcc
	s_cbranch_execz .LBB1_32
; %bb.29:                               ;   in Loop: Header=BB1_3 Depth=1
	s_mov_b64 s[10:11], 0
	v_mov_b64_e32 v[14:15], 0
	s_mov_b64 s[12:13], 0
	s_mov_b64 s[14:15], 0
.LBB1_30:                               ;   Parent Loop BB1_3 Depth=1
                                        ; =>  This Inner Loop Header: Depth=2
	v_lshl_add_u64 v[18:19], v[16:17], 0, s[14:15]
	global_load_ubyte v18, v[18:19], off
	s_add_u32 s14, s14, 1
	v_mov_b32_e32 v19, s16
	s_addc_u32 s15, s15, 0
	v_cmp_eq_u32_e32 vcc, s14, v0
	s_waitcnt vmcnt(0)
	v_and_b32_e32 v18, 0xffff, v18
	v_lshlrev_b64 v[18:19], s12, v[18:19]
	s_add_u32 s12, s12, 8
	s_addc_u32 s13, s13, 0
	v_or_b32_e32 v15, v19, v15
	s_or_b64 s[10:11], vcc, s[10:11]
	v_or_b32_e32 v14, v18, v14
	s_andn2_b64 exec, exec, s[10:11]
	s_cbranch_execnz .LBB1_30
; %bb.31:                               ;   in Loop: Header=BB1_3 Depth=1
	s_or_b64 exec, exec, s[10:11]
.LBB1_32:                               ;   in Loop: Header=BB1_3 Depth=1
	s_or_b64 exec, exec, s[6:7]
	v_mov_b64_e32 v[18:19], v[16:17]
                                        ; implicit-def: $vgpr0
.LBB1_33:                               ;   in Loop: Header=BB1_3 Depth=1
	s_or_saveexec_b64 s[0:1], s[0:1]
	v_mov_b32_e32 v22, 0
	s_xor_b64 exec, exec, s[0:1]
	s_cbranch_execz .LBB1_35
; %bb.34:                               ;   in Loop: Header=BB1_3 Depth=1
	global_load_dwordx2 v[14:15], v[16:17], off
	v_add_u32_e32 v22, -8, v0
.LBB1_35:                               ;   in Loop: Header=BB1_3 Depth=1
	s_or_b64 exec, exec, s[0:1]
	v_cmp_gt_u32_e32 vcc, 8, v22
	v_lshl_add_u64 v[20:21], v[18:19], 0, 8
	s_and_saveexec_b64 s[0:1], vcc
	s_xor_b64 s[0:1], exec, s[0:1]
	s_cbranch_execz .LBB1_41
; %bb.36:                               ;   in Loop: Header=BB1_3 Depth=1
	v_cmp_ne_u32_e32 vcc, 0, v22
	v_mov_b64_e32 v[16:17], 0
	s_and_saveexec_b64 s[6:7], vcc
	s_cbranch_execz .LBB1_40
; %bb.37:                               ;   in Loop: Header=BB1_3 Depth=1
	s_mov_b64 s[10:11], 0
	v_mov_b64_e32 v[16:17], 0
	s_mov_b64 s[12:13], 0
	s_mov_b64 s[14:15], 0
.LBB1_38:                               ;   Parent Loop BB1_3 Depth=1
                                        ; =>  This Inner Loop Header: Depth=2
	v_lshl_add_u64 v[20:21], v[18:19], 0, s[14:15]
	global_load_ubyte v0, v[20:21], off
	s_add_u32 s14, s14, 1
	v_mov_b32_e32 v21, s16
	s_addc_u32 s15, s15, 0
	v_cmp_eq_u32_e32 vcc, s14, v22
	s_waitcnt vmcnt(0)
	v_and_b32_e32 v20, 0xffff, v0
	v_lshlrev_b64 v[20:21], s12, v[20:21]
	s_add_u32 s12, s12, 8
	s_addc_u32 s13, s13, 0
	v_or_b32_e32 v17, v21, v17
	s_or_b64 s[10:11], vcc, s[10:11]
	v_or_b32_e32 v16, v20, v16
	s_andn2_b64 exec, exec, s[10:11]
	s_cbranch_execnz .LBB1_38
; %bb.39:                               ;   in Loop: Header=BB1_3 Depth=1
	s_or_b64 exec, exec, s[10:11]
.LBB1_40:                               ;   in Loop: Header=BB1_3 Depth=1
	s_or_b64 exec, exec, s[6:7]
	v_mov_b64_e32 v[20:21], v[18:19]
                                        ; implicit-def: $vgpr22
.LBB1_41:                               ;   in Loop: Header=BB1_3 Depth=1
	s_or_saveexec_b64 s[0:1], s[0:1]
	v_mov_b32_e32 v0, 0
	s_xor_b64 exec, exec, s[0:1]
	s_cbranch_execz .LBB1_43
; %bb.42:                               ;   in Loop: Header=BB1_3 Depth=1
	global_load_dwordx2 v[16:17], v[18:19], off
	v_add_u32_e32 v0, -8, v22
.LBB1_43:                               ;   in Loop: Header=BB1_3 Depth=1
	s_or_b64 exec, exec, s[0:1]
	v_cmp_gt_u32_e32 vcc, 8, v0
	v_lshl_add_u64 v[22:23], v[20:21], 0, 8
                                        ; implicit-def: $vgpr18_vgpr19
	s_and_saveexec_b64 s[0:1], vcc
	s_xor_b64 s[0:1], exec, s[0:1]
	s_cbranch_execz .LBB1_49
; %bb.44:                               ;   in Loop: Header=BB1_3 Depth=1
	v_cmp_ne_u32_e32 vcc, 0, v0
	v_mov_b64_e32 v[18:19], 0
	s_and_saveexec_b64 s[6:7], vcc
	s_cbranch_execz .LBB1_48
; %bb.45:                               ;   in Loop: Header=BB1_3 Depth=1
	s_mov_b64 s[10:11], 0
	v_mov_b64_e32 v[18:19], 0
	s_mov_b64 s[12:13], 0
	s_mov_b64 s[14:15], 0
.LBB1_46:                               ;   Parent Loop BB1_3 Depth=1
                                        ; =>  This Inner Loop Header: Depth=2
	v_lshl_add_u64 v[22:23], v[20:21], 0, s[14:15]
	global_load_ubyte v22, v[22:23], off
	s_add_u32 s14, s14, 1
	v_mov_b32_e32 v23, s16
	s_addc_u32 s15, s15, 0
	v_cmp_eq_u32_e32 vcc, s14, v0
	s_waitcnt vmcnt(0)
	v_and_b32_e32 v22, 0xffff, v22
	v_lshlrev_b64 v[22:23], s12, v[22:23]
	s_add_u32 s12, s12, 8
	s_addc_u32 s13, s13, 0
	v_or_b32_e32 v19, v23, v19
	s_or_b64 s[10:11], vcc, s[10:11]
	v_or_b32_e32 v18, v22, v18
	s_andn2_b64 exec, exec, s[10:11]
	s_cbranch_execnz .LBB1_46
; %bb.47:                               ;   in Loop: Header=BB1_3 Depth=1
	s_or_b64 exec, exec, s[10:11]
.LBB1_48:                               ;   in Loop: Header=BB1_3 Depth=1
	s_or_b64 exec, exec, s[6:7]
	v_mov_b64_e32 v[22:23], v[20:21]
                                        ; implicit-def: $vgpr0
.LBB1_49:                               ;   in Loop: Header=BB1_3 Depth=1
	s_or_saveexec_b64 s[0:1], s[0:1]
	v_mov_b32_e32 v24, 0
	s_xor_b64 exec, exec, s[0:1]
	s_cbranch_execz .LBB1_51
; %bb.50:                               ;   in Loop: Header=BB1_3 Depth=1
	global_load_dwordx2 v[18:19], v[20:21], off
	v_add_u32_e32 v24, -8, v0
.LBB1_51:                               ;   in Loop: Header=BB1_3 Depth=1
	s_or_b64 exec, exec, s[0:1]
	v_cmp_gt_u32_e32 vcc, 8, v24
	s_and_saveexec_b64 s[0:1], vcc
	s_xor_b64 s[0:1], exec, s[0:1]
	s_cbranch_execz .LBB1_57
; %bb.52:                               ;   in Loop: Header=BB1_3 Depth=1
	v_cmp_ne_u32_e32 vcc, 0, v24
	v_mov_b64_e32 v[20:21], 0
	s_and_saveexec_b64 s[6:7], vcc
	s_cbranch_execz .LBB1_56
; %bb.53:                               ;   in Loop: Header=BB1_3 Depth=1
	s_mov_b64 s[10:11], 0
	v_mov_b64_e32 v[20:21], 0
	s_mov_b64 s[12:13], 0
.LBB1_54:                               ;   Parent Loop BB1_3 Depth=1
                                        ; =>  This Inner Loop Header: Depth=2
	global_load_ubyte v0, v[22:23], off
	v_mov_b32_e32 v37, s16
	v_add_u32_e32 v24, -1, v24
	v_cmp_eq_u32_e32 vcc, 0, v24
	v_lshl_add_u64 v[22:23], v[22:23], 0, 1
	s_waitcnt vmcnt(0)
	v_and_b32_e32 v36, 0xffff, v0
	v_lshlrev_b64 v[36:37], s12, v[36:37]
	s_add_u32 s12, s12, 8
	s_addc_u32 s13, s13, 0
	v_or_b32_e32 v21, v37, v21
	s_or_b64 s[10:11], vcc, s[10:11]
	v_or_b32_e32 v20, v36, v20
	s_andn2_b64 exec, exec, s[10:11]
	s_cbranch_execnz .LBB1_54
; %bb.55:                               ;   in Loop: Header=BB1_3 Depth=1
	s_or_b64 exec, exec, s[10:11]
.LBB1_56:                               ;   in Loop: Header=BB1_3 Depth=1
	s_or_b64 exec, exec, s[6:7]
                                        ; implicit-def: $vgpr22_vgpr23
.LBB1_57:                               ;   in Loop: Header=BB1_3 Depth=1
	s_andn2_saveexec_b64 s[0:1], s[0:1]
	s_cbranch_execz .LBB1_59
; %bb.58:                               ;   in Loop: Header=BB1_3 Depth=1
	global_load_dwordx2 v[20:21], v[22:23], off
.LBB1_59:                               ;   in Loop: Header=BB1_3 Depth=1
	s_or_b64 exec, exec, s[0:1]
	v_readfirstlane_b32 s0, v30
	v_mov_b64_e32 v[36:37], 0
	s_nop 0
	v_cmp_eq_u32_e64 s[0:1], s0, v30
	s_and_saveexec_b64 s[6:7], s[0:1]
	s_cbranch_execz .LBB1_65
; %bb.60:                               ;   in Loop: Header=BB1_3 Depth=1
	s_waitcnt lgkmcnt(0)
	global_load_dwordx2 v[24:25], v29, s[4:5] offset:24 sc0 sc1
	s_waitcnt vmcnt(0)
	buffer_inv sc0 sc1
	global_load_dwordx2 v[22:23], v29, s[4:5] offset:40
	global_load_dwordx2 v[36:37], v29, s[4:5]
	s_waitcnt vmcnt(1)
	v_and_b32_e32 v0, v22, v24
	v_and_b32_e32 v22, v23, v25
	v_mul_lo_u32 v22, v22, 24
	v_mul_hi_u32 v23, v0, 24
	v_add_u32_e32 v23, v23, v22
	v_mul_lo_u32 v22, v0, 24
	s_waitcnt vmcnt(0)
	v_lshl_add_u64 v[22:23], v[36:37], 0, v[22:23]
	global_load_dwordx2 v[22:23], v[22:23], off sc0 sc1
	s_waitcnt vmcnt(0)
	global_atomic_cmpswap_x2 v[36:37], v29, v[22:25], s[4:5] offset:24 sc0 sc1
	s_waitcnt vmcnt(0)
	buffer_inv sc0 sc1
	v_cmp_ne_u64_e32 vcc, v[36:37], v[24:25]
	s_and_saveexec_b64 s[10:11], vcc
	s_cbranch_execz .LBB1_64
; %bb.61:                               ;   in Loop: Header=BB1_3 Depth=1
	s_mov_b64 s[12:13], 0
.LBB1_62:                               ;   Parent Loop BB1_3 Depth=1
                                        ; =>  This Inner Loop Header: Depth=2
	s_sleep 1
	global_load_dwordx2 v[22:23], v29, s[4:5] offset:40
	global_load_dwordx2 v[38:39], v29, s[4:5]
	v_mov_b64_e32 v[24:25], v[36:37]
	s_waitcnt vmcnt(1)
	v_and_b32_e32 v0, v22, v24
	v_and_b32_e32 v27, v23, v25
	s_waitcnt vmcnt(0)
	v_mad_u64_u32 v[22:23], s[14:15], v0, 24, v[38:39]
	v_mov_b32_e32 v0, v23
	v_mad_u64_u32 v[36:37], s[14:15], v27, 24, v[0:1]
	v_mov_b32_e32 v23, v36
	global_load_dwordx2 v[22:23], v[22:23], off sc0 sc1
	s_waitcnt vmcnt(0)
	global_atomic_cmpswap_x2 v[36:37], v29, v[22:25], s[4:5] offset:24 sc0 sc1
	s_waitcnt vmcnt(0)
	buffer_inv sc0 sc1
	v_cmp_eq_u64_e32 vcc, v[36:37], v[24:25]
	s_or_b64 s[12:13], vcc, s[12:13]
	s_andn2_b64 exec, exec, s[12:13]
	s_cbranch_execnz .LBB1_62
; %bb.63:                               ;   in Loop: Header=BB1_3 Depth=1
	s_or_b64 exec, exec, s[12:13]
.LBB1_64:                               ;   in Loop: Header=BB1_3 Depth=1
	s_or_b64 exec, exec, s[10:11]
.LBB1_65:                               ;   in Loop: Header=BB1_3 Depth=1
	s_or_b64 exec, exec, s[6:7]
	s_waitcnt lgkmcnt(0)
	global_load_dwordx2 v[38:39], v29, s[4:5] offset:40
	global_load_dwordx4 v[22:25], v29, s[4:5]
	v_readfirstlane_b32 s7, v37
	v_readfirstlane_b32 s6, v36
	s_mov_b64 s[10:11], exec
	s_waitcnt vmcnt(1)
	v_readfirstlane_b32 s12, v38
	v_readfirstlane_b32 s13, v39
	s_and_b64 s[12:13], s[12:13], s[6:7]
	s_mul_i32 s14, s13, 24
	s_mul_hi_u32 s15, s12, 24
	s_add_i32 s15, s15, s14
	s_mul_i32 s14, s12, 24
	s_waitcnt vmcnt(0)
	v_lshl_add_u64 v[36:37], v[22:23], 0, s[14:15]
	s_and_saveexec_b64 s[14:15], s[0:1]
	s_cbranch_execz .LBB1_67
; %bb.66:                               ;   in Loop: Header=BB1_3 Depth=1
	v_mov_b64_e32 v[48:49], s[10:11]
	global_store_dwordx4 v[36:37], v[48:51], off offset:8
.LBB1_67:                               ;   in Loop: Header=BB1_3 Depth=1
	s_or_b64 exec, exec, s[14:15]
	v_cmp_gt_u64_e32 vcc, 57, v[4:5]
	s_lshl_b64 s[10:11], s[12:13], 12
	v_and_b32_e32 v6, 0xffffff1f, v6
	v_cndmask_b32_e32 v0, 0, v26, vcc
	v_lshl_add_u64 v[24:25], v[24:25], 0, s[10:11]
	v_lshl_add_u32 v27, v34, 2, 28
	v_or_b32_e32 v0, v6, v0
	v_and_or_b32 v6, v27, s17, v0
	v_lshlrev_b32_e32 v28, 6, v30
	v_readfirstlane_b32 s10, v24
	v_readfirstlane_b32 s11, v25
	s_nop 4
	global_store_dwordx4 v28, v[6:9], s[10:11]
	global_store_dwordx4 v28, v[10:13], s[10:11] offset:16
	global_store_dwordx4 v28, v[14:17], s[10:11] offset:32
	;; [unrolled: 1-line block ×3, first 2 shown]
	s_and_saveexec_b64 s[10:11], s[0:1]
	s_cbranch_execz .LBB1_75
; %bb.68:                               ;   in Loop: Header=BB1_3 Depth=1
	global_load_dwordx2 v[14:15], v29, s[4:5] offset:32 sc0 sc1
	global_load_dwordx2 v[6:7], v29, s[4:5] offset:40
	v_mov_b32_e32 v12, s6
	v_mov_b32_e32 v13, s7
	s_waitcnt vmcnt(0)
	v_readfirstlane_b32 s12, v6
	v_readfirstlane_b32 s13, v7
	s_and_b64 s[12:13], s[12:13], s[6:7]
	s_mul_i32 s13, s13, 24
	s_mul_hi_u32 s14, s12, 24
	s_mul_i32 s12, s12, 24
	s_add_i32 s13, s14, s13
	v_lshl_add_u64 v[10:11], v[22:23], 0, s[12:13]
	global_store_dwordx2 v[10:11], v[14:15], off
	buffer_wbl2 sc0 sc1
	s_waitcnt vmcnt(0)
	global_atomic_cmpswap_x2 v[8:9], v29, v[12:15], s[4:5] offset:32 sc0 sc1
	s_waitcnt vmcnt(0)
	v_cmp_ne_u64_e32 vcc, v[8:9], v[14:15]
	s_and_saveexec_b64 s[12:13], vcc
	s_cbranch_execz .LBB1_71
; %bb.69:                               ;   in Loop: Header=BB1_3 Depth=1
	s_mov_b64 s[14:15], 0
.LBB1_70:                               ;   Parent Loop BB1_3 Depth=1
                                        ; =>  This Inner Loop Header: Depth=2
	s_sleep 1
	global_store_dwordx2 v[10:11], v[8:9], off
	v_mov_b32_e32 v6, s6
	v_mov_b32_e32 v7, s7
	buffer_wbl2 sc0 sc1
	s_waitcnt vmcnt(0)
	global_atomic_cmpswap_x2 v[6:7], v29, v[6:9], s[4:5] offset:32 sc0 sc1
	s_waitcnt vmcnt(0)
	v_cmp_eq_u64_e32 vcc, v[6:7], v[8:9]
	s_or_b64 s[14:15], vcc, s[14:15]
	v_mov_b64_e32 v[8:9], v[6:7]
	s_andn2_b64 exec, exec, s[14:15]
	s_cbranch_execnz .LBB1_70
.LBB1_71:                               ;   in Loop: Header=BB1_3 Depth=1
	s_or_b64 exec, exec, s[12:13]
	global_load_dwordx2 v[6:7], v29, s[4:5] offset:16
	s_mov_b64 s[14:15], exec
	v_mbcnt_lo_u32_b32 v0, s14, 0
	v_mbcnt_hi_u32_b32 v0, s15, v0
	v_cmp_eq_u32_e32 vcc, 0, v0
	s_and_saveexec_b64 s[12:13], vcc
	s_cbranch_execz .LBB1_73
; %bb.72:                               ;   in Loop: Header=BB1_3 Depth=1
	s_bcnt1_i32_b64 s14, s[14:15]
	v_mov_b32_e32 v8, s14
	v_mov_b32_e32 v9, v29
	buffer_wbl2 sc0 sc1
	s_waitcnt vmcnt(0)
	global_atomic_add_x2 v[6:7], v[8:9], off offset:8 sc1
.LBB1_73:                               ;   in Loop: Header=BB1_3 Depth=1
	s_or_b64 exec, exec, s[12:13]
	s_waitcnt vmcnt(0)
	global_load_dwordx2 v[8:9], v[6:7], off offset:16
	s_waitcnt vmcnt(0)
	v_cmp_eq_u64_e32 vcc, 0, v[8:9]
	s_cbranch_vccnz .LBB1_75
; %bb.74:                               ;   in Loop: Header=BB1_3 Depth=1
	global_load_dword v6, v[6:7], off offset:24
	v_mov_b32_e32 v7, v29
	s_waitcnt vmcnt(0)
	v_readfirstlane_b32 s12, v6
	s_and_b32 m0, s12, 0xffffff
	buffer_wbl2 sc0 sc1
	global_store_dwordx2 v[8:9], v[6:7], off sc0 sc1
	s_sendmsg sendmsg(MSG_INTERRUPT)
.LBB1_75:                               ;   in Loop: Header=BB1_3 Depth=1
	s_or_b64 exec, exec, s[10:11]
	v_lshl_add_u64 v[6:7], v[24:25], 0, v[28:29]
	s_branch .LBB1_79
.LBB1_76:                               ;   in Loop: Header=BB1_79 Depth=2
	s_or_b64 exec, exec, s[10:11]
	v_readfirstlane_b32 s10, v0
	s_cmp_eq_u32 s10, 0
	s_cbranch_scc1 .LBB1_78
; %bb.77:                               ;   in Loop: Header=BB1_79 Depth=2
	s_sleep 1
	s_cbranch_execnz .LBB1_79
	s_branch .LBB1_81
.LBB1_78:                               ;   in Loop: Header=BB1_3 Depth=1
	s_branch .LBB1_81
.LBB1_79:                               ;   Parent Loop BB1_3 Depth=1
                                        ; =>  This Inner Loop Header: Depth=2
	v_mov_b32_e32 v0, 1
	s_and_saveexec_b64 s[10:11], s[0:1]
	s_cbranch_execz .LBB1_76
; %bb.80:                               ;   in Loop: Header=BB1_79 Depth=2
	global_load_dword v0, v[36:37], off offset:20 sc0 sc1
	s_waitcnt vmcnt(0)
	buffer_inv sc0 sc1
	v_and_b32_e32 v0, 1, v0
	s_branch .LBB1_76
.LBB1_81:                               ;   in Loop: Header=BB1_3 Depth=1
	global_load_dwordx2 v[6:7], v[6:7], off
	s_and_saveexec_b64 s[10:11], s[0:1]
	s_cbranch_execz .LBB1_2
; %bb.82:                               ;   in Loop: Header=BB1_3 Depth=1
	global_load_dwordx2 v[8:9], v29, s[4:5] offset:40
	global_load_dwordx2 v[16:17], v29, s[4:5] offset:24 sc0 sc1
	global_load_dwordx2 v[10:11], v29, s[4:5]
	s_waitcnt vmcnt(2)
	v_readfirstlane_b32 s12, v8
	v_readfirstlane_b32 s13, v9
	s_add_u32 s14, s12, 1
	s_addc_u32 s15, s13, 0
	s_add_u32 s0, s14, s6
	s_addc_u32 s1, s15, s7
	s_cmp_eq_u64 s[0:1], 0
	s_cselect_b32 s1, s15, s1
	s_cselect_b32 s0, s14, s0
	s_and_b64 s[6:7], s[0:1], s[12:13]
	s_mul_i32 s7, s7, 24
	s_mul_hi_u32 s12, s6, 24
	s_mul_i32 s6, s6, 24
	s_add_i32 s7, s12, s7
	s_waitcnt vmcnt(0)
	v_lshl_add_u64 v[12:13], v[10:11], 0, s[6:7]
	v_mov_b32_e32 v14, s0
	global_store_dwordx2 v[12:13], v[16:17], off
	v_mov_b32_e32 v15, s1
	buffer_wbl2 sc0 sc1
	s_waitcnt vmcnt(0)
	global_atomic_cmpswap_x2 v[10:11], v29, v[14:17], s[4:5] offset:24 sc0 sc1
	s_waitcnt vmcnt(0)
	v_cmp_ne_u64_e32 vcc, v[10:11], v[16:17]
	s_and_b64 exec, exec, vcc
	s_cbranch_execz .LBB1_2
; %bb.83:                               ;   in Loop: Header=BB1_3 Depth=1
	s_mov_b64 s[6:7], 0
.LBB1_84:                               ;   Parent Loop BB1_3 Depth=1
                                        ; =>  This Inner Loop Header: Depth=2
	s_sleep 1
	global_store_dwordx2 v[12:13], v[10:11], off
	v_mov_b32_e32 v8, s0
	v_mov_b32_e32 v9, s1
	buffer_wbl2 sc0 sc1
	s_waitcnt vmcnt(0)
	global_atomic_cmpswap_x2 v[8:9], v29, v[8:11], s[4:5] offset:24 sc0 sc1
	s_waitcnt vmcnt(0)
	v_cmp_eq_u64_e32 vcc, v[8:9], v[10:11]
	s_or_b64 s[6:7], vcc, s[6:7]
	v_mov_b64_e32 v[10:11], v[8:9]
	s_andn2_b64 exec, exec, s[6:7]
	s_cbranch_execnz .LBB1_84
	s_branch .LBB1_2
.LBB1_85:
	s_or_b64 exec, exec, s[2:3]
.LBB1_86:
	s_waitcnt vmcnt(0)
	v_mov_b32_e32 v0, v6
	v_mov_b32_e32 v1, v7
	s_waitcnt lgkmcnt(0)
	s_setpc_b64 s[30:31]
.LBB1_87:
                                        ; implicit-def: $vgpr6_vgpr7
	s_cbranch_execz .LBB1_86
; %bb.88:
	s_load_dwordx2 s[2:3], s[8:9], 0x50
	v_mbcnt_hi_u32_b32 v3, -1, v3
	v_mov_b64_e32 v[8:9], 0
	v_readfirstlane_b32 s0, v3
	s_nop 1
	v_cmp_eq_u32_e64 s[0:1], s0, v3
	s_and_saveexec_b64 s[4:5], s[0:1]
	s_cbranch_execz .LBB1_94
; %bb.89:
	v_mov_b32_e32 v0, 0
	s_waitcnt lgkmcnt(0)
	global_load_dwordx2 v[6:7], v0, s[2:3] offset:24 sc0 sc1
	s_waitcnt vmcnt(0)
	buffer_inv sc0 sc1
	global_load_dwordx2 v[4:5], v0, s[2:3] offset:40
	global_load_dwordx2 v[8:9], v0, s[2:3]
	s_waitcnt vmcnt(1)
	v_and_b32_e32 v4, v4, v6
	v_and_b32_e32 v5, v5, v7
	v_mul_lo_u32 v5, v5, 24
	v_mul_hi_u32 v10, v4, 24
	v_add_u32_e32 v5, v10, v5
	v_mul_lo_u32 v4, v4, 24
	s_waitcnt vmcnt(0)
	v_lshl_add_u64 v[4:5], v[8:9], 0, v[4:5]
	global_load_dwordx2 v[4:5], v[4:5], off sc0 sc1
	s_waitcnt vmcnt(0)
	global_atomic_cmpswap_x2 v[8:9], v0, v[4:7], s[2:3] offset:24 sc0 sc1
	s_waitcnt vmcnt(0)
	buffer_inv sc0 sc1
	v_cmp_ne_u64_e32 vcc, v[8:9], v[6:7]
	s_and_saveexec_b64 s[6:7], vcc
	s_cbranch_execz .LBB1_93
; %bb.90:
	s_mov_b64 s[8:9], 0
.LBB1_91:                               ; =>This Inner Loop Header: Depth=1
	s_sleep 1
	global_load_dwordx2 v[4:5], v0, s[2:3] offset:40
	global_load_dwordx2 v[10:11], v0, s[2:3]
	v_mov_b64_e32 v[6:7], v[8:9]
	s_waitcnt vmcnt(1)
	v_and_b32_e32 v4, v4, v6
	v_and_b32_e32 v9, v5, v7
	s_waitcnt vmcnt(0)
	v_mad_u64_u32 v[4:5], s[10:11], v4, 24, v[10:11]
	v_mov_b32_e32 v8, v5
	v_mad_u64_u32 v[8:9], s[10:11], v9, 24, v[8:9]
	v_mov_b32_e32 v5, v8
	global_load_dwordx2 v[4:5], v[4:5], off sc0 sc1
	s_waitcnt vmcnt(0)
	global_atomic_cmpswap_x2 v[8:9], v0, v[4:7], s[2:3] offset:24 sc0 sc1
	s_waitcnt vmcnt(0)
	buffer_inv sc0 sc1
	v_cmp_eq_u64_e32 vcc, v[8:9], v[6:7]
	s_or_b64 s[8:9], vcc, s[8:9]
	s_andn2_b64 exec, exec, s[8:9]
	s_cbranch_execnz .LBB1_91
; %bb.92:
	s_or_b64 exec, exec, s[8:9]
.LBB1_93:
	s_or_b64 exec, exec, s[6:7]
.LBB1_94:
	s_or_b64 exec, exec, s[4:5]
	v_mov_b32_e32 v11, 0
	s_waitcnt lgkmcnt(0)
	global_load_dwordx2 v[12:13], v11, s[2:3] offset:40
	global_load_dwordx4 v[4:7], v11, s[2:3]
	v_readfirstlane_b32 s5, v9
	v_readfirstlane_b32 s4, v8
	s_mov_b64 s[6:7], exec
	s_waitcnt vmcnt(1)
	v_readfirstlane_b32 s8, v12
	v_readfirstlane_b32 s9, v13
	s_and_b64 s[8:9], s[8:9], s[4:5]
	s_mul_i32 s10, s9, 24
	s_mul_hi_u32 s11, s8, 24
	s_add_i32 s11, s11, s10
	s_mul_i32 s10, s8, 24
	s_waitcnt vmcnt(0)
	v_lshl_add_u64 v[8:9], v[4:5], 0, s[10:11]
	s_and_saveexec_b64 s[10:11], s[0:1]
	s_cbranch_execz .LBB1_96
; %bb.95:
	v_mov_b64_e32 v[12:13], s[6:7]
	v_mov_b32_e32 v14, 2
	v_mov_b32_e32 v15, 1
	global_store_dwordx4 v[8:9], v[12:15], off offset:8
.LBB1_96:
	s_or_b64 exec, exec, s[10:11]
	s_lshl_b64 s[6:7], s[8:9], 12
	v_lshl_add_u64 v[6:7], v[6:7], 0, s[6:7]
	s_movk_i32 s6, 0xff1f
	s_mov_b32 s8, 0
	v_and_or_b32 v0, v2, s6, 32
	v_lshlrev_b32_e32 v10, 6, v3
	v_mov_b32_e32 v2, v11
	v_mov_b32_e32 v3, v11
	v_readfirstlane_b32 s6, v6
	v_readfirstlane_b32 s7, v7
	s_mov_b32 s9, s8
	s_mov_b32 s10, s8
	;; [unrolled: 1-line block ×3, first 2 shown]
	s_nop 1
	global_store_dwordx4 v10, v[0:3], s[6:7]
	s_nop 1
	v_mov_b64_e32 v[0:1], s[8:9]
	v_mov_b64_e32 v[2:3], s[10:11]
	global_store_dwordx4 v10, v[0:3], s[6:7] offset:16
	global_store_dwordx4 v10, v[0:3], s[6:7] offset:32
	;; [unrolled: 1-line block ×3, first 2 shown]
	s_and_saveexec_b64 s[6:7], s[0:1]
	s_cbranch_execz .LBB1_104
; %bb.97:
	v_mov_b32_e32 v12, 0
	global_load_dwordx2 v[16:17], v12, s[2:3] offset:32 sc0 sc1
	global_load_dwordx2 v[0:1], v12, s[2:3] offset:40
	v_mov_b32_e32 v14, s4
	v_mov_b32_e32 v15, s5
	s_waitcnt vmcnt(0)
	v_and_b32_e32 v0, s4, v0
	v_and_b32_e32 v1, s5, v1
	v_mul_lo_u32 v1, v1, 24
	v_mul_hi_u32 v2, v0, 24
	v_mul_lo_u32 v0, v0, 24
	v_add_u32_e32 v1, v2, v1
	v_lshl_add_u64 v[4:5], v[4:5], 0, v[0:1]
	global_store_dwordx2 v[4:5], v[16:17], off
	buffer_wbl2 sc0 sc1
	s_waitcnt vmcnt(0)
	global_atomic_cmpswap_x2 v[2:3], v12, v[14:17], s[2:3] offset:32 sc0 sc1
	s_waitcnt vmcnt(0)
	v_cmp_ne_u64_e32 vcc, v[2:3], v[16:17]
	s_and_saveexec_b64 s[8:9], vcc
	s_cbranch_execz .LBB1_100
; %bb.98:
	s_mov_b64 s[10:11], 0
.LBB1_99:                               ; =>This Inner Loop Header: Depth=1
	s_sleep 1
	global_store_dwordx2 v[4:5], v[2:3], off
	v_mov_b32_e32 v0, s4
	v_mov_b32_e32 v1, s5
	buffer_wbl2 sc0 sc1
	s_waitcnt vmcnt(0)
	global_atomic_cmpswap_x2 v[0:1], v12, v[0:3], s[2:3] offset:32 sc0 sc1
	s_waitcnt vmcnt(0)
	v_cmp_eq_u64_e32 vcc, v[0:1], v[2:3]
	s_or_b64 s[10:11], vcc, s[10:11]
	v_mov_b64_e32 v[2:3], v[0:1]
	s_andn2_b64 exec, exec, s[10:11]
	s_cbranch_execnz .LBB1_99
.LBB1_100:
	s_or_b64 exec, exec, s[8:9]
	v_mov_b32_e32 v3, 0
	global_load_dwordx2 v[0:1], v3, s[2:3] offset:16
	s_mov_b64 s[8:9], exec
	v_mbcnt_lo_u32_b32 v2, s8, 0
	v_mbcnt_hi_u32_b32 v2, s9, v2
	v_cmp_eq_u32_e32 vcc, 0, v2
	s_and_saveexec_b64 s[10:11], vcc
	s_cbranch_execz .LBB1_102
; %bb.101:
	s_bcnt1_i32_b64 s8, s[8:9]
	v_mov_b32_e32 v2, s8
	buffer_wbl2 sc0 sc1
	s_waitcnt vmcnt(0)
	global_atomic_add_x2 v[0:1], v[2:3], off offset:8 sc1
.LBB1_102:
	s_or_b64 exec, exec, s[10:11]
	s_waitcnt vmcnt(0)
	global_load_dwordx2 v[2:3], v[0:1], off offset:16
	s_waitcnt vmcnt(0)
	v_cmp_eq_u64_e32 vcc, 0, v[2:3]
	s_cbranch_vccnz .LBB1_104
; %bb.103:
	global_load_dword v0, v[0:1], off offset:24
	v_mov_b32_e32 v1, 0
	s_waitcnt vmcnt(0)
	v_readfirstlane_b32 s8, v0
	s_and_b32 m0, s8, 0xffffff
	buffer_wbl2 sc0 sc1
	global_store_dwordx2 v[2:3], v[0:1], off sc0 sc1
	s_sendmsg sendmsg(MSG_INTERRUPT)
.LBB1_104:
	s_or_b64 exec, exec, s[6:7]
	v_lshl_add_u64 v[0:1], v[6:7], 0, v[10:11]
	s_branch .LBB1_108
.LBB1_105:                              ;   in Loop: Header=BB1_108 Depth=1
	s_or_b64 exec, exec, s[6:7]
	v_readfirstlane_b32 s6, v2
	s_cmp_eq_u32 s6, 0
	s_cbranch_scc1 .LBB1_107
; %bb.106:                              ;   in Loop: Header=BB1_108 Depth=1
	s_sleep 1
	s_cbranch_execnz .LBB1_108
	s_branch .LBB1_110
.LBB1_107:
	s_branch .LBB1_110
.LBB1_108:                              ; =>This Inner Loop Header: Depth=1
	v_mov_b32_e32 v2, 1
	s_and_saveexec_b64 s[6:7], s[0:1]
	s_cbranch_execz .LBB1_105
; %bb.109:                              ;   in Loop: Header=BB1_108 Depth=1
	global_load_dword v2, v[8:9], off offset:20 sc0 sc1
	s_waitcnt vmcnt(0)
	buffer_inv sc0 sc1
	v_and_b32_e32 v2, 1, v2
	s_branch .LBB1_105
.LBB1_110:
	global_load_dwordx2 v[6:7], v[0:1], off
	s_and_saveexec_b64 s[6:7], s[0:1]
	s_cbranch_execz .LBB1_113
; %bb.111:
	v_mov_b32_e32 v8, 0
	global_load_dwordx2 v[0:1], v8, s[2:3] offset:40
	global_load_dwordx2 v[12:13], v8, s[2:3] offset:24 sc0 sc1
	global_load_dwordx2 v[2:3], v8, s[2:3]
	s_waitcnt vmcnt(2)
	v_readfirstlane_b32 s8, v0
	v_readfirstlane_b32 s9, v1
	s_add_u32 s10, s8, 1
	s_addc_u32 s11, s9, 0
	s_add_u32 s0, s10, s4
	s_addc_u32 s1, s11, s5
	s_cmp_eq_u64 s[0:1], 0
	s_cselect_b32 s1, s11, s1
	s_cselect_b32 s0, s10, s0
	s_and_b64 s[4:5], s[0:1], s[8:9]
	s_mul_i32 s5, s5, 24
	s_mul_hi_u32 s8, s4, 24
	s_mul_i32 s4, s4, 24
	s_add_i32 s5, s8, s5
	s_waitcnt vmcnt(0)
	v_lshl_add_u64 v[4:5], v[2:3], 0, s[4:5]
	v_mov_b32_e32 v10, s0
	global_store_dwordx2 v[4:5], v[12:13], off
	v_mov_b32_e32 v11, s1
	buffer_wbl2 sc0 sc1
	s_waitcnt vmcnt(0)
	global_atomic_cmpswap_x2 v[2:3], v8, v[10:13], s[2:3] offset:24 sc0 sc1
	s_mov_b64 s[4:5], 0
	s_waitcnt vmcnt(0)
	v_cmp_ne_u64_e32 vcc, v[2:3], v[12:13]
	s_and_b64 exec, exec, vcc
	s_cbranch_execz .LBB1_113
.LBB1_112:                              ; =>This Inner Loop Header: Depth=1
	s_sleep 1
	global_store_dwordx2 v[4:5], v[2:3], off
	v_mov_b32_e32 v0, s0
	v_mov_b32_e32 v1, s1
	buffer_wbl2 sc0 sc1
	s_waitcnt vmcnt(0)
	global_atomic_cmpswap_x2 v[0:1], v8, v[0:3], s[2:3] offset:24 sc0 sc1
	s_waitcnt vmcnt(0)
	v_cmp_eq_u64_e32 vcc, v[0:1], v[2:3]
	s_or_b64 s[4:5], vcc, s[4:5]
	v_mov_b64_e32 v[2:3], v[0:1]
	s_andn2_b64 exec, exec, s[4:5]
	s_cbranch_execnz .LBB1_112
.LBB1_113:
	s_or_b64 exec, exec, s[6:7]
	s_waitcnt vmcnt(0)
	v_mov_b32_e32 v0, v6
	v_mov_b32_e32 v1, v7
	s_waitcnt lgkmcnt(0)
	s_setpc_b64 s[30:31]
.Lfunc_end1:
	.size	__ockl_printf_append_string_n, .Lfunc_end1-__ockl_printf_append_string_n
                                        ; -- End function
	.set .L__ockl_printf_append_string_n.num_vgpr, 52
	.set .L__ockl_printf_append_string_n.num_agpr, 0
	.set .L__ockl_printf_append_string_n.numbered_sgpr, 32
	.set .L__ockl_printf_append_string_n.num_named_barrier, 0
	.set .L__ockl_printf_append_string_n.private_seg_size, 0
	.set .L__ockl_printf_append_string_n.uses_vcc, 1
	.set .L__ockl_printf_append_string_n.uses_flat_scratch, 0
	.set .L__ockl_printf_append_string_n.has_dyn_sized_stack, 0
	.set .L__ockl_printf_append_string_n.has_recursion, 0
	.set .L__ockl_printf_append_string_n.has_indirect_call, 0
	.section	.AMDGPU.csdata,"",@progbits
; Function info:
; codeLenInByte = 3812
; TotalNumSgprs: 38
; NumVgprs: 52
; NumAgprs: 0
; TotalNumVgprs: 52
; ScratchSize: 0
; MemoryBound: 0
	.text
	.p2align	2                               ; -- Begin function __ockl_printf_append_args
	.type	__ockl_printf_append_args,@function
__ockl_printf_append_args:              ; @__ockl_printf_append_args
; %bb.0:
	s_waitcnt vmcnt(0) expcnt(0) lgkmcnt(0)
	s_load_dwordx2 s[2:3], s[8:9], 0x50
	v_mbcnt_lo_u32_b32 v5, -1, 0
	v_mbcnt_hi_u32_b32 v5, -1, v5
	v_mov_b64_e32 v[10:11], 0
	v_readfirstlane_b32 s0, v5
	s_nop 1
	v_cmp_eq_u32_e64 s[0:1], s0, v5
	s_and_saveexec_b64 s[4:5], s[0:1]
	s_cbranch_execz .LBB2_6
; %bb.1:
	v_mov_b32_e32 v6, 0
	s_waitcnt lgkmcnt(0)
	global_load_dwordx2 v[12:13], v6, s[2:3] offset:24 sc0 sc1
	s_waitcnt vmcnt(0)
	buffer_inv sc0 sc1
	global_load_dwordx2 v[8:9], v6, s[2:3] offset:40
	global_load_dwordx2 v[10:11], v6, s[2:3]
	s_waitcnt vmcnt(1)
	v_and_b32_e32 v7, v8, v12
	v_and_b32_e32 v8, v9, v13
	v_mul_lo_u32 v8, v8, 24
	v_mul_hi_u32 v9, v7, 24
	v_add_u32_e32 v9, v9, v8
	v_mul_lo_u32 v8, v7, 24
	s_waitcnt vmcnt(0)
	v_lshl_add_u64 v[8:9], v[10:11], 0, v[8:9]
	global_load_dwordx2 v[10:11], v[8:9], off sc0 sc1
	s_waitcnt vmcnt(0)
	global_atomic_cmpswap_x2 v[10:11], v6, v[10:13], s[2:3] offset:24 sc0 sc1
	s_waitcnt vmcnt(0)
	buffer_inv sc0 sc1
	v_cmp_ne_u64_e32 vcc, v[10:11], v[12:13]
	s_and_saveexec_b64 s[6:7], vcc
	s_cbranch_execz .LBB2_5
; %bb.2:
	s_mov_b64 s[8:9], 0
.LBB2_3:                                ; =>This Inner Loop Header: Depth=1
	s_sleep 1
	global_load_dwordx2 v[8:9], v6, s[2:3] offset:40
	global_load_dwordx2 v[14:15], v6, s[2:3]
	v_mov_b64_e32 v[12:13], v[10:11]
	s_waitcnt vmcnt(1)
	v_and_b32_e32 v8, v8, v12
	v_and_b32_e32 v7, v9, v13
	s_waitcnt vmcnt(0)
	v_mad_u64_u32 v[8:9], s[10:11], v8, 24, v[14:15]
	v_mov_b32_e32 v10, v9
	v_mad_u64_u32 v[10:11], s[10:11], v7, 24, v[10:11]
	v_mov_b32_e32 v9, v10
	global_load_dwordx2 v[10:11], v[8:9], off sc0 sc1
	s_waitcnt vmcnt(0)
	global_atomic_cmpswap_x2 v[10:11], v6, v[10:13], s[2:3] offset:24 sc0 sc1
	s_waitcnt vmcnt(0)
	buffer_inv sc0 sc1
	v_cmp_eq_u64_e32 vcc, v[10:11], v[12:13]
	s_or_b64 s[8:9], vcc, s[8:9]
	s_andn2_b64 exec, exec, s[8:9]
	s_cbranch_execnz .LBB2_3
; %bb.4:
	s_or_b64 exec, exec, s[8:9]
.LBB2_5:
	s_or_b64 exec, exec, s[6:7]
.LBB2_6:
	s_or_b64 exec, exec, s[4:5]
	v_mov_b32_e32 v14, 0
	s_waitcnt lgkmcnt(0)
	global_load_dwordx2 v[12:13], v14, s[2:3] offset:40
	global_load_dwordx4 v[6:9], v14, s[2:3]
	v_readfirstlane_b32 s5, v11
	v_readfirstlane_b32 s4, v10
	s_mov_b64 s[6:7], exec
	s_waitcnt vmcnt(1)
	v_readfirstlane_b32 s8, v12
	v_readfirstlane_b32 s9, v13
	s_and_b64 s[8:9], s[8:9], s[4:5]
	s_mul_i32 s10, s9, 24
	s_mul_hi_u32 s11, s8, 24
	s_add_i32 s11, s11, s10
	s_mul_i32 s10, s8, 24
	s_waitcnt vmcnt(0)
	v_lshl_add_u64 v[10:11], v[6:7], 0, s[10:11]
	s_and_saveexec_b64 s[10:11], s[0:1]
	s_cbranch_execz .LBB2_8
; %bb.7:
	v_mov_b64_e32 v[12:13], s[6:7]
	v_mov_b32_e32 v14, 2
	v_mov_b32_e32 v15, 1
	global_store_dwordx4 v[10:11], v[12:15], off offset:8
.LBB2_8:
	s_or_b64 exec, exec, s[10:11]
	s_lshl_b64 s[6:7], s[8:9], 12
	v_or_b32_e32 v12, 2, v0
	v_cmp_eq_u32_e32 vcc, 0, v4
	v_lshl_add_u64 v[8:9], v[8:9], 0, s[6:7]
	s_mov_b32 s8, 0
	v_cndmask_b32_e32 v0, v12, v0, vcc
	s_movk_i32 s6, 0xff1f
	v_and_or_b32 v0, v0, s6, 32
	v_lshlrev_b32_e32 v4, 6, v5
	v_readfirstlane_b32 s6, v8
	v_readfirstlane_b32 s7, v9
	s_mov_b32 s9, s8
	s_mov_b32 s10, s8
	;; [unrolled: 1-line block ×3, first 2 shown]
	s_nop 1
	global_store_dwordx4 v4, v[0:3], s[6:7]
	s_nop 1
	v_mov_b64_e32 v[0:1], s[8:9]
	v_mov_b64_e32 v[2:3], s[10:11]
	global_store_dwordx4 v4, v[0:3], s[6:7] offset:16
	global_store_dwordx4 v4, v[0:3], s[6:7] offset:32
	;; [unrolled: 1-line block ×3, first 2 shown]
	s_and_saveexec_b64 s[6:7], s[0:1]
	s_cbranch_execz .LBB2_16
; %bb.9:
	v_mov_b32_e32 v8, 0
	global_load_dwordx2 v[14:15], v8, s[2:3] offset:32 sc0 sc1
	global_load_dwordx2 v[0:1], v8, s[2:3] offset:40
	v_mov_b32_e32 v12, s4
	v_mov_b32_e32 v13, s5
	s_waitcnt vmcnt(0)
	v_and_b32_e32 v0, s4, v0
	v_and_b32_e32 v1, s5, v1
	v_mul_lo_u32 v1, v1, 24
	v_mul_hi_u32 v2, v0, 24
	v_mul_lo_u32 v0, v0, 24
	v_add_u32_e32 v1, v2, v1
	v_lshl_add_u64 v[4:5], v[6:7], 0, v[0:1]
	global_store_dwordx2 v[4:5], v[14:15], off
	buffer_wbl2 sc0 sc1
	s_waitcnt vmcnt(0)
	global_atomic_cmpswap_x2 v[2:3], v8, v[12:15], s[2:3] offset:32 sc0 sc1
	s_waitcnt vmcnt(0)
	v_cmp_ne_u64_e32 vcc, v[2:3], v[14:15]
	s_and_saveexec_b64 s[8:9], vcc
	s_cbranch_execz .LBB2_12
; %bb.10:
	s_mov_b64 s[10:11], 0
.LBB2_11:                               ; =>This Inner Loop Header: Depth=1
	s_sleep 1
	global_store_dwordx2 v[4:5], v[2:3], off
	v_mov_b32_e32 v0, s4
	v_mov_b32_e32 v1, s5
	buffer_wbl2 sc0 sc1
	s_waitcnt vmcnt(0)
	global_atomic_cmpswap_x2 v[0:1], v8, v[0:3], s[2:3] offset:32 sc0 sc1
	s_waitcnt vmcnt(0)
	v_cmp_eq_u64_e32 vcc, v[0:1], v[2:3]
	s_or_b64 s[10:11], vcc, s[10:11]
	v_mov_b64_e32 v[2:3], v[0:1]
	s_andn2_b64 exec, exec, s[10:11]
	s_cbranch_execnz .LBB2_11
.LBB2_12:
	s_or_b64 exec, exec, s[8:9]
	v_mov_b32_e32 v3, 0
	global_load_dwordx2 v[0:1], v3, s[2:3] offset:16
	s_mov_b64 s[8:9], exec
	v_mbcnt_lo_u32_b32 v2, s8, 0
	v_mbcnt_hi_u32_b32 v2, s9, v2
	v_cmp_eq_u32_e32 vcc, 0, v2
	s_and_saveexec_b64 s[10:11], vcc
	s_cbranch_execz .LBB2_14
; %bb.13:
	s_bcnt1_i32_b64 s8, s[8:9]
	v_mov_b32_e32 v2, s8
	buffer_wbl2 sc0 sc1
	s_waitcnt vmcnt(0)
	global_atomic_add_x2 v[0:1], v[2:3], off offset:8 sc1
.LBB2_14:
	s_or_b64 exec, exec, s[10:11]
	s_waitcnt vmcnt(0)
	global_load_dwordx2 v[2:3], v[0:1], off offset:16
	s_waitcnt vmcnt(0)
	v_cmp_eq_u64_e32 vcc, 0, v[2:3]
	s_cbranch_vccnz .LBB2_16
; %bb.15:
	global_load_dword v0, v[0:1], off offset:24
	v_mov_b32_e32 v1, 0
	s_waitcnt vmcnt(0)
	v_readfirstlane_b32 s8, v0
	s_and_b32 m0, s8, 0xffffff
	buffer_wbl2 sc0 sc1
	global_store_dwordx2 v[2:3], v[0:1], off sc0 sc1
	s_sendmsg sendmsg(MSG_INTERRUPT)
.LBB2_16:
	s_or_b64 exec, exec, s[6:7]
	s_branch .LBB2_20
.LBB2_17:                               ;   in Loop: Header=BB2_20 Depth=1
	s_or_b64 exec, exec, s[6:7]
	v_readfirstlane_b32 s6, v0
	s_cmp_eq_u32 s6, 0
	s_cbranch_scc1 .LBB2_19
; %bb.18:                               ;   in Loop: Header=BB2_20 Depth=1
	s_sleep 1
	s_cbranch_execnz .LBB2_20
	s_branch .LBB2_22
.LBB2_19:
	s_branch .LBB2_22
.LBB2_20:                               ; =>This Inner Loop Header: Depth=1
	v_mov_b32_e32 v0, 1
	s_and_saveexec_b64 s[6:7], s[0:1]
	s_cbranch_execz .LBB2_17
; %bb.21:                               ;   in Loop: Header=BB2_20 Depth=1
	global_load_dword v0, v[10:11], off offset:20 sc0 sc1
	s_waitcnt vmcnt(0)
	buffer_inv sc0 sc1
	v_and_b32_e32 v0, 1, v0
	s_branch .LBB2_17
.LBB2_22:
	s_and_saveexec_b64 s[6:7], s[0:1]
	s_cbranch_execz .LBB2_25
; %bb.23:
	v_mov_b32_e32 v6, 0
	global_load_dwordx2 v[0:1], v6, s[2:3] offset:40
	global_load_dwordx2 v[10:11], v6, s[2:3] offset:24 sc0 sc1
	global_load_dwordx2 v[2:3], v6, s[2:3]
	s_waitcnt vmcnt(2)
	v_readfirstlane_b32 s8, v0
	v_readfirstlane_b32 s9, v1
	s_add_u32 s10, s8, 1
	s_addc_u32 s11, s9, 0
	s_add_u32 s0, s10, s4
	s_addc_u32 s1, s11, s5
	s_cmp_eq_u64 s[0:1], 0
	s_cselect_b32 s1, s11, s1
	s_cselect_b32 s0, s10, s0
	s_and_b64 s[4:5], s[0:1], s[8:9]
	s_mul_i32 s5, s5, 24
	s_mul_hi_u32 s8, s4, 24
	s_mul_i32 s4, s4, 24
	s_add_i32 s5, s8, s5
	s_waitcnt vmcnt(0)
	v_lshl_add_u64 v[4:5], v[2:3], 0, s[4:5]
	v_mov_b32_e32 v8, s0
	global_store_dwordx2 v[4:5], v[10:11], off
	v_mov_b32_e32 v9, s1
	buffer_wbl2 sc0 sc1
	s_waitcnt vmcnt(0)
	global_atomic_cmpswap_x2 v[2:3], v6, v[8:11], s[2:3] offset:24 sc0 sc1
	s_mov_b64 s[4:5], 0
	s_waitcnt vmcnt(0)
	v_cmp_ne_u64_e32 vcc, v[2:3], v[10:11]
	s_and_b64 exec, exec, vcc
	s_cbranch_execz .LBB2_25
.LBB2_24:                               ; =>This Inner Loop Header: Depth=1
	s_sleep 1
	global_store_dwordx2 v[4:5], v[2:3], off
	v_mov_b32_e32 v0, s0
	v_mov_b32_e32 v1, s1
	buffer_wbl2 sc0 sc1
	s_waitcnt vmcnt(0)
	global_atomic_cmpswap_x2 v[0:1], v6, v[0:3], s[2:3] offset:24 sc0 sc1
	s_waitcnt vmcnt(0)
	v_cmp_eq_u64_e32 vcc, v[0:1], v[2:3]
	s_or_b64 s[4:5], vcc, s[4:5]
	v_mov_b64_e32 v[2:3], v[0:1]
	s_andn2_b64 exec, exec, s[4:5]
	s_cbranch_execnz .LBB2_24
.LBB2_25:
	s_or_b64 exec, exec, s[6:7]
	s_waitcnt vmcnt(0) lgkmcnt(0)
	s_setpc_b64 s[30:31]
.Lfunc_end2:
	.size	__ockl_printf_append_args, .Lfunc_end2-__ockl_printf_append_args
                                        ; -- End function
	.set .L__ockl_printf_append_args.num_vgpr, 16
	.set .L__ockl_printf_append_args.num_agpr, 0
	.set .L__ockl_printf_append_args.numbered_sgpr, 32
	.set .L__ockl_printf_append_args.num_named_barrier, 0
	.set .L__ockl_printf_append_args.private_seg_size, 0
	.set .L__ockl_printf_append_args.uses_vcc, 1
	.set .L__ockl_printf_append_args.uses_flat_scratch, 0
	.set .L__ockl_printf_append_args.has_dyn_sized_stack, 0
	.set .L__ockl_printf_append_args.has_recursion, 0
	.set .L__ockl_printf_append_args.has_indirect_call, 0
	.section	.AMDGPU.csdata,"",@progbits
; Function info:
; codeLenInByte = 1216
; TotalNumSgprs: 38
; NumVgprs: 16
; NumAgprs: 0
; TotalNumVgprs: 16
; ScratchSize: 0
; MemoryBound: 0
	.text
	.p2align	2                               ; -- Begin function _ZL14no_device_codePKciS0_iS0_
	.type	_ZL14no_device_codePKciS0_iS0_,@function
_ZL14no_device_codePKciS0_iS0_:         ; @_ZL14no_device_codePKciS0_iS0_
; %bb.0:
	s_waitcnt vmcnt(0) expcnt(0) lgkmcnt(0)
	s_mov_b32 s20, s33
	s_mov_b32 s33, s32
	s_or_saveexec_b64 s[0:1], -1
	scratch_store_dword off, v40, s33       ; 4-byte Folded Spill
	s_mov_b64 exec, s[0:1]
	v_writelane_b32 v40, s30, 0
	s_add_i32 s32, s32, 16
	s_nop 0
	v_writelane_b32 v40, s31, 1
	s_load_dwordx2 s[2:3], s[8:9], 0x50
	v_mbcnt_lo_u32_b32 v1, -1, 0
	v_mbcnt_hi_u32_b32 v1, -1, v1
	v_mov_b64_e32 v[6:7], 0
	v_readfirstlane_b32 s0, v1
	s_nop 1
	v_cmp_eq_u32_e64 s[0:1], s0, v1
	s_and_saveexec_b64 s[4:5], s[0:1]
	s_cbranch_execz .LBB3_6
; %bb.1:
	v_mov_b32_e32 v2, 0
	s_waitcnt lgkmcnt(0)
	global_load_dwordx2 v[8:9], v2, s[2:3] offset:24 sc0 sc1
	s_waitcnt vmcnt(0)
	buffer_inv sc0 sc1
	global_load_dwordx2 v[4:5], v2, s[2:3] offset:40
	global_load_dwordx2 v[6:7], v2, s[2:3]
	s_waitcnt vmcnt(1)
	v_and_b32_e32 v3, v4, v8
	v_and_b32_e32 v4, v5, v9
	v_mul_lo_u32 v4, v4, 24
	v_mul_hi_u32 v5, v3, 24
	v_add_u32_e32 v5, v5, v4
	v_mul_lo_u32 v4, v3, 24
	s_waitcnt vmcnt(0)
	v_lshl_add_u64 v[4:5], v[6:7], 0, v[4:5]
	global_load_dwordx2 v[6:7], v[4:5], off sc0 sc1
	s_waitcnt vmcnt(0)
	global_atomic_cmpswap_x2 v[6:7], v2, v[6:9], s[2:3] offset:24 sc0 sc1
	s_waitcnt vmcnt(0)
	buffer_inv sc0 sc1
	v_cmp_ne_u64_e32 vcc, v[6:7], v[8:9]
	s_and_saveexec_b64 s[6:7], vcc
	s_cbranch_execz .LBB3_5
; %bb.2:
	s_mov_b64 s[10:11], 0
.LBB3_3:                                ; =>This Inner Loop Header: Depth=1
	s_sleep 1
	global_load_dwordx2 v[4:5], v2, s[2:3] offset:40
	global_load_dwordx2 v[10:11], v2, s[2:3]
	v_mov_b64_e32 v[8:9], v[6:7]
	s_waitcnt vmcnt(1)
	v_and_b32_e32 v4, v4, v8
	v_and_b32_e32 v3, v5, v9
	s_waitcnt vmcnt(0)
	v_mad_u64_u32 v[4:5], s[12:13], v4, 24, v[10:11]
	v_mov_b32_e32 v6, v5
	v_mad_u64_u32 v[6:7], s[12:13], v3, 24, v[6:7]
	v_mov_b32_e32 v5, v6
	global_load_dwordx2 v[6:7], v[4:5], off sc0 sc1
	s_waitcnt vmcnt(0)
	global_atomic_cmpswap_x2 v[6:7], v2, v[6:9], s[2:3] offset:24 sc0 sc1
	s_waitcnt vmcnt(0)
	buffer_inv sc0 sc1
	v_cmp_eq_u64_e32 vcc, v[6:7], v[8:9]
	s_or_b64 s[10:11], vcc, s[10:11]
	s_andn2_b64 exec, exec, s[10:11]
	s_cbranch_execnz .LBB3_3
; %bb.4:
	s_or_b64 exec, exec, s[10:11]
.LBB3_5:
	s_or_b64 exec, exec, s[6:7]
.LBB3_6:
	s_or_b64 exec, exec, s[4:5]
	v_mov_b32_e32 v25, 0
	s_waitcnt lgkmcnt(0)
	global_load_dwordx2 v[8:9], v25, s[2:3] offset:40
	global_load_dwordx4 v[2:5], v25, s[2:3]
	v_readfirstlane_b32 s5, v7
	v_readfirstlane_b32 s4, v6
	s_mov_b64 s[6:7], exec
	s_waitcnt vmcnt(1)
	v_readfirstlane_b32 s10, v8
	v_readfirstlane_b32 s11, v9
	s_and_b64 s[10:11], s[10:11], s[4:5]
	s_mul_i32 s12, s11, 24
	s_mul_hi_u32 s13, s10, 24
	s_add_i32 s13, s13, s12
	s_mul_i32 s12, s10, 24
	s_waitcnt vmcnt(0)
	v_lshl_add_u64 v[6:7], v[2:3], 0, s[12:13]
	s_and_saveexec_b64 s[12:13], s[0:1]
	s_cbranch_execz .LBB3_8
; %bb.7:
	v_mov_b64_e32 v[8:9], s[6:7]
	v_mov_b32_e32 v10, 2
	v_mov_b32_e32 v11, 1
	global_store_dwordx4 v[6:7], v[8:11], off offset:8
.LBB3_8:
	s_or_b64 exec, exec, s[12:13]
	s_lshl_b64 s[6:7], s[10:11], 12
	v_lshl_add_u64 v[8:9], v[4:5], 0, s[6:7]
	s_mov_b32 s12, 0
	v_lshlrev_b32_e32 v24, 6, v1
	v_mov_b32_e32 v10, 33
	v_mov_b32_e32 v11, v25
	;; [unrolled: 1-line block ×4, first 2 shown]
	v_readfirstlane_b32 s6, v8
	v_readfirstlane_b32 s7, v9
	s_mov_b32 s13, s12
	s_mov_b32 s14, s12
	;; [unrolled: 1-line block ×3, first 2 shown]
	s_nop 1
	global_store_dwordx4 v24, v[10:13], s[6:7]
	s_nop 1
	v_mov_b64_e32 v[10:11], s[12:13]
	v_mov_b64_e32 v[12:13], s[14:15]
	global_store_dwordx4 v24, v[10:13], s[6:7] offset:16
	global_store_dwordx4 v24, v[10:13], s[6:7] offset:32
	;; [unrolled: 1-line block ×3, first 2 shown]
	s_and_saveexec_b64 s[6:7], s[0:1]
	s_cbranch_execz .LBB3_16
; %bb.9:
	v_mov_b32_e32 v12, 0
	global_load_dwordx2 v[16:17], v12, s[2:3] offset:32 sc0 sc1
	global_load_dwordx2 v[4:5], v12, s[2:3] offset:40
	v_mov_b32_e32 v14, s4
	v_mov_b32_e32 v15, s5
	s_waitcnt vmcnt(0)
	v_and_b32_e32 v4, s4, v4
	v_and_b32_e32 v5, s5, v5
	v_mul_lo_u32 v5, v5, 24
	v_mul_hi_u32 v10, v4, 24
	v_mul_lo_u32 v4, v4, 24
	v_add_u32_e32 v5, v10, v5
	v_lshl_add_u64 v[10:11], v[2:3], 0, v[4:5]
	global_store_dwordx2 v[10:11], v[16:17], off
	buffer_wbl2 sc0 sc1
	s_waitcnt vmcnt(0)
	global_atomic_cmpswap_x2 v[4:5], v12, v[14:17], s[2:3] offset:32 sc0 sc1
	s_waitcnt vmcnt(0)
	v_cmp_ne_u64_e32 vcc, v[4:5], v[16:17]
	s_and_saveexec_b64 s[10:11], vcc
	s_cbranch_execz .LBB3_12
; %bb.10:
	s_mov_b64 s[12:13], 0
.LBB3_11:                               ; =>This Inner Loop Header: Depth=1
	s_sleep 1
	global_store_dwordx2 v[10:11], v[4:5], off
	v_mov_b32_e32 v2, s4
	v_mov_b32_e32 v3, s5
	buffer_wbl2 sc0 sc1
	s_waitcnt vmcnt(0)
	global_atomic_cmpswap_x2 v[2:3], v12, v[2:5], s[2:3] offset:32 sc0 sc1
	s_waitcnt vmcnt(0)
	v_cmp_eq_u64_e32 vcc, v[2:3], v[4:5]
	s_or_b64 s[12:13], vcc, s[12:13]
	v_mov_b64_e32 v[4:5], v[2:3]
	s_andn2_b64 exec, exec, s[12:13]
	s_cbranch_execnz .LBB3_11
.LBB3_12:
	s_or_b64 exec, exec, s[10:11]
	v_mov_b32_e32 v5, 0
	global_load_dwordx2 v[2:3], v5, s[2:3] offset:16
	s_mov_b64 s[10:11], exec
	v_mbcnt_lo_u32_b32 v4, s10, 0
	v_mbcnt_hi_u32_b32 v4, s11, v4
	v_cmp_eq_u32_e32 vcc, 0, v4
	s_and_saveexec_b64 s[12:13], vcc
	s_cbranch_execz .LBB3_14
; %bb.13:
	s_bcnt1_i32_b64 s10, s[10:11]
	v_mov_b32_e32 v4, s10
	buffer_wbl2 sc0 sc1
	s_waitcnt vmcnt(0)
	global_atomic_add_x2 v[2:3], v[4:5], off offset:8 sc1
.LBB3_14:
	s_or_b64 exec, exec, s[12:13]
	s_waitcnt vmcnt(0)
	global_load_dwordx2 v[4:5], v[2:3], off offset:16
	s_waitcnt vmcnt(0)
	v_cmp_eq_u64_e32 vcc, 0, v[4:5]
	s_cbranch_vccnz .LBB3_16
; %bb.15:
	global_load_dword v2, v[2:3], off offset:24
	v_mov_b32_e32 v3, 0
	s_waitcnt vmcnt(0)
	v_readfirstlane_b32 s10, v2
	s_and_b32 m0, s10, 0xffffff
	buffer_wbl2 sc0 sc1
	global_store_dwordx2 v[4:5], v[2:3], off sc0 sc1
	s_sendmsg sendmsg(MSG_INTERRUPT)
.LBB3_16:
	s_or_b64 exec, exec, s[6:7]
	v_lshl_add_u64 v[2:3], v[8:9], 0, v[24:25]
	s_branch .LBB3_20
.LBB3_17:                               ;   in Loop: Header=BB3_20 Depth=1
	s_or_b64 exec, exec, s[6:7]
	v_readfirstlane_b32 s6, v4
	s_cmp_eq_u32 s6, 0
	s_cbranch_scc1 .LBB3_19
; %bb.18:                               ;   in Loop: Header=BB3_20 Depth=1
	s_sleep 1
	s_cbranch_execnz .LBB3_20
	s_branch .LBB3_22
.LBB3_19:
	s_branch .LBB3_22
.LBB3_20:                               ; =>This Inner Loop Header: Depth=1
	v_mov_b32_e32 v4, 1
	s_and_saveexec_b64 s[6:7], s[0:1]
	s_cbranch_execz .LBB3_17
; %bb.21:                               ;   in Loop: Header=BB3_20 Depth=1
	global_load_dword v4, v[6:7], off offset:20 sc0 sc1
	s_waitcnt vmcnt(0)
	buffer_inv sc0 sc1
	v_and_b32_e32 v4, 1, v4
	s_branch .LBB3_17
.LBB3_22:
	global_load_dwordx2 v[6:7], v[2:3], off
	s_and_saveexec_b64 s[6:7], s[0:1]
	s_cbranch_execz .LBB3_25
; %bb.23:
	v_mov_b32_e32 v10, 0
	global_load_dwordx2 v[2:3], v10, s[2:3] offset:40
	global_load_dwordx2 v[14:15], v10, s[2:3] offset:24 sc0 sc1
	global_load_dwordx2 v[4:5], v10, s[2:3]
	s_waitcnt vmcnt(2)
	v_readfirstlane_b32 s10, v2
	v_readfirstlane_b32 s11, v3
	s_add_u32 s12, s10, 1
	s_addc_u32 s13, s11, 0
	s_add_u32 s0, s12, s4
	s_addc_u32 s1, s13, s5
	s_cmp_eq_u64 s[0:1], 0
	s_cselect_b32 s1, s13, s1
	s_cselect_b32 s0, s12, s0
	s_and_b64 s[4:5], s[0:1], s[10:11]
	s_mul_i32 s5, s5, 24
	s_mul_hi_u32 s10, s4, 24
	s_mul_i32 s4, s4, 24
	s_add_i32 s5, s10, s5
	s_waitcnt vmcnt(0)
	v_lshl_add_u64 v[8:9], v[4:5], 0, s[4:5]
	v_mov_b32_e32 v12, s0
	global_store_dwordx2 v[8:9], v[14:15], off
	v_mov_b32_e32 v13, s1
	buffer_wbl2 sc0 sc1
	s_waitcnt vmcnt(0)
	global_atomic_cmpswap_x2 v[4:5], v10, v[12:15], s[2:3] offset:24 sc0 sc1
	s_mov_b64 s[4:5], 0
	s_waitcnt vmcnt(0)
	v_cmp_ne_u64_e32 vcc, v[4:5], v[14:15]
	s_and_b64 exec, exec, vcc
	s_cbranch_execz .LBB3_25
.LBB3_24:                               ; =>This Inner Loop Header: Depth=1
	s_sleep 1
	global_store_dwordx2 v[8:9], v[4:5], off
	v_mov_b32_e32 v2, s0
	v_mov_b32_e32 v3, s1
	buffer_wbl2 sc0 sc1
	s_waitcnt vmcnt(0)
	global_atomic_cmpswap_x2 v[2:3], v10, v[2:5], s[2:3] offset:24 sc0 sc1
	s_waitcnt vmcnt(0)
	v_cmp_eq_u64_e32 vcc, v[2:3], v[4:5]
	s_or_b64 s[4:5], vcc, s[4:5]
	v_mov_b64_e32 v[4:5], v[2:3]
	s_andn2_b64 exec, exec, s[4:5]
	s_cbranch_execnz .LBB3_24
.LBB3_25:
	s_or_b64 exec, exec, s[6:7]
	s_getpc_b64 s[4:5]
	s_add_u32 s4, s4, .str.5@rel32@lo+4
	s_addc_u32 s5, s5, .str.5@rel32@hi+12
	s_cmp_lg_u64 s[4:5], 0
	s_cbranch_scc0 .LBB3_110
; %bb.26:
	s_waitcnt vmcnt(0)
	v_and_b32_e32 v26, 2, v6
	v_mov_b32_e32 v29, 0
	v_and_b32_e32 v2, -3, v6
	v_mov_b32_e32 v3, v7
	s_mov_b64 s[6:7], 0x4d
	v_mov_b32_e32 v34, 2
	v_mov_b32_e32 v35, 1
	s_branch .LBB3_28
.LBB3_27:                               ;   in Loop: Header=BB3_28 Depth=1
	s_or_b64 exec, exec, s[14:15]
	s_sub_u32 s6, s6, s10
	s_subb_u32 s7, s7, s11
	s_add_u32 s4, s4, s10
	s_addc_u32 s5, s5, s11
	s_cmp_lg_u64 s[6:7], 0
	s_cbranch_scc0 .LBB3_111
.LBB3_28:                               ; =>This Loop Header: Depth=1
                                        ;     Child Loop BB3_31 Depth 2
                                        ;     Child Loop BB3_39 Depth 2
	;; [unrolled: 1-line block ×11, first 2 shown]
	v_cmp_lt_u64_e64 s[0:1], s[6:7], 56
	s_and_b64 s[0:1], s[0:1], exec
	s_cselect_b32 s11, s7, 0
	s_cselect_b32 s10, s6, 56
	v_cmp_gt_u64_e64 s[12:13], s[6:7], 7
	s_add_u32 s0, s4, 8
	s_addc_u32 s1, s5, 0
	s_and_b64 vcc, exec, s[12:13]
	s_cbranch_vccnz .LBB3_32
; %bb.29:                               ;   in Loop: Header=BB3_28 Depth=1
	s_cmp_eq_u64 s[6:7], 0
	s_cbranch_scc1 .LBB3_33
; %bb.30:                               ;   in Loop: Header=BB3_28 Depth=1
	s_lshl_b64 s[0:1], s[10:11], 3
	s_mov_b64 s[12:13], 0
	v_mov_b64_e32 v[4:5], 0
	s_mov_b64 s[14:15], s[4:5]
.LBB3_31:                               ;   Parent Loop BB3_28 Depth=1
                                        ; =>  This Inner Loop Header: Depth=2
	global_load_ubyte v8, v29, s[14:15]
	s_waitcnt vmcnt(0)
	v_and_b32_e32 v28, 0xffff, v8
	v_lshlrev_b64 v[8:9], s12, v[28:29]
	s_add_u32 s12, s12, 8
	s_addc_u32 s13, s13, 0
	s_add_u32 s14, s14, 1
	s_addc_u32 s15, s15, 0
	v_or_b32_e32 v4, v8, v4
	s_cmp_lg_u32 s0, s12
	v_or_b32_e32 v5, v9, v5
	s_cbranch_scc1 .LBB3_31
	s_branch .LBB3_34
.LBB3_32:                               ;   in Loop: Header=BB3_28 Depth=1
	s_mov_b32 s16, 0
	s_branch .LBB3_35
.LBB3_33:                               ;   in Loop: Header=BB3_28 Depth=1
	v_mov_b64_e32 v[4:5], 0
.LBB3_34:                               ;   in Loop: Header=BB3_28 Depth=1
	s_mov_b64 s[0:1], s[4:5]
	s_mov_b32 s16, 0
	s_cbranch_execnz .LBB3_36
.LBB3_35:                               ;   in Loop: Header=BB3_28 Depth=1
	global_load_dwordx2 v[4:5], v29, s[4:5]
	s_add_i32 s16, s10, -8
.LBB3_36:                               ;   in Loop: Header=BB3_28 Depth=1
	s_add_u32 s12, s0, 8
	s_addc_u32 s13, s1, 0
	s_cmp_gt_u32 s16, 7
	s_cbranch_scc1 .LBB3_40
; %bb.37:                               ;   in Loop: Header=BB3_28 Depth=1
	s_cmp_eq_u32 s16, 0
	s_cbranch_scc1 .LBB3_41
; %bb.38:                               ;   in Loop: Header=BB3_28 Depth=1
	s_mov_b64 s[12:13], 0
	v_mov_b64_e32 v[8:9], 0
	s_mov_b64 s[14:15], 0
.LBB3_39:                               ;   Parent Loop BB3_28 Depth=1
                                        ; =>  This Inner Loop Header: Depth=2
	s_add_u32 s18, s0, s14
	s_addc_u32 s19, s1, s15
	global_load_ubyte v10, v29, s[18:19]
	s_add_u32 s14, s14, 1
	s_addc_u32 s15, s15, 0
	s_waitcnt vmcnt(0)
	v_and_b32_e32 v28, 0xffff, v10
	v_lshlrev_b64 v[10:11], s12, v[28:29]
	s_add_u32 s12, s12, 8
	s_addc_u32 s13, s13, 0
	v_or_b32_e32 v8, v10, v8
	s_cmp_lg_u32 s16, s14
	v_or_b32_e32 v9, v11, v9
	s_cbranch_scc1 .LBB3_39
	s_branch .LBB3_42
.LBB3_40:                               ;   in Loop: Header=BB3_28 Depth=1
                                        ; implicit-def: $vgpr8_vgpr9
	s_mov_b32 s17, 0
	s_branch .LBB3_43
.LBB3_41:                               ;   in Loop: Header=BB3_28 Depth=1
	v_mov_b64_e32 v[8:9], 0
.LBB3_42:                               ;   in Loop: Header=BB3_28 Depth=1
	s_mov_b64 s[12:13], s[0:1]
	s_mov_b32 s17, 0
	s_cbranch_execnz .LBB3_44
.LBB3_43:                               ;   in Loop: Header=BB3_28 Depth=1
	global_load_dwordx2 v[8:9], v29, s[0:1]
	s_add_i32 s17, s16, -8
.LBB3_44:                               ;   in Loop: Header=BB3_28 Depth=1
	s_add_u32 s0, s12, 8
	s_addc_u32 s1, s13, 0
	s_cmp_gt_u32 s17, 7
	s_cbranch_scc1 .LBB3_48
; %bb.45:                               ;   in Loop: Header=BB3_28 Depth=1
	s_cmp_eq_u32 s17, 0
	s_cbranch_scc1 .LBB3_49
; %bb.46:                               ;   in Loop: Header=BB3_28 Depth=1
	s_mov_b64 s[0:1], 0
	v_mov_b64_e32 v[10:11], 0
	s_mov_b64 s[14:15], 0
.LBB3_47:                               ;   Parent Loop BB3_28 Depth=1
                                        ; =>  This Inner Loop Header: Depth=2
	s_add_u32 s18, s12, s14
	s_addc_u32 s19, s13, s15
	global_load_ubyte v12, v29, s[18:19]
	s_add_u32 s14, s14, 1
	s_addc_u32 s15, s15, 0
	s_waitcnt vmcnt(0)
	v_and_b32_e32 v28, 0xffff, v12
	v_lshlrev_b64 v[12:13], s0, v[28:29]
	s_add_u32 s0, s0, 8
	s_addc_u32 s1, s1, 0
	v_or_b32_e32 v10, v12, v10
	s_cmp_lg_u32 s17, s14
	v_or_b32_e32 v11, v13, v11
	s_cbranch_scc1 .LBB3_47
	s_branch .LBB3_50
.LBB3_48:                               ;   in Loop: Header=BB3_28 Depth=1
	s_mov_b32 s16, 0
	s_branch .LBB3_51
.LBB3_49:                               ;   in Loop: Header=BB3_28 Depth=1
	v_mov_b64_e32 v[10:11], 0
.LBB3_50:                               ;   in Loop: Header=BB3_28 Depth=1
	s_mov_b64 s[0:1], s[12:13]
	s_mov_b32 s16, 0
	s_cbranch_execnz .LBB3_52
.LBB3_51:                               ;   in Loop: Header=BB3_28 Depth=1
	global_load_dwordx2 v[10:11], v29, s[12:13]
	s_add_i32 s16, s17, -8
.LBB3_52:                               ;   in Loop: Header=BB3_28 Depth=1
	s_add_u32 s12, s0, 8
	s_addc_u32 s13, s1, 0
	s_cmp_gt_u32 s16, 7
	s_cbranch_scc1 .LBB3_56
; %bb.53:                               ;   in Loop: Header=BB3_28 Depth=1
	s_cmp_eq_u32 s16, 0
	s_cbranch_scc1 .LBB3_57
; %bb.54:                               ;   in Loop: Header=BB3_28 Depth=1
	s_mov_b64 s[12:13], 0
	v_mov_b64_e32 v[12:13], 0
	s_mov_b64 s[14:15], 0
.LBB3_55:                               ;   Parent Loop BB3_28 Depth=1
                                        ; =>  This Inner Loop Header: Depth=2
	s_add_u32 s18, s0, s14
	s_addc_u32 s19, s1, s15
	global_load_ubyte v14, v29, s[18:19]
	s_add_u32 s14, s14, 1
	s_addc_u32 s15, s15, 0
	s_waitcnt vmcnt(0)
	v_and_b32_e32 v28, 0xffff, v14
	v_lshlrev_b64 v[14:15], s12, v[28:29]
	s_add_u32 s12, s12, 8
	s_addc_u32 s13, s13, 0
	v_or_b32_e32 v12, v14, v12
	s_cmp_lg_u32 s16, s14
	v_or_b32_e32 v13, v15, v13
	s_cbranch_scc1 .LBB3_55
	s_branch .LBB3_58
.LBB3_56:                               ;   in Loop: Header=BB3_28 Depth=1
                                        ; implicit-def: $vgpr12_vgpr13
	s_mov_b32 s17, 0
	s_branch .LBB3_59
.LBB3_57:                               ;   in Loop: Header=BB3_28 Depth=1
	v_mov_b64_e32 v[12:13], 0
.LBB3_58:                               ;   in Loop: Header=BB3_28 Depth=1
	s_mov_b64 s[12:13], s[0:1]
	s_mov_b32 s17, 0
	s_cbranch_execnz .LBB3_60
.LBB3_59:                               ;   in Loop: Header=BB3_28 Depth=1
	global_load_dwordx2 v[12:13], v29, s[0:1]
	s_add_i32 s17, s16, -8
.LBB3_60:                               ;   in Loop: Header=BB3_28 Depth=1
	s_add_u32 s0, s12, 8
	s_addc_u32 s1, s13, 0
	s_cmp_gt_u32 s17, 7
	s_cbranch_scc1 .LBB3_64
; %bb.61:                               ;   in Loop: Header=BB3_28 Depth=1
	s_cmp_eq_u32 s17, 0
	s_cbranch_scc1 .LBB3_65
; %bb.62:                               ;   in Loop: Header=BB3_28 Depth=1
	s_mov_b64 s[0:1], 0
	v_mov_b64_e32 v[14:15], 0
	s_mov_b64 s[14:15], 0
.LBB3_63:                               ;   Parent Loop BB3_28 Depth=1
                                        ; =>  This Inner Loop Header: Depth=2
	s_add_u32 s18, s12, s14
	s_addc_u32 s19, s13, s15
	global_load_ubyte v16, v29, s[18:19]
	s_add_u32 s14, s14, 1
	s_addc_u32 s15, s15, 0
	s_waitcnt vmcnt(0)
	v_and_b32_e32 v28, 0xffff, v16
	v_lshlrev_b64 v[16:17], s0, v[28:29]
	s_add_u32 s0, s0, 8
	s_addc_u32 s1, s1, 0
	v_or_b32_e32 v14, v16, v14
	s_cmp_lg_u32 s17, s14
	v_or_b32_e32 v15, v17, v15
	s_cbranch_scc1 .LBB3_63
	s_branch .LBB3_66
.LBB3_64:                               ;   in Loop: Header=BB3_28 Depth=1
	s_mov_b32 s16, 0
	s_branch .LBB3_67
.LBB3_65:                               ;   in Loop: Header=BB3_28 Depth=1
	v_mov_b64_e32 v[14:15], 0
.LBB3_66:                               ;   in Loop: Header=BB3_28 Depth=1
	s_mov_b64 s[0:1], s[12:13]
	s_mov_b32 s16, 0
	s_cbranch_execnz .LBB3_68
.LBB3_67:                               ;   in Loop: Header=BB3_28 Depth=1
	global_load_dwordx2 v[14:15], v29, s[12:13]
	s_add_i32 s16, s17, -8
.LBB3_68:                               ;   in Loop: Header=BB3_28 Depth=1
	s_add_u32 s12, s0, 8
	s_addc_u32 s13, s1, 0
	s_cmp_gt_u32 s16, 7
	s_cbranch_scc1 .LBB3_72
; %bb.69:                               ;   in Loop: Header=BB3_28 Depth=1
	s_cmp_eq_u32 s16, 0
	s_cbranch_scc1 .LBB3_73
; %bb.70:                               ;   in Loop: Header=BB3_28 Depth=1
	s_mov_b64 s[12:13], 0
	v_mov_b64_e32 v[16:17], 0
	s_mov_b64 s[14:15], 0
.LBB3_71:                               ;   Parent Loop BB3_28 Depth=1
                                        ; =>  This Inner Loop Header: Depth=2
	s_add_u32 s18, s0, s14
	s_addc_u32 s19, s1, s15
	global_load_ubyte v18, v29, s[18:19]
	s_add_u32 s14, s14, 1
	s_addc_u32 s15, s15, 0
	s_waitcnt vmcnt(0)
	v_and_b32_e32 v28, 0xffff, v18
	v_lshlrev_b64 v[18:19], s12, v[28:29]
	s_add_u32 s12, s12, 8
	s_addc_u32 s13, s13, 0
	v_or_b32_e32 v16, v18, v16
	s_cmp_lg_u32 s16, s14
	v_or_b32_e32 v17, v19, v17
	s_cbranch_scc1 .LBB3_71
	s_branch .LBB3_74
.LBB3_72:                               ;   in Loop: Header=BB3_28 Depth=1
                                        ; implicit-def: $vgpr16_vgpr17
	s_mov_b32 s17, 0
	s_branch .LBB3_75
.LBB3_73:                               ;   in Loop: Header=BB3_28 Depth=1
	v_mov_b64_e32 v[16:17], 0
.LBB3_74:                               ;   in Loop: Header=BB3_28 Depth=1
	s_mov_b64 s[12:13], s[0:1]
	s_mov_b32 s17, 0
	s_cbranch_execnz .LBB3_76
.LBB3_75:                               ;   in Loop: Header=BB3_28 Depth=1
	global_load_dwordx2 v[16:17], v29, s[0:1]
	s_add_i32 s17, s16, -8
.LBB3_76:                               ;   in Loop: Header=BB3_28 Depth=1
	s_cmp_gt_u32 s17, 7
	s_cbranch_scc1 .LBB3_80
; %bb.77:                               ;   in Loop: Header=BB3_28 Depth=1
	s_cmp_eq_u32 s17, 0
	s_cbranch_scc1 .LBB3_81
; %bb.78:                               ;   in Loop: Header=BB3_28 Depth=1
	s_mov_b64 s[0:1], 0
	v_mov_b64_e32 v[18:19], 0
	s_mov_b64 s[14:15], s[12:13]
.LBB3_79:                               ;   Parent Loop BB3_28 Depth=1
                                        ; =>  This Inner Loop Header: Depth=2
	global_load_ubyte v20, v29, s[14:15]
	s_add_i32 s17, s17, -1
	s_waitcnt vmcnt(0)
	v_and_b32_e32 v28, 0xffff, v20
	v_lshlrev_b64 v[20:21], s0, v[28:29]
	s_add_u32 s0, s0, 8
	s_addc_u32 s1, s1, 0
	s_add_u32 s14, s14, 1
	s_addc_u32 s15, s15, 0
	v_or_b32_e32 v18, v20, v18
	s_cmp_lg_u32 s17, 0
	v_or_b32_e32 v19, v21, v19
	s_cbranch_scc1 .LBB3_79
	s_branch .LBB3_82
.LBB3_80:                               ;   in Loop: Header=BB3_28 Depth=1
	s_branch .LBB3_83
.LBB3_81:                               ;   in Loop: Header=BB3_28 Depth=1
	v_mov_b64_e32 v[18:19], 0
.LBB3_82:                               ;   in Loop: Header=BB3_28 Depth=1
	s_cbranch_execnz .LBB3_84
.LBB3_83:                               ;   in Loop: Header=BB3_28 Depth=1
	global_load_dwordx2 v[18:19], v29, s[12:13]
.LBB3_84:                               ;   in Loop: Header=BB3_28 Depth=1
	v_readfirstlane_b32 s0, v1
	v_mov_b64_e32 v[30:31], 0
	s_nop 0
	v_cmp_eq_u32_e64 s[0:1], s0, v1
	s_and_saveexec_b64 s[12:13], s[0:1]
	s_cbranch_execz .LBB3_90
; %bb.85:                               ;   in Loop: Header=BB3_28 Depth=1
	global_load_dwordx2 v[22:23], v29, s[2:3] offset:24 sc0 sc1
	s_waitcnt vmcnt(0)
	buffer_inv sc0 sc1
	global_load_dwordx2 v[20:21], v29, s[2:3] offset:40
	global_load_dwordx2 v[30:31], v29, s[2:3]
	s_waitcnt vmcnt(1)
	v_and_b32_e32 v20, v20, v22
	v_and_b32_e32 v21, v21, v23
	v_mul_lo_u32 v21, v21, 24
	v_mul_hi_u32 v25, v20, 24
	v_add_u32_e32 v21, v25, v21
	v_mul_lo_u32 v20, v20, 24
	s_waitcnt vmcnt(0)
	v_lshl_add_u64 v[20:21], v[30:31], 0, v[20:21]
	global_load_dwordx2 v[20:21], v[20:21], off sc0 sc1
	s_waitcnt vmcnt(0)
	global_atomic_cmpswap_x2 v[30:31], v29, v[20:23], s[2:3] offset:24 sc0 sc1
	s_waitcnt vmcnt(0)
	buffer_inv sc0 sc1
	v_cmp_ne_u64_e32 vcc, v[30:31], v[22:23]
	s_and_saveexec_b64 s[14:15], vcc
	s_cbranch_execz .LBB3_89
; %bb.86:                               ;   in Loop: Header=BB3_28 Depth=1
	s_mov_b64 s[16:17], 0
.LBB3_87:                               ;   Parent Loop BB3_28 Depth=1
                                        ; =>  This Inner Loop Header: Depth=2
	s_sleep 1
	global_load_dwordx2 v[20:21], v29, s[2:3] offset:40
	global_load_dwordx2 v[32:33], v29, s[2:3]
	v_mov_b64_e32 v[22:23], v[30:31]
	s_waitcnt vmcnt(1)
	v_and_b32_e32 v20, v20, v22
	v_and_b32_e32 v25, v21, v23
	s_waitcnt vmcnt(0)
	v_mad_u64_u32 v[20:21], s[18:19], v20, 24, v[32:33]
	v_mov_b32_e32 v28, v21
	v_mad_u64_u32 v[30:31], s[18:19], v25, 24, v[28:29]
	v_mov_b32_e32 v21, v30
	global_load_dwordx2 v[20:21], v[20:21], off sc0 sc1
	s_waitcnt vmcnt(0)
	global_atomic_cmpswap_x2 v[30:31], v29, v[20:23], s[2:3] offset:24 sc0 sc1
	s_waitcnt vmcnt(0)
	buffer_inv sc0 sc1
	v_cmp_eq_u64_e32 vcc, v[30:31], v[22:23]
	s_or_b64 s[16:17], vcc, s[16:17]
	s_andn2_b64 exec, exec, s[16:17]
	s_cbranch_execnz .LBB3_87
; %bb.88:                               ;   in Loop: Header=BB3_28 Depth=1
	s_or_b64 exec, exec, s[16:17]
.LBB3_89:                               ;   in Loop: Header=BB3_28 Depth=1
	s_or_b64 exec, exec, s[14:15]
.LBB3_90:                               ;   in Loop: Header=BB3_28 Depth=1
	s_or_b64 exec, exec, s[12:13]
	global_load_dwordx2 v[32:33], v29, s[2:3] offset:40
	global_load_dwordx4 v[20:23], v29, s[2:3]
	v_readfirstlane_b32 s13, v31
	v_readfirstlane_b32 s12, v30
	s_mov_b64 s[14:15], exec
	s_waitcnt vmcnt(1)
	v_readfirstlane_b32 s16, v32
	v_readfirstlane_b32 s17, v33
	s_and_b64 s[16:17], s[16:17], s[12:13]
	s_mul_i32 s18, s17, 24
	s_mul_hi_u32 s19, s16, 24
	s_add_i32 s19, s19, s18
	s_mul_i32 s18, s16, 24
	s_waitcnt vmcnt(0)
	v_lshl_add_u64 v[30:31], v[20:21], 0, s[18:19]
	s_and_saveexec_b64 s[18:19], s[0:1]
	s_cbranch_execz .LBB3_92
; %bb.91:                               ;   in Loop: Header=BB3_28 Depth=1
	v_mov_b64_e32 v[32:33], s[14:15]
	global_store_dwordx4 v[30:31], v[32:35], off offset:8
.LBB3_92:                               ;   in Loop: Header=BB3_28 Depth=1
	s_or_b64 exec, exec, s[18:19]
	s_lshl_b64 s[14:15], s[16:17], 12
	v_lshl_add_u64 v[22:23], v[22:23], 0, s[14:15]
	v_cmp_lt_u64_e64 vcc, s[6:7], 57
	s_lshl_b32 s14, s10, 2
	s_add_i32 s14, s14, 28
	v_cndmask_b32_e32 v25, 0, v26, vcc
	v_and_b32_e32 v2, 0xffffff1f, v2
	s_and_b32 s14, s14, 0x1e0
	v_or_b32_e32 v2, v2, v25
	v_or_b32_e32 v2, s14, v2
	v_readfirstlane_b32 s14, v22
	v_readfirstlane_b32 s15, v23
	s_nop 4
	global_store_dwordx4 v24, v[2:5], s[14:15]
	global_store_dwordx4 v24, v[8:11], s[14:15] offset:16
	global_store_dwordx4 v24, v[12:15], s[14:15] offset:32
	;; [unrolled: 1-line block ×3, first 2 shown]
	s_and_saveexec_b64 s[14:15], s[0:1]
	s_cbranch_execz .LBB3_100
; %bb.93:                               ;   in Loop: Header=BB3_28 Depth=1
	global_load_dwordx2 v[12:13], v29, s[2:3] offset:32 sc0 sc1
	global_load_dwordx2 v[2:3], v29, s[2:3] offset:40
	v_mov_b32_e32 v10, s12
	v_mov_b32_e32 v11, s13
	s_waitcnt vmcnt(0)
	v_readfirstlane_b32 s16, v2
	v_readfirstlane_b32 s17, v3
	s_and_b64 s[16:17], s[16:17], s[12:13]
	s_mul_i32 s17, s17, 24
	s_mul_hi_u32 s18, s16, 24
	s_mul_i32 s16, s16, 24
	s_add_i32 s17, s18, s17
	v_lshl_add_u64 v[8:9], v[20:21], 0, s[16:17]
	global_store_dwordx2 v[8:9], v[12:13], off
	buffer_wbl2 sc0 sc1
	s_waitcnt vmcnt(0)
	global_atomic_cmpswap_x2 v[4:5], v29, v[10:13], s[2:3] offset:32 sc0 sc1
	s_waitcnt vmcnt(0)
	v_cmp_ne_u64_e32 vcc, v[4:5], v[12:13]
	s_and_saveexec_b64 s[16:17], vcc
	s_cbranch_execz .LBB3_96
; %bb.94:                               ;   in Loop: Header=BB3_28 Depth=1
	s_mov_b64 s[18:19], 0
.LBB3_95:                               ;   Parent Loop BB3_28 Depth=1
                                        ; =>  This Inner Loop Header: Depth=2
	s_sleep 1
	global_store_dwordx2 v[8:9], v[4:5], off
	v_mov_b32_e32 v2, s12
	v_mov_b32_e32 v3, s13
	buffer_wbl2 sc0 sc1
	s_waitcnt vmcnt(0)
	global_atomic_cmpswap_x2 v[2:3], v29, v[2:5], s[2:3] offset:32 sc0 sc1
	s_waitcnt vmcnt(0)
	v_cmp_eq_u64_e32 vcc, v[2:3], v[4:5]
	s_or_b64 s[18:19], vcc, s[18:19]
	v_mov_b64_e32 v[4:5], v[2:3]
	s_andn2_b64 exec, exec, s[18:19]
	s_cbranch_execnz .LBB3_95
.LBB3_96:                               ;   in Loop: Header=BB3_28 Depth=1
	s_or_b64 exec, exec, s[16:17]
	global_load_dwordx2 v[2:3], v29, s[2:3] offset:16
	s_mov_b64 s[18:19], exec
	v_mbcnt_lo_u32_b32 v4, s18, 0
	v_mbcnt_hi_u32_b32 v4, s19, v4
	v_cmp_eq_u32_e32 vcc, 0, v4
	s_and_saveexec_b64 s[16:17], vcc
	s_cbranch_execz .LBB3_98
; %bb.97:                               ;   in Loop: Header=BB3_28 Depth=1
	s_bcnt1_i32_b64 s18, s[18:19]
	v_mov_b32_e32 v28, s18
	buffer_wbl2 sc0 sc1
	s_waitcnt vmcnt(0)
	global_atomic_add_x2 v[2:3], v[28:29], off offset:8 sc1
.LBB3_98:                               ;   in Loop: Header=BB3_28 Depth=1
	s_or_b64 exec, exec, s[16:17]
	s_waitcnt vmcnt(0)
	global_load_dwordx2 v[4:5], v[2:3], off offset:16
	s_waitcnt vmcnt(0)
	v_cmp_eq_u64_e32 vcc, 0, v[4:5]
	s_cbranch_vccnz .LBB3_100
; %bb.99:                               ;   in Loop: Header=BB3_28 Depth=1
	global_load_dword v28, v[2:3], off offset:24
	s_waitcnt vmcnt(0)
	v_readfirstlane_b32 s16, v28
	s_and_b32 m0, s16, 0xffffff
	buffer_wbl2 sc0 sc1
	global_store_dwordx2 v[4:5], v[28:29], off sc0 sc1
	s_sendmsg sendmsg(MSG_INTERRUPT)
.LBB3_100:                              ;   in Loop: Header=BB3_28 Depth=1
	s_or_b64 exec, exec, s[14:15]
	v_mov_b32_e32 v25, v29
	v_lshl_add_u64 v[2:3], v[22:23], 0, v[24:25]
	s_branch .LBB3_104
.LBB3_101:                              ;   in Loop: Header=BB3_104 Depth=2
	s_or_b64 exec, exec, s[14:15]
	v_readfirstlane_b32 s14, v4
	s_cmp_eq_u32 s14, 0
	s_cbranch_scc1 .LBB3_103
; %bb.102:                              ;   in Loop: Header=BB3_104 Depth=2
	s_sleep 1
	s_cbranch_execnz .LBB3_104
	s_branch .LBB3_106
.LBB3_103:                              ;   in Loop: Header=BB3_28 Depth=1
	s_branch .LBB3_106
.LBB3_104:                              ;   Parent Loop BB3_28 Depth=1
                                        ; =>  This Inner Loop Header: Depth=2
	v_mov_b32_e32 v4, 1
	s_and_saveexec_b64 s[14:15], s[0:1]
	s_cbranch_execz .LBB3_101
; %bb.105:                              ;   in Loop: Header=BB3_104 Depth=2
	global_load_dword v4, v[30:31], off offset:20 sc0 sc1
	s_waitcnt vmcnt(0)
	buffer_inv sc0 sc1
	v_and_b32_e32 v4, 1, v4
	s_branch .LBB3_101
.LBB3_106:                              ;   in Loop: Header=BB3_28 Depth=1
	global_load_dwordx2 v[2:3], v[2:3], off
	s_and_saveexec_b64 s[14:15], s[0:1]
	s_cbranch_execz .LBB3_27
; %bb.107:                              ;   in Loop: Header=BB3_28 Depth=1
	global_load_dwordx2 v[4:5], v29, s[2:3] offset:40
	global_load_dwordx2 v[12:13], v29, s[2:3] offset:24 sc0 sc1
	global_load_dwordx2 v[8:9], v29, s[2:3]
	s_waitcnt vmcnt(2)
	v_readfirstlane_b32 s16, v4
	v_readfirstlane_b32 s17, v5
	s_add_u32 s18, s16, 1
	s_addc_u32 s19, s17, 0
	s_add_u32 s0, s18, s12
	s_addc_u32 s1, s19, s13
	s_cmp_eq_u64 s[0:1], 0
	s_cselect_b32 s1, s19, s1
	s_cselect_b32 s0, s18, s0
	s_and_b64 s[12:13], s[0:1], s[16:17]
	s_mul_i32 s13, s13, 24
	s_mul_hi_u32 s16, s12, 24
	s_mul_i32 s12, s12, 24
	s_add_i32 s13, s16, s13
	s_waitcnt vmcnt(0)
	v_lshl_add_u64 v[4:5], v[8:9], 0, s[12:13]
	v_mov_b32_e32 v10, s0
	global_store_dwordx2 v[4:5], v[12:13], off
	v_mov_b32_e32 v11, s1
	buffer_wbl2 sc0 sc1
	s_waitcnt vmcnt(0)
	global_atomic_cmpswap_x2 v[10:11], v29, v[10:13], s[2:3] offset:24 sc0 sc1
	s_waitcnt vmcnt(0)
	v_cmp_ne_u64_e32 vcc, v[10:11], v[12:13]
	s_and_b64 exec, exec, vcc
	s_cbranch_execz .LBB3_27
; %bb.108:                              ;   in Loop: Header=BB3_28 Depth=1
	s_mov_b64 s[12:13], 0
.LBB3_109:                              ;   Parent Loop BB3_28 Depth=1
                                        ; =>  This Inner Loop Header: Depth=2
	s_sleep 1
	global_store_dwordx2 v[4:5], v[10:11], off
	v_mov_b32_e32 v8, s0
	v_mov_b32_e32 v9, s1
	buffer_wbl2 sc0 sc1
	s_waitcnt vmcnt(0)
	global_atomic_cmpswap_x2 v[8:9], v29, v[8:11], s[2:3] offset:24 sc0 sc1
	s_waitcnt vmcnt(0)
	v_cmp_eq_u64_e32 vcc, v[8:9], v[10:11]
	s_or_b64 s[12:13], vcc, s[12:13]
	v_mov_b64_e32 v[10:11], v[8:9]
	s_andn2_b64 exec, exec, s[12:13]
	s_cbranch_execnz .LBB3_109
	s_branch .LBB3_27
.LBB3_110:
                                        ; implicit-def: $vgpr2_vgpr3
	s_cbranch_execnz .LBB3_112
	s_branch .LBB3_138
.LBB3_111:
	s_branch .LBB3_138
.LBB3_112:
	v_readfirstlane_b32 s0, v1
	v_mov_b64_e32 v[8:9], 0
	s_nop 0
	v_cmp_eq_u32_e64 s[0:1], s0, v1
	s_and_saveexec_b64 s[4:5], s[0:1]
	s_cbranch_execz .LBB3_118
; %bb.113:
	s_waitcnt vmcnt(0)
	v_mov_b32_e32 v2, 0
	global_load_dwordx2 v[10:11], v2, s[2:3] offset:24 sc0 sc1
	s_waitcnt vmcnt(0)
	buffer_inv sc0 sc1
	global_load_dwordx2 v[4:5], v2, s[2:3] offset:40
	global_load_dwordx2 v[8:9], v2, s[2:3]
	s_waitcnt vmcnt(1)
	v_and_b32_e32 v3, v4, v10
	v_and_b32_e32 v4, v5, v11
	v_mul_lo_u32 v4, v4, 24
	v_mul_hi_u32 v5, v3, 24
	v_add_u32_e32 v5, v5, v4
	v_mul_lo_u32 v4, v3, 24
	s_waitcnt vmcnt(0)
	v_lshl_add_u64 v[4:5], v[8:9], 0, v[4:5]
	global_load_dwordx2 v[8:9], v[4:5], off sc0 sc1
	s_waitcnt vmcnt(0)
	global_atomic_cmpswap_x2 v[8:9], v2, v[8:11], s[2:3] offset:24 sc0 sc1
	s_waitcnt vmcnt(0)
	buffer_inv sc0 sc1
	v_cmp_ne_u64_e32 vcc, v[8:9], v[10:11]
	s_and_saveexec_b64 s[6:7], vcc
	s_cbranch_execz .LBB3_117
; %bb.114:
	s_mov_b64 s[10:11], 0
.LBB3_115:                              ; =>This Inner Loop Header: Depth=1
	s_sleep 1
	global_load_dwordx2 v[4:5], v2, s[2:3] offset:40
	global_load_dwordx2 v[12:13], v2, s[2:3]
	v_mov_b64_e32 v[10:11], v[8:9]
	s_waitcnt vmcnt(1)
	v_and_b32_e32 v4, v4, v10
	v_and_b32_e32 v3, v5, v11
	s_waitcnt vmcnt(0)
	v_mad_u64_u32 v[4:5], s[12:13], v4, 24, v[12:13]
	v_mov_b32_e32 v8, v5
	v_mad_u64_u32 v[8:9], s[12:13], v3, 24, v[8:9]
	v_mov_b32_e32 v5, v8
	global_load_dwordx2 v[8:9], v[4:5], off sc0 sc1
	s_waitcnt vmcnt(0)
	global_atomic_cmpswap_x2 v[8:9], v2, v[8:11], s[2:3] offset:24 sc0 sc1
	s_waitcnt vmcnt(0)
	buffer_inv sc0 sc1
	v_cmp_eq_u64_e32 vcc, v[8:9], v[10:11]
	s_or_b64 s[10:11], vcc, s[10:11]
	s_andn2_b64 exec, exec, s[10:11]
	s_cbranch_execnz .LBB3_115
; %bb.116:
	s_or_b64 exec, exec, s[10:11]
.LBB3_117:
	s_or_b64 exec, exec, s[6:7]
.LBB3_118:
	s_or_b64 exec, exec, s[4:5]
	v_mov_b32_e32 v25, 0
	global_load_dwordx2 v[10:11], v25, s[2:3] offset:40
	global_load_dwordx4 v[2:5], v25, s[2:3]
	v_readfirstlane_b32 s5, v9
	v_readfirstlane_b32 s4, v8
	s_mov_b64 s[6:7], exec
	s_waitcnt vmcnt(1)
	v_readfirstlane_b32 s10, v10
	v_readfirstlane_b32 s11, v11
	s_and_b64 s[10:11], s[10:11], s[4:5]
	s_mul_i32 s12, s11, 24
	s_mul_hi_u32 s13, s10, 24
	s_add_i32 s13, s13, s12
	s_mul_i32 s12, s10, 24
	s_waitcnt vmcnt(0)
	v_lshl_add_u64 v[10:11], v[2:3], 0, s[12:13]
	s_and_saveexec_b64 s[12:13], s[0:1]
	s_cbranch_execz .LBB3_120
; %bb.119:
	v_mov_b64_e32 v[12:13], s[6:7]
	v_mov_b32_e32 v14, 2
	v_mov_b32_e32 v15, 1
	global_store_dwordx4 v[10:11], v[12:15], off offset:8
.LBB3_120:
	s_or_b64 exec, exec, s[12:13]
	s_lshl_b64 s[6:7], s[10:11], 12
	v_lshl_add_u64 v[12:13], v[4:5], 0, s[6:7]
	s_movk_i32 s6, 0xff1f
	s_mov_b32 s12, 0
	v_and_or_b32 v6, v6, s6, 32
	v_mov_b32_e32 v8, v25
	v_mov_b32_e32 v9, v25
	v_readfirstlane_b32 s6, v12
	v_readfirstlane_b32 s7, v13
	s_mov_b32 s13, s12
	s_mov_b32 s14, s12
	;; [unrolled: 1-line block ×3, first 2 shown]
	s_nop 1
	global_store_dwordx4 v24, v[6:9], s[6:7]
	v_mov_b64_e32 v[4:5], s[12:13]
	s_nop 0
	v_mov_b64_e32 v[6:7], s[14:15]
	global_store_dwordx4 v24, v[4:7], s[6:7] offset:16
	global_store_dwordx4 v24, v[4:7], s[6:7] offset:32
	global_store_dwordx4 v24, v[4:7], s[6:7] offset:48
	s_and_saveexec_b64 s[6:7], s[0:1]
	s_cbranch_execz .LBB3_128
; %bb.121:
	v_mov_b32_e32 v8, 0
	global_load_dwordx2 v[16:17], v8, s[2:3] offset:32 sc0 sc1
	global_load_dwordx2 v[4:5], v8, s[2:3] offset:40
	v_mov_b32_e32 v14, s4
	v_mov_b32_e32 v15, s5
	s_waitcnt vmcnt(0)
	v_readfirstlane_b32 s10, v4
	v_readfirstlane_b32 s11, v5
	s_and_b64 s[10:11], s[10:11], s[4:5]
	s_mul_i32 s11, s11, 24
	s_mul_hi_u32 s12, s10, 24
	s_mul_i32 s10, s10, 24
	s_add_i32 s11, s12, s11
	v_lshl_add_u64 v[6:7], v[2:3], 0, s[10:11]
	global_store_dwordx2 v[6:7], v[16:17], off
	buffer_wbl2 sc0 sc1
	s_waitcnt vmcnt(0)
	global_atomic_cmpswap_x2 v[4:5], v8, v[14:17], s[2:3] offset:32 sc0 sc1
	s_waitcnt vmcnt(0)
	v_cmp_ne_u64_e32 vcc, v[4:5], v[16:17]
	s_and_saveexec_b64 s[10:11], vcc
	s_cbranch_execz .LBB3_124
; %bb.122:
	s_mov_b64 s[12:13], 0
.LBB3_123:                              ; =>This Inner Loop Header: Depth=1
	s_sleep 1
	global_store_dwordx2 v[6:7], v[4:5], off
	v_mov_b32_e32 v2, s4
	v_mov_b32_e32 v3, s5
	buffer_wbl2 sc0 sc1
	s_waitcnt vmcnt(0)
	global_atomic_cmpswap_x2 v[2:3], v8, v[2:5], s[2:3] offset:32 sc0 sc1
	s_waitcnt vmcnt(0)
	v_cmp_eq_u64_e32 vcc, v[2:3], v[4:5]
	s_or_b64 s[12:13], vcc, s[12:13]
	v_mov_b64_e32 v[4:5], v[2:3]
	s_andn2_b64 exec, exec, s[12:13]
	s_cbranch_execnz .LBB3_123
.LBB3_124:
	s_or_b64 exec, exec, s[10:11]
	v_mov_b32_e32 v5, 0
	global_load_dwordx2 v[2:3], v5, s[2:3] offset:16
	s_mov_b64 s[10:11], exec
	v_mbcnt_lo_u32_b32 v4, s10, 0
	v_mbcnt_hi_u32_b32 v4, s11, v4
	v_cmp_eq_u32_e32 vcc, 0, v4
	s_and_saveexec_b64 s[12:13], vcc
	s_cbranch_execz .LBB3_126
; %bb.125:
	s_bcnt1_i32_b64 s10, s[10:11]
	v_mov_b32_e32 v4, s10
	buffer_wbl2 sc0 sc1
	s_waitcnt vmcnt(0)
	global_atomic_add_x2 v[2:3], v[4:5], off offset:8 sc1
.LBB3_126:
	s_or_b64 exec, exec, s[12:13]
	s_waitcnt vmcnt(0)
	global_load_dwordx2 v[4:5], v[2:3], off offset:16
	s_waitcnt vmcnt(0)
	v_cmp_eq_u64_e32 vcc, 0, v[4:5]
	s_cbranch_vccnz .LBB3_128
; %bb.127:
	global_load_dword v2, v[2:3], off offset:24
	v_mov_b32_e32 v3, 0
	s_waitcnt vmcnt(0)
	v_readfirstlane_b32 s10, v2
	s_and_b32 m0, s10, 0xffffff
	buffer_wbl2 sc0 sc1
	global_store_dwordx2 v[4:5], v[2:3], off sc0 sc1
	s_sendmsg sendmsg(MSG_INTERRUPT)
.LBB3_128:
	s_or_b64 exec, exec, s[6:7]
	v_lshl_add_u64 v[2:3], v[12:13], 0, v[24:25]
	s_branch .LBB3_132
.LBB3_129:                              ;   in Loop: Header=BB3_132 Depth=1
	s_or_b64 exec, exec, s[6:7]
	v_readfirstlane_b32 s6, v4
	s_cmp_eq_u32 s6, 0
	s_cbranch_scc1 .LBB3_131
; %bb.130:                              ;   in Loop: Header=BB3_132 Depth=1
	s_sleep 1
	s_cbranch_execnz .LBB3_132
	s_branch .LBB3_134
.LBB3_131:
	s_branch .LBB3_134
.LBB3_132:                              ; =>This Inner Loop Header: Depth=1
	v_mov_b32_e32 v4, 1
	s_and_saveexec_b64 s[6:7], s[0:1]
	s_cbranch_execz .LBB3_129
; %bb.133:                              ;   in Loop: Header=BB3_132 Depth=1
	global_load_dword v4, v[10:11], off offset:20 sc0 sc1
	s_waitcnt vmcnt(0)
	buffer_inv sc0 sc1
	v_and_b32_e32 v4, 1, v4
	s_branch .LBB3_129
.LBB3_134:
	global_load_dwordx2 v[2:3], v[2:3], off
	s_and_saveexec_b64 s[6:7], s[0:1]
	s_cbranch_execz .LBB3_137
; %bb.135:
	v_mov_b32_e32 v10, 0
	global_load_dwordx2 v[4:5], v10, s[2:3] offset:40
	global_load_dwordx2 v[14:15], v10, s[2:3] offset:24 sc0 sc1
	global_load_dwordx2 v[6:7], v10, s[2:3]
	s_waitcnt vmcnt(2)
	v_readfirstlane_b32 s10, v4
	v_readfirstlane_b32 s11, v5
	s_add_u32 s12, s10, 1
	s_addc_u32 s13, s11, 0
	s_add_u32 s0, s12, s4
	s_addc_u32 s1, s13, s5
	s_cmp_eq_u64 s[0:1], 0
	s_cselect_b32 s1, s13, s1
	s_cselect_b32 s0, s12, s0
	s_and_b64 s[4:5], s[0:1], s[10:11]
	s_mul_i32 s5, s5, 24
	s_mul_hi_u32 s10, s4, 24
	s_mul_i32 s4, s4, 24
	s_add_i32 s5, s10, s5
	s_waitcnt vmcnt(0)
	v_lshl_add_u64 v[8:9], v[6:7], 0, s[4:5]
	v_mov_b32_e32 v12, s0
	global_store_dwordx2 v[8:9], v[14:15], off
	v_mov_b32_e32 v13, s1
	buffer_wbl2 sc0 sc1
	s_waitcnt vmcnt(0)
	global_atomic_cmpswap_x2 v[6:7], v10, v[12:15], s[2:3] offset:24 sc0 sc1
	s_mov_b64 s[4:5], 0
	s_waitcnt vmcnt(0)
	v_cmp_ne_u64_e32 vcc, v[6:7], v[14:15]
	s_and_b64 exec, exec, vcc
	s_cbranch_execz .LBB3_137
.LBB3_136:                              ; =>This Inner Loop Header: Depth=1
	s_sleep 1
	global_store_dwordx2 v[8:9], v[6:7], off
	v_mov_b32_e32 v4, s0
	v_mov_b32_e32 v5, s1
	buffer_wbl2 sc0 sc1
	s_waitcnt vmcnt(0)
	global_atomic_cmpswap_x2 v[4:5], v10, v[4:7], s[2:3] offset:24 sc0 sc1
	s_waitcnt vmcnt(0)
	v_cmp_eq_u64_e32 vcc, v[4:5], v[6:7]
	s_or_b64 s[4:5], vcc, s[4:5]
	v_mov_b64_e32 v[6:7], v[4:5]
	s_andn2_b64 exec, exec, s[4:5]
	s_cbranch_execnz .LBB3_136
.LBB3_137:
	s_or_b64 exec, exec, s[6:7]
.LBB3_138:
	s_getpc_b64 s[4:5]
	s_add_u32 s4, s4, .str.3@rel32@lo+4
	s_addc_u32 s5, s5, .str.3@rel32@hi+12
	s_cmp_lg_u64 s[4:5], 0
	s_cselect_b64 s[0:1], -1, 0
	s_cmp_eq_u64 s[4:5], 0
	s_mov_b64 s[4:5], 0
	s_cbranch_scc1 .LBB3_142
; %bb.139:
	v_mov_b32_e32 v4, 0
	s_getpc_b64 s[4:5]
	s_add_u32 s4, s4, .str.3@rel32@lo+3
	s_addc_u32 s5, s5, .str.3@rel32@hi+11
.LBB3_140:                              ; =>This Inner Loop Header: Depth=1
	global_load_ubyte v5, v4, s[4:5] offset:1
	s_add_u32 s6, s4, 1
	s_addc_u32 s7, s5, 0
	s_mov_b64 s[4:5], s[6:7]
	s_waitcnt vmcnt(0)
	v_cmp_ne_u32_e32 vcc, 0, v5
	s_cbranch_vccnz .LBB3_140
; %bb.141:
	s_getpc_b64 s[4:5]
	s_add_u32 s4, s4, .str.3@rel32@lo+4
	s_addc_u32 s5, s5, .str.3@rel32@hi+12
	s_sub_u32 s4, s6, s4
	s_subb_u32 s5, s7, s5
	s_add_u32 s4, s4, 1
	s_addc_u32 s5, s5, 0
.LBB3_142:
	s_and_b64 vcc, exec, s[0:1]
	s_cbranch_vccz .LBB3_227
; %bb.143:
	s_waitcnt vmcnt(0)
	v_and_b32_e32 v26, 2, v2
	v_mov_b32_e32 v29, 0
	v_and_b32_e32 v4, -3, v2
	v_mov_b32_e32 v5, v3
	v_mov_b32_e32 v34, 2
	;; [unrolled: 1-line block ×3, first 2 shown]
	s_getpc_b64 s[6:7]
	s_add_u32 s6, s6, .str.3@rel32@lo+4
	s_addc_u32 s7, s7, .str.3@rel32@hi+12
	s_branch .LBB3_145
.LBB3_144:                              ;   in Loop: Header=BB3_145 Depth=1
	s_or_b64 exec, exec, s[14:15]
	s_sub_u32 s4, s4, s10
	s_subb_u32 s5, s5, s11
	s_add_u32 s6, s6, s10
	s_addc_u32 s7, s7, s11
	s_cmp_lg_u64 s[4:5], 0
	s_cbranch_scc0 .LBB3_228
.LBB3_145:                              ; =>This Loop Header: Depth=1
                                        ;     Child Loop BB3_148 Depth 2
                                        ;     Child Loop BB3_156 Depth 2
	;; [unrolled: 1-line block ×11, first 2 shown]
	v_cmp_lt_u64_e64 s[0:1], s[4:5], 56
	s_and_b64 s[0:1], s[0:1], exec
	s_cselect_b32 s11, s5, 0
	s_cselect_b32 s10, s4, 56
	v_cmp_gt_u64_e64 s[12:13], s[4:5], 7
	s_add_u32 s0, s6, 8
	s_addc_u32 s1, s7, 0
	s_and_b64 vcc, exec, s[12:13]
	s_cbranch_vccnz .LBB3_149
; %bb.146:                              ;   in Loop: Header=BB3_145 Depth=1
	s_cmp_eq_u64 s[4:5], 0
	s_cbranch_scc1 .LBB3_150
; %bb.147:                              ;   in Loop: Header=BB3_145 Depth=1
	s_lshl_b64 s[0:1], s[10:11], 3
	s_mov_b64 s[12:13], 0
	v_mov_b64_e32 v[6:7], 0
	s_mov_b64 s[14:15], s[6:7]
.LBB3_148:                              ;   Parent Loop BB3_145 Depth=1
                                        ; =>  This Inner Loop Header: Depth=2
	global_load_ubyte v8, v29, s[14:15]
	s_waitcnt vmcnt(0)
	v_and_b32_e32 v28, 0xffff, v8
	v_lshlrev_b64 v[8:9], s12, v[28:29]
	s_add_u32 s12, s12, 8
	s_addc_u32 s13, s13, 0
	s_add_u32 s14, s14, 1
	s_addc_u32 s15, s15, 0
	v_or_b32_e32 v6, v8, v6
	s_cmp_lg_u32 s0, s12
	v_or_b32_e32 v7, v9, v7
	s_cbranch_scc1 .LBB3_148
	s_branch .LBB3_151
.LBB3_149:                              ;   in Loop: Header=BB3_145 Depth=1
	s_mov_b32 s16, 0
	s_branch .LBB3_152
.LBB3_150:                              ;   in Loop: Header=BB3_145 Depth=1
	v_mov_b64_e32 v[6:7], 0
.LBB3_151:                              ;   in Loop: Header=BB3_145 Depth=1
	s_mov_b64 s[0:1], s[6:7]
	s_mov_b32 s16, 0
	s_cbranch_execnz .LBB3_153
.LBB3_152:                              ;   in Loop: Header=BB3_145 Depth=1
	global_load_dwordx2 v[6:7], v29, s[6:7]
	s_add_i32 s16, s10, -8
.LBB3_153:                              ;   in Loop: Header=BB3_145 Depth=1
	s_add_u32 s12, s0, 8
	s_addc_u32 s13, s1, 0
	s_cmp_gt_u32 s16, 7
	s_cbranch_scc1 .LBB3_157
; %bb.154:                              ;   in Loop: Header=BB3_145 Depth=1
	s_cmp_eq_u32 s16, 0
	s_cbranch_scc1 .LBB3_158
; %bb.155:                              ;   in Loop: Header=BB3_145 Depth=1
	s_mov_b64 s[12:13], 0
	v_mov_b64_e32 v[8:9], 0
	s_mov_b64 s[14:15], 0
.LBB3_156:                              ;   Parent Loop BB3_145 Depth=1
                                        ; =>  This Inner Loop Header: Depth=2
	s_add_u32 s18, s0, s14
	s_addc_u32 s19, s1, s15
	global_load_ubyte v10, v29, s[18:19]
	s_add_u32 s14, s14, 1
	s_addc_u32 s15, s15, 0
	s_waitcnt vmcnt(0)
	v_and_b32_e32 v28, 0xffff, v10
	v_lshlrev_b64 v[10:11], s12, v[28:29]
	s_add_u32 s12, s12, 8
	s_addc_u32 s13, s13, 0
	v_or_b32_e32 v8, v10, v8
	s_cmp_lg_u32 s16, s14
	v_or_b32_e32 v9, v11, v9
	s_cbranch_scc1 .LBB3_156
	s_branch .LBB3_159
.LBB3_157:                              ;   in Loop: Header=BB3_145 Depth=1
                                        ; implicit-def: $vgpr8_vgpr9
	s_mov_b32 s17, 0
	s_branch .LBB3_160
.LBB3_158:                              ;   in Loop: Header=BB3_145 Depth=1
	v_mov_b64_e32 v[8:9], 0
.LBB3_159:                              ;   in Loop: Header=BB3_145 Depth=1
	s_mov_b64 s[12:13], s[0:1]
	s_mov_b32 s17, 0
	s_cbranch_execnz .LBB3_161
.LBB3_160:                              ;   in Loop: Header=BB3_145 Depth=1
	global_load_dwordx2 v[8:9], v29, s[0:1]
	s_add_i32 s17, s16, -8
.LBB3_161:                              ;   in Loop: Header=BB3_145 Depth=1
	s_add_u32 s0, s12, 8
	s_addc_u32 s1, s13, 0
	s_cmp_gt_u32 s17, 7
	s_cbranch_scc1 .LBB3_165
; %bb.162:                              ;   in Loop: Header=BB3_145 Depth=1
	s_cmp_eq_u32 s17, 0
	s_cbranch_scc1 .LBB3_166
; %bb.163:                              ;   in Loop: Header=BB3_145 Depth=1
	s_mov_b64 s[0:1], 0
	v_mov_b64_e32 v[10:11], 0
	s_mov_b64 s[14:15], 0
.LBB3_164:                              ;   Parent Loop BB3_145 Depth=1
                                        ; =>  This Inner Loop Header: Depth=2
	s_add_u32 s18, s12, s14
	s_addc_u32 s19, s13, s15
	global_load_ubyte v12, v29, s[18:19]
	s_add_u32 s14, s14, 1
	s_addc_u32 s15, s15, 0
	s_waitcnt vmcnt(0)
	v_and_b32_e32 v28, 0xffff, v12
	v_lshlrev_b64 v[12:13], s0, v[28:29]
	s_add_u32 s0, s0, 8
	s_addc_u32 s1, s1, 0
	v_or_b32_e32 v10, v12, v10
	s_cmp_lg_u32 s17, s14
	v_or_b32_e32 v11, v13, v11
	s_cbranch_scc1 .LBB3_164
	s_branch .LBB3_167
.LBB3_165:                              ;   in Loop: Header=BB3_145 Depth=1
	s_mov_b32 s16, 0
	s_branch .LBB3_168
.LBB3_166:                              ;   in Loop: Header=BB3_145 Depth=1
	v_mov_b64_e32 v[10:11], 0
.LBB3_167:                              ;   in Loop: Header=BB3_145 Depth=1
	s_mov_b64 s[0:1], s[12:13]
	s_mov_b32 s16, 0
	s_cbranch_execnz .LBB3_169
.LBB3_168:                              ;   in Loop: Header=BB3_145 Depth=1
	global_load_dwordx2 v[10:11], v29, s[12:13]
	s_add_i32 s16, s17, -8
.LBB3_169:                              ;   in Loop: Header=BB3_145 Depth=1
	s_add_u32 s12, s0, 8
	s_addc_u32 s13, s1, 0
	s_cmp_gt_u32 s16, 7
	s_cbranch_scc1 .LBB3_173
; %bb.170:                              ;   in Loop: Header=BB3_145 Depth=1
	s_cmp_eq_u32 s16, 0
	s_cbranch_scc1 .LBB3_174
; %bb.171:                              ;   in Loop: Header=BB3_145 Depth=1
	s_mov_b64 s[12:13], 0
	v_mov_b64_e32 v[12:13], 0
	s_mov_b64 s[14:15], 0
.LBB3_172:                              ;   Parent Loop BB3_145 Depth=1
                                        ; =>  This Inner Loop Header: Depth=2
	s_add_u32 s18, s0, s14
	s_addc_u32 s19, s1, s15
	global_load_ubyte v14, v29, s[18:19]
	s_add_u32 s14, s14, 1
	s_addc_u32 s15, s15, 0
	s_waitcnt vmcnt(0)
	v_and_b32_e32 v28, 0xffff, v14
	v_lshlrev_b64 v[14:15], s12, v[28:29]
	s_add_u32 s12, s12, 8
	s_addc_u32 s13, s13, 0
	v_or_b32_e32 v12, v14, v12
	s_cmp_lg_u32 s16, s14
	v_or_b32_e32 v13, v15, v13
	s_cbranch_scc1 .LBB3_172
	s_branch .LBB3_175
.LBB3_173:                              ;   in Loop: Header=BB3_145 Depth=1
                                        ; implicit-def: $vgpr12_vgpr13
	s_mov_b32 s17, 0
	s_branch .LBB3_176
.LBB3_174:                              ;   in Loop: Header=BB3_145 Depth=1
	v_mov_b64_e32 v[12:13], 0
.LBB3_175:                              ;   in Loop: Header=BB3_145 Depth=1
	s_mov_b64 s[12:13], s[0:1]
	s_mov_b32 s17, 0
	s_cbranch_execnz .LBB3_177
.LBB3_176:                              ;   in Loop: Header=BB3_145 Depth=1
	global_load_dwordx2 v[12:13], v29, s[0:1]
	s_add_i32 s17, s16, -8
.LBB3_177:                              ;   in Loop: Header=BB3_145 Depth=1
	s_add_u32 s0, s12, 8
	s_addc_u32 s1, s13, 0
	s_cmp_gt_u32 s17, 7
	s_cbranch_scc1 .LBB3_181
; %bb.178:                              ;   in Loop: Header=BB3_145 Depth=1
	s_cmp_eq_u32 s17, 0
	s_cbranch_scc1 .LBB3_182
; %bb.179:                              ;   in Loop: Header=BB3_145 Depth=1
	s_mov_b64 s[0:1], 0
	v_mov_b64_e32 v[14:15], 0
	s_mov_b64 s[14:15], 0
.LBB3_180:                              ;   Parent Loop BB3_145 Depth=1
                                        ; =>  This Inner Loop Header: Depth=2
	s_add_u32 s18, s12, s14
	s_addc_u32 s19, s13, s15
	global_load_ubyte v16, v29, s[18:19]
	s_add_u32 s14, s14, 1
	s_addc_u32 s15, s15, 0
	s_waitcnt vmcnt(0)
	v_and_b32_e32 v28, 0xffff, v16
	v_lshlrev_b64 v[16:17], s0, v[28:29]
	s_add_u32 s0, s0, 8
	s_addc_u32 s1, s1, 0
	v_or_b32_e32 v14, v16, v14
	s_cmp_lg_u32 s17, s14
	v_or_b32_e32 v15, v17, v15
	s_cbranch_scc1 .LBB3_180
	s_branch .LBB3_183
.LBB3_181:                              ;   in Loop: Header=BB3_145 Depth=1
	s_mov_b32 s16, 0
	s_branch .LBB3_184
.LBB3_182:                              ;   in Loop: Header=BB3_145 Depth=1
	v_mov_b64_e32 v[14:15], 0
.LBB3_183:                              ;   in Loop: Header=BB3_145 Depth=1
	s_mov_b64 s[0:1], s[12:13]
	s_mov_b32 s16, 0
	s_cbranch_execnz .LBB3_185
.LBB3_184:                              ;   in Loop: Header=BB3_145 Depth=1
	global_load_dwordx2 v[14:15], v29, s[12:13]
	s_add_i32 s16, s17, -8
.LBB3_185:                              ;   in Loop: Header=BB3_145 Depth=1
	s_add_u32 s12, s0, 8
	s_addc_u32 s13, s1, 0
	s_cmp_gt_u32 s16, 7
	s_cbranch_scc1 .LBB3_189
; %bb.186:                              ;   in Loop: Header=BB3_145 Depth=1
	s_cmp_eq_u32 s16, 0
	s_cbranch_scc1 .LBB3_190
; %bb.187:                              ;   in Loop: Header=BB3_145 Depth=1
	s_mov_b64 s[12:13], 0
	v_mov_b64_e32 v[16:17], 0
	s_mov_b64 s[14:15], 0
.LBB3_188:                              ;   Parent Loop BB3_145 Depth=1
                                        ; =>  This Inner Loop Header: Depth=2
	s_add_u32 s18, s0, s14
	s_addc_u32 s19, s1, s15
	global_load_ubyte v18, v29, s[18:19]
	s_add_u32 s14, s14, 1
	s_addc_u32 s15, s15, 0
	s_waitcnt vmcnt(0)
	v_and_b32_e32 v28, 0xffff, v18
	v_lshlrev_b64 v[18:19], s12, v[28:29]
	s_add_u32 s12, s12, 8
	s_addc_u32 s13, s13, 0
	v_or_b32_e32 v16, v18, v16
	s_cmp_lg_u32 s16, s14
	v_or_b32_e32 v17, v19, v17
	s_cbranch_scc1 .LBB3_188
	s_branch .LBB3_191
.LBB3_189:                              ;   in Loop: Header=BB3_145 Depth=1
                                        ; implicit-def: $vgpr16_vgpr17
	s_mov_b32 s17, 0
	s_branch .LBB3_192
.LBB3_190:                              ;   in Loop: Header=BB3_145 Depth=1
	v_mov_b64_e32 v[16:17], 0
.LBB3_191:                              ;   in Loop: Header=BB3_145 Depth=1
	s_mov_b64 s[12:13], s[0:1]
	s_mov_b32 s17, 0
	s_cbranch_execnz .LBB3_193
.LBB3_192:                              ;   in Loop: Header=BB3_145 Depth=1
	global_load_dwordx2 v[16:17], v29, s[0:1]
	s_add_i32 s17, s16, -8
.LBB3_193:                              ;   in Loop: Header=BB3_145 Depth=1
	s_cmp_gt_u32 s17, 7
	s_cbranch_scc1 .LBB3_197
; %bb.194:                              ;   in Loop: Header=BB3_145 Depth=1
	s_cmp_eq_u32 s17, 0
	s_cbranch_scc1 .LBB3_198
; %bb.195:                              ;   in Loop: Header=BB3_145 Depth=1
	s_mov_b64 s[0:1], 0
	v_mov_b64_e32 v[18:19], 0
	s_mov_b64 s[14:15], s[12:13]
.LBB3_196:                              ;   Parent Loop BB3_145 Depth=1
                                        ; =>  This Inner Loop Header: Depth=2
	global_load_ubyte v20, v29, s[14:15]
	s_add_i32 s17, s17, -1
	s_waitcnt vmcnt(0)
	v_and_b32_e32 v28, 0xffff, v20
	v_lshlrev_b64 v[20:21], s0, v[28:29]
	s_add_u32 s0, s0, 8
	s_addc_u32 s1, s1, 0
	s_add_u32 s14, s14, 1
	s_addc_u32 s15, s15, 0
	v_or_b32_e32 v18, v20, v18
	s_cmp_lg_u32 s17, 0
	v_or_b32_e32 v19, v21, v19
	s_cbranch_scc1 .LBB3_196
	s_branch .LBB3_199
.LBB3_197:                              ;   in Loop: Header=BB3_145 Depth=1
	s_branch .LBB3_200
.LBB3_198:                              ;   in Loop: Header=BB3_145 Depth=1
	v_mov_b64_e32 v[18:19], 0
.LBB3_199:                              ;   in Loop: Header=BB3_145 Depth=1
	s_cbranch_execnz .LBB3_201
.LBB3_200:                              ;   in Loop: Header=BB3_145 Depth=1
	global_load_dwordx2 v[18:19], v29, s[12:13]
.LBB3_201:                              ;   in Loop: Header=BB3_145 Depth=1
	v_readfirstlane_b32 s0, v1
	v_mov_b64_e32 v[30:31], 0
	s_nop 0
	v_cmp_eq_u32_e64 s[0:1], s0, v1
	s_and_saveexec_b64 s[12:13], s[0:1]
	s_cbranch_execz .LBB3_207
; %bb.202:                              ;   in Loop: Header=BB3_145 Depth=1
	global_load_dwordx2 v[22:23], v29, s[2:3] offset:24 sc0 sc1
	s_waitcnt vmcnt(0)
	buffer_inv sc0 sc1
	global_load_dwordx2 v[20:21], v29, s[2:3] offset:40
	global_load_dwordx2 v[30:31], v29, s[2:3]
	s_waitcnt vmcnt(1)
	v_and_b32_e32 v20, v20, v22
	v_and_b32_e32 v21, v21, v23
	v_mul_lo_u32 v21, v21, 24
	v_mul_hi_u32 v25, v20, 24
	v_add_u32_e32 v21, v25, v21
	v_mul_lo_u32 v20, v20, 24
	s_waitcnt vmcnt(0)
	v_lshl_add_u64 v[20:21], v[30:31], 0, v[20:21]
	global_load_dwordx2 v[20:21], v[20:21], off sc0 sc1
	s_waitcnt vmcnt(0)
	global_atomic_cmpswap_x2 v[30:31], v29, v[20:23], s[2:3] offset:24 sc0 sc1
	s_waitcnt vmcnt(0)
	buffer_inv sc0 sc1
	v_cmp_ne_u64_e32 vcc, v[30:31], v[22:23]
	s_and_saveexec_b64 s[14:15], vcc
	s_cbranch_execz .LBB3_206
; %bb.203:                              ;   in Loop: Header=BB3_145 Depth=1
	s_mov_b64 s[16:17], 0
.LBB3_204:                              ;   Parent Loop BB3_145 Depth=1
                                        ; =>  This Inner Loop Header: Depth=2
	s_sleep 1
	global_load_dwordx2 v[20:21], v29, s[2:3] offset:40
	global_load_dwordx2 v[32:33], v29, s[2:3]
	v_mov_b64_e32 v[22:23], v[30:31]
	s_waitcnt vmcnt(1)
	v_and_b32_e32 v20, v20, v22
	v_and_b32_e32 v25, v21, v23
	s_waitcnt vmcnt(0)
	v_mad_u64_u32 v[20:21], s[18:19], v20, 24, v[32:33]
	v_mov_b32_e32 v28, v21
	v_mad_u64_u32 v[30:31], s[18:19], v25, 24, v[28:29]
	v_mov_b32_e32 v21, v30
	global_load_dwordx2 v[20:21], v[20:21], off sc0 sc1
	s_waitcnt vmcnt(0)
	global_atomic_cmpswap_x2 v[30:31], v29, v[20:23], s[2:3] offset:24 sc0 sc1
	s_waitcnt vmcnt(0)
	buffer_inv sc0 sc1
	v_cmp_eq_u64_e32 vcc, v[30:31], v[22:23]
	s_or_b64 s[16:17], vcc, s[16:17]
	s_andn2_b64 exec, exec, s[16:17]
	s_cbranch_execnz .LBB3_204
; %bb.205:                              ;   in Loop: Header=BB3_145 Depth=1
	s_or_b64 exec, exec, s[16:17]
.LBB3_206:                              ;   in Loop: Header=BB3_145 Depth=1
	s_or_b64 exec, exec, s[14:15]
.LBB3_207:                              ;   in Loop: Header=BB3_145 Depth=1
	s_or_b64 exec, exec, s[12:13]
	global_load_dwordx2 v[32:33], v29, s[2:3] offset:40
	global_load_dwordx4 v[20:23], v29, s[2:3]
	v_readfirstlane_b32 s13, v31
	v_readfirstlane_b32 s12, v30
	s_mov_b64 s[14:15], exec
	s_waitcnt vmcnt(1)
	v_readfirstlane_b32 s16, v32
	v_readfirstlane_b32 s17, v33
	s_and_b64 s[16:17], s[16:17], s[12:13]
	s_mul_i32 s18, s17, 24
	s_mul_hi_u32 s19, s16, 24
	s_add_i32 s19, s19, s18
	s_mul_i32 s18, s16, 24
	s_waitcnt vmcnt(0)
	v_lshl_add_u64 v[30:31], v[20:21], 0, s[18:19]
	s_and_saveexec_b64 s[18:19], s[0:1]
	s_cbranch_execz .LBB3_209
; %bb.208:                              ;   in Loop: Header=BB3_145 Depth=1
	v_mov_b64_e32 v[32:33], s[14:15]
	global_store_dwordx4 v[30:31], v[32:35], off offset:8
.LBB3_209:                              ;   in Loop: Header=BB3_145 Depth=1
	s_or_b64 exec, exec, s[18:19]
	s_lshl_b64 s[14:15], s[16:17], 12
	v_lshl_add_u64 v[22:23], v[22:23], 0, s[14:15]
	v_cmp_lt_u64_e64 vcc, s[4:5], 57
	s_lshl_b32 s14, s10, 2
	s_add_i32 s14, s14, 28
	v_cndmask_b32_e32 v25, 0, v26, vcc
	v_and_b32_e32 v4, 0xffffff1f, v4
	s_and_b32 s14, s14, 0x1e0
	v_or_b32_e32 v4, v4, v25
	v_or_b32_e32 v4, s14, v4
	v_readfirstlane_b32 s14, v22
	v_readfirstlane_b32 s15, v23
	s_nop 4
	global_store_dwordx4 v24, v[4:7], s[14:15]
	global_store_dwordx4 v24, v[8:11], s[14:15] offset:16
	global_store_dwordx4 v24, v[12:15], s[14:15] offset:32
	;; [unrolled: 1-line block ×3, first 2 shown]
	s_and_saveexec_b64 s[14:15], s[0:1]
	s_cbranch_execz .LBB3_217
; %bb.210:                              ;   in Loop: Header=BB3_145 Depth=1
	global_load_dwordx2 v[12:13], v29, s[2:3] offset:32 sc0 sc1
	global_load_dwordx2 v[4:5], v29, s[2:3] offset:40
	v_mov_b32_e32 v10, s12
	v_mov_b32_e32 v11, s13
	s_waitcnt vmcnt(0)
	v_readfirstlane_b32 s16, v4
	v_readfirstlane_b32 s17, v5
	s_and_b64 s[16:17], s[16:17], s[12:13]
	s_mul_i32 s17, s17, 24
	s_mul_hi_u32 s18, s16, 24
	s_mul_i32 s16, s16, 24
	s_add_i32 s17, s18, s17
	v_lshl_add_u64 v[8:9], v[20:21], 0, s[16:17]
	global_store_dwordx2 v[8:9], v[12:13], off
	buffer_wbl2 sc0 sc1
	s_waitcnt vmcnt(0)
	global_atomic_cmpswap_x2 v[6:7], v29, v[10:13], s[2:3] offset:32 sc0 sc1
	s_waitcnt vmcnt(0)
	v_cmp_ne_u64_e32 vcc, v[6:7], v[12:13]
	s_and_saveexec_b64 s[16:17], vcc
	s_cbranch_execz .LBB3_213
; %bb.211:                              ;   in Loop: Header=BB3_145 Depth=1
	s_mov_b64 s[18:19], 0
.LBB3_212:                              ;   Parent Loop BB3_145 Depth=1
                                        ; =>  This Inner Loop Header: Depth=2
	s_sleep 1
	global_store_dwordx2 v[8:9], v[6:7], off
	v_mov_b32_e32 v4, s12
	v_mov_b32_e32 v5, s13
	buffer_wbl2 sc0 sc1
	s_waitcnt vmcnt(0)
	global_atomic_cmpswap_x2 v[4:5], v29, v[4:7], s[2:3] offset:32 sc0 sc1
	s_waitcnt vmcnt(0)
	v_cmp_eq_u64_e32 vcc, v[4:5], v[6:7]
	s_or_b64 s[18:19], vcc, s[18:19]
	v_mov_b64_e32 v[6:7], v[4:5]
	s_andn2_b64 exec, exec, s[18:19]
	s_cbranch_execnz .LBB3_212
.LBB3_213:                              ;   in Loop: Header=BB3_145 Depth=1
	s_or_b64 exec, exec, s[16:17]
	global_load_dwordx2 v[4:5], v29, s[2:3] offset:16
	s_mov_b64 s[18:19], exec
	v_mbcnt_lo_u32_b32 v6, s18, 0
	v_mbcnt_hi_u32_b32 v6, s19, v6
	v_cmp_eq_u32_e32 vcc, 0, v6
	s_and_saveexec_b64 s[16:17], vcc
	s_cbranch_execz .LBB3_215
; %bb.214:                              ;   in Loop: Header=BB3_145 Depth=1
	s_bcnt1_i32_b64 s18, s[18:19]
	v_mov_b32_e32 v28, s18
	buffer_wbl2 sc0 sc1
	s_waitcnt vmcnt(0)
	global_atomic_add_x2 v[4:5], v[28:29], off offset:8 sc1
.LBB3_215:                              ;   in Loop: Header=BB3_145 Depth=1
	s_or_b64 exec, exec, s[16:17]
	s_waitcnt vmcnt(0)
	global_load_dwordx2 v[6:7], v[4:5], off offset:16
	s_waitcnt vmcnt(0)
	v_cmp_eq_u64_e32 vcc, 0, v[6:7]
	s_cbranch_vccnz .LBB3_217
; %bb.216:                              ;   in Loop: Header=BB3_145 Depth=1
	global_load_dword v28, v[4:5], off offset:24
	s_waitcnt vmcnt(0)
	v_readfirstlane_b32 s16, v28
	s_and_b32 m0, s16, 0xffffff
	buffer_wbl2 sc0 sc1
	global_store_dwordx2 v[6:7], v[28:29], off sc0 sc1
	s_sendmsg sendmsg(MSG_INTERRUPT)
.LBB3_217:                              ;   in Loop: Header=BB3_145 Depth=1
	s_or_b64 exec, exec, s[14:15]
	v_mov_b32_e32 v25, v29
	v_lshl_add_u64 v[4:5], v[22:23], 0, v[24:25]
	s_branch .LBB3_221
.LBB3_218:                              ;   in Loop: Header=BB3_221 Depth=2
	s_or_b64 exec, exec, s[14:15]
	v_readfirstlane_b32 s14, v6
	s_cmp_eq_u32 s14, 0
	s_cbranch_scc1 .LBB3_220
; %bb.219:                              ;   in Loop: Header=BB3_221 Depth=2
	s_sleep 1
	s_cbranch_execnz .LBB3_221
	s_branch .LBB3_223
.LBB3_220:                              ;   in Loop: Header=BB3_145 Depth=1
	s_branch .LBB3_223
.LBB3_221:                              ;   Parent Loop BB3_145 Depth=1
                                        ; =>  This Inner Loop Header: Depth=2
	v_mov_b32_e32 v6, 1
	s_and_saveexec_b64 s[14:15], s[0:1]
	s_cbranch_execz .LBB3_218
; %bb.222:                              ;   in Loop: Header=BB3_221 Depth=2
	global_load_dword v6, v[30:31], off offset:20 sc0 sc1
	s_waitcnt vmcnt(0)
	buffer_inv sc0 sc1
	v_and_b32_e32 v6, 1, v6
	s_branch .LBB3_218
.LBB3_223:                              ;   in Loop: Header=BB3_145 Depth=1
	global_load_dwordx2 v[4:5], v[4:5], off
	s_and_saveexec_b64 s[14:15], s[0:1]
	s_cbranch_execz .LBB3_144
; %bb.224:                              ;   in Loop: Header=BB3_145 Depth=1
	global_load_dwordx2 v[6:7], v29, s[2:3] offset:40
	global_load_dwordx2 v[14:15], v29, s[2:3] offset:24 sc0 sc1
	global_load_dwordx2 v[8:9], v29, s[2:3]
	s_waitcnt vmcnt(2)
	v_readfirstlane_b32 s16, v6
	v_readfirstlane_b32 s17, v7
	s_add_u32 s18, s16, 1
	s_addc_u32 s19, s17, 0
	s_add_u32 s0, s18, s12
	s_addc_u32 s1, s19, s13
	s_cmp_eq_u64 s[0:1], 0
	s_cselect_b32 s1, s19, s1
	s_cselect_b32 s0, s18, s0
	s_and_b64 s[12:13], s[0:1], s[16:17]
	s_mul_i32 s13, s13, 24
	s_mul_hi_u32 s16, s12, 24
	s_mul_i32 s12, s12, 24
	s_add_i32 s13, s16, s13
	s_waitcnt vmcnt(0)
	v_lshl_add_u64 v[10:11], v[8:9], 0, s[12:13]
	v_mov_b32_e32 v12, s0
	global_store_dwordx2 v[10:11], v[14:15], off
	v_mov_b32_e32 v13, s1
	buffer_wbl2 sc0 sc1
	s_waitcnt vmcnt(0)
	global_atomic_cmpswap_x2 v[8:9], v29, v[12:15], s[2:3] offset:24 sc0 sc1
	s_waitcnt vmcnt(0)
	v_cmp_ne_u64_e32 vcc, v[8:9], v[14:15]
	s_and_b64 exec, exec, vcc
	s_cbranch_execz .LBB3_144
; %bb.225:                              ;   in Loop: Header=BB3_145 Depth=1
	s_mov_b64 s[12:13], 0
.LBB3_226:                              ;   Parent Loop BB3_145 Depth=1
                                        ; =>  This Inner Loop Header: Depth=2
	s_sleep 1
	global_store_dwordx2 v[10:11], v[8:9], off
	v_mov_b32_e32 v6, s0
	v_mov_b32_e32 v7, s1
	buffer_wbl2 sc0 sc1
	s_waitcnt vmcnt(0)
	global_atomic_cmpswap_x2 v[6:7], v29, v[6:9], s[2:3] offset:24 sc0 sc1
	s_waitcnt vmcnt(0)
	v_cmp_eq_u64_e32 vcc, v[6:7], v[8:9]
	s_or_b64 s[12:13], vcc, s[12:13]
	v_mov_b64_e32 v[8:9], v[6:7]
	s_andn2_b64 exec, exec, s[12:13]
	s_cbranch_execnz .LBB3_226
	s_branch .LBB3_144
.LBB3_227:
                                        ; implicit-def: $vgpr4_vgpr5
	s_cbranch_execnz .LBB3_229
	s_branch .LBB3_255
.LBB3_228:
	s_branch .LBB3_255
.LBB3_229:
	v_readfirstlane_b32 s0, v1
	s_waitcnt vmcnt(0)
	v_mov_b64_e32 v[4:5], 0
	v_cmp_eq_u32_e64 s[0:1], s0, v1
	s_and_saveexec_b64 s[4:5], s[0:1]
	s_cbranch_execz .LBB3_235
; %bb.230:
	v_mov_b32_e32 v6, 0
	global_load_dwordx2 v[10:11], v6, s[2:3] offset:24 sc0 sc1
	s_waitcnt vmcnt(0)
	buffer_inv sc0 sc1
	global_load_dwordx2 v[4:5], v6, s[2:3] offset:40
	global_load_dwordx2 v[8:9], v6, s[2:3]
	s_waitcnt vmcnt(1)
	v_and_b32_e32 v4, v4, v10
	v_and_b32_e32 v5, v5, v11
	v_mul_lo_u32 v5, v5, 24
	v_mul_hi_u32 v7, v4, 24
	v_add_u32_e32 v5, v7, v5
	v_mul_lo_u32 v4, v4, 24
	s_waitcnt vmcnt(0)
	v_lshl_add_u64 v[4:5], v[8:9], 0, v[4:5]
	global_load_dwordx2 v[8:9], v[4:5], off sc0 sc1
	s_waitcnt vmcnt(0)
	global_atomic_cmpswap_x2 v[4:5], v6, v[8:11], s[2:3] offset:24 sc0 sc1
	s_waitcnt vmcnt(0)
	buffer_inv sc0 sc1
	v_cmp_ne_u64_e32 vcc, v[4:5], v[10:11]
	s_and_saveexec_b64 s[6:7], vcc
	s_cbranch_execz .LBB3_234
; %bb.231:
	s_mov_b64 s[10:11], 0
.LBB3_232:                              ; =>This Inner Loop Header: Depth=1
	s_sleep 1
	global_load_dwordx2 v[8:9], v6, s[2:3] offset:40
	global_load_dwordx2 v[12:13], v6, s[2:3]
	v_mov_b64_e32 v[10:11], v[4:5]
	s_waitcnt vmcnt(1)
	v_and_b32_e32 v4, v8, v10
	s_waitcnt vmcnt(0)
	v_mad_u64_u32 v[4:5], s[12:13], v4, 24, v[12:13]
	v_and_b32_e32 v7, v9, v11
	v_mov_b32_e32 v8, v5
	v_mad_u64_u32 v[8:9], s[12:13], v7, 24, v[8:9]
	v_mov_b32_e32 v5, v8
	global_load_dwordx2 v[8:9], v[4:5], off sc0 sc1
	s_waitcnt vmcnt(0)
	global_atomic_cmpswap_x2 v[4:5], v6, v[8:11], s[2:3] offset:24 sc0 sc1
	s_waitcnt vmcnt(0)
	buffer_inv sc0 sc1
	v_cmp_eq_u64_e32 vcc, v[4:5], v[10:11]
	s_or_b64 s[10:11], vcc, s[10:11]
	s_andn2_b64 exec, exec, s[10:11]
	s_cbranch_execnz .LBB3_232
; %bb.233:
	s_or_b64 exec, exec, s[10:11]
.LBB3_234:
	s_or_b64 exec, exec, s[6:7]
.LBB3_235:
	s_or_b64 exec, exec, s[4:5]
	v_mov_b32_e32 v25, 0
	global_load_dwordx2 v[10:11], v25, s[2:3] offset:40
	global_load_dwordx4 v[6:9], v25, s[2:3]
	v_readfirstlane_b32 s5, v5
	v_readfirstlane_b32 s4, v4
	s_mov_b64 s[6:7], exec
	s_waitcnt vmcnt(1)
	v_readfirstlane_b32 s10, v10
	v_readfirstlane_b32 s11, v11
	s_and_b64 s[10:11], s[10:11], s[4:5]
	s_mul_i32 s12, s11, 24
	s_mul_hi_u32 s13, s10, 24
	s_add_i32 s13, s13, s12
	s_mul_i32 s12, s10, 24
	s_waitcnt vmcnt(0)
	v_lshl_add_u64 v[10:11], v[6:7], 0, s[12:13]
	s_and_saveexec_b64 s[12:13], s[0:1]
	s_cbranch_execz .LBB3_237
; %bb.236:
	v_mov_b64_e32 v[12:13], s[6:7]
	v_mov_b32_e32 v14, 2
	v_mov_b32_e32 v15, 1
	global_store_dwordx4 v[10:11], v[12:15], off offset:8
.LBB3_237:
	s_or_b64 exec, exec, s[12:13]
	s_lshl_b64 s[6:7], s[10:11], 12
	v_lshl_add_u64 v[8:9], v[8:9], 0, s[6:7]
	s_movk_i32 s6, 0xff1f
	s_mov_b32 s12, 0
	v_and_or_b32 v2, v2, s6, 32
	v_mov_b32_e32 v4, v25
	v_mov_b32_e32 v5, v25
	v_readfirstlane_b32 s6, v8
	v_readfirstlane_b32 s7, v9
	s_mov_b32 s13, s12
	s_mov_b32 s14, s12
	;; [unrolled: 1-line block ×3, first 2 shown]
	s_nop 1
	global_store_dwordx4 v24, v[2:5], s[6:7]
	s_nop 1
	v_mov_b64_e32 v[2:3], s[12:13]
	v_mov_b64_e32 v[4:5], s[14:15]
	global_store_dwordx4 v24, v[2:5], s[6:7] offset:16
	global_store_dwordx4 v24, v[2:5], s[6:7] offset:32
	;; [unrolled: 1-line block ×3, first 2 shown]
	s_and_saveexec_b64 s[6:7], s[0:1]
	s_cbranch_execz .LBB3_245
; %bb.238:
	v_mov_b32_e32 v12, 0
	global_load_dwordx2 v[16:17], v12, s[2:3] offset:32 sc0 sc1
	global_load_dwordx2 v[2:3], v12, s[2:3] offset:40
	v_mov_b32_e32 v14, s4
	v_mov_b32_e32 v15, s5
	s_waitcnt vmcnt(0)
	v_readfirstlane_b32 s10, v2
	v_readfirstlane_b32 s11, v3
	s_and_b64 s[10:11], s[10:11], s[4:5]
	s_mul_i32 s11, s11, 24
	s_mul_hi_u32 s12, s10, 24
	s_mul_i32 s10, s10, 24
	s_add_i32 s11, s12, s11
	v_lshl_add_u64 v[6:7], v[6:7], 0, s[10:11]
	global_store_dwordx2 v[6:7], v[16:17], off
	buffer_wbl2 sc0 sc1
	s_waitcnt vmcnt(0)
	global_atomic_cmpswap_x2 v[4:5], v12, v[14:17], s[2:3] offset:32 sc0 sc1
	s_waitcnt vmcnt(0)
	v_cmp_ne_u64_e32 vcc, v[4:5], v[16:17]
	s_and_saveexec_b64 s[10:11], vcc
	s_cbranch_execz .LBB3_241
; %bb.239:
	s_mov_b64 s[12:13], 0
.LBB3_240:                              ; =>This Inner Loop Header: Depth=1
	s_sleep 1
	global_store_dwordx2 v[6:7], v[4:5], off
	v_mov_b32_e32 v2, s4
	v_mov_b32_e32 v3, s5
	buffer_wbl2 sc0 sc1
	s_waitcnt vmcnt(0)
	global_atomic_cmpswap_x2 v[2:3], v12, v[2:5], s[2:3] offset:32 sc0 sc1
	s_waitcnt vmcnt(0)
	v_cmp_eq_u64_e32 vcc, v[2:3], v[4:5]
	s_or_b64 s[12:13], vcc, s[12:13]
	v_mov_b64_e32 v[4:5], v[2:3]
	s_andn2_b64 exec, exec, s[12:13]
	s_cbranch_execnz .LBB3_240
.LBB3_241:
	s_or_b64 exec, exec, s[10:11]
	v_mov_b32_e32 v5, 0
	global_load_dwordx2 v[2:3], v5, s[2:3] offset:16
	s_mov_b64 s[10:11], exec
	v_mbcnt_lo_u32_b32 v4, s10, 0
	v_mbcnt_hi_u32_b32 v4, s11, v4
	v_cmp_eq_u32_e32 vcc, 0, v4
	s_and_saveexec_b64 s[12:13], vcc
	s_cbranch_execz .LBB3_243
; %bb.242:
	s_bcnt1_i32_b64 s10, s[10:11]
	v_mov_b32_e32 v4, s10
	buffer_wbl2 sc0 sc1
	s_waitcnt vmcnt(0)
	global_atomic_add_x2 v[2:3], v[4:5], off offset:8 sc1
.LBB3_243:
	s_or_b64 exec, exec, s[12:13]
	s_waitcnt vmcnt(0)
	global_load_dwordx2 v[4:5], v[2:3], off offset:16
	s_waitcnt vmcnt(0)
	v_cmp_eq_u64_e32 vcc, 0, v[4:5]
	s_cbranch_vccnz .LBB3_245
; %bb.244:
	global_load_dword v2, v[2:3], off offset:24
	v_mov_b32_e32 v3, 0
	s_waitcnt vmcnt(0)
	v_readfirstlane_b32 s10, v2
	s_and_b32 m0, s10, 0xffffff
	buffer_wbl2 sc0 sc1
	global_store_dwordx2 v[4:5], v[2:3], off sc0 sc1
	s_sendmsg sendmsg(MSG_INTERRUPT)
.LBB3_245:
	s_or_b64 exec, exec, s[6:7]
	v_lshl_add_u64 v[2:3], v[8:9], 0, v[24:25]
	s_branch .LBB3_249
.LBB3_246:                              ;   in Loop: Header=BB3_249 Depth=1
	s_or_b64 exec, exec, s[6:7]
	v_readfirstlane_b32 s6, v4
	s_cmp_eq_u32 s6, 0
	s_cbranch_scc1 .LBB3_248
; %bb.247:                              ;   in Loop: Header=BB3_249 Depth=1
	s_sleep 1
	s_cbranch_execnz .LBB3_249
	s_branch .LBB3_251
.LBB3_248:
	s_branch .LBB3_251
.LBB3_249:                              ; =>This Inner Loop Header: Depth=1
	v_mov_b32_e32 v4, 1
	s_and_saveexec_b64 s[6:7], s[0:1]
	s_cbranch_execz .LBB3_246
; %bb.250:                              ;   in Loop: Header=BB3_249 Depth=1
	global_load_dword v4, v[10:11], off offset:20 sc0 sc1
	s_waitcnt vmcnt(0)
	buffer_inv sc0 sc1
	v_and_b32_e32 v4, 1, v4
	s_branch .LBB3_246
.LBB3_251:
	global_load_dwordx2 v[4:5], v[2:3], off
	s_and_saveexec_b64 s[6:7], s[0:1]
	s_cbranch_execz .LBB3_254
; %bb.252:
	v_mov_b32_e32 v10, 0
	global_load_dwordx2 v[2:3], v10, s[2:3] offset:40
	global_load_dwordx2 v[14:15], v10, s[2:3] offset:24 sc0 sc1
	global_load_dwordx2 v[6:7], v10, s[2:3]
	s_waitcnt vmcnt(2)
	v_readfirstlane_b32 s10, v2
	v_readfirstlane_b32 s11, v3
	s_add_u32 s12, s10, 1
	s_addc_u32 s13, s11, 0
	s_add_u32 s0, s12, s4
	s_addc_u32 s1, s13, s5
	s_cmp_eq_u64 s[0:1], 0
	s_cselect_b32 s1, s13, s1
	s_cselect_b32 s0, s12, s0
	s_and_b64 s[4:5], s[0:1], s[10:11]
	s_mul_i32 s5, s5, 24
	s_mul_hi_u32 s10, s4, 24
	s_mul_i32 s4, s4, 24
	s_add_i32 s5, s10, s5
	s_waitcnt vmcnt(0)
	v_lshl_add_u64 v[2:3], v[6:7], 0, s[4:5]
	v_mov_b32_e32 v12, s0
	global_store_dwordx2 v[2:3], v[14:15], off
	v_mov_b32_e32 v13, s1
	buffer_wbl2 sc0 sc1
	s_waitcnt vmcnt(0)
	global_atomic_cmpswap_x2 v[8:9], v10, v[12:15], s[2:3] offset:24 sc0 sc1
	s_mov_b64 s[4:5], 0
	s_waitcnt vmcnt(0)
	v_cmp_ne_u64_e32 vcc, v[8:9], v[14:15]
	s_and_b64 exec, exec, vcc
	s_cbranch_execz .LBB3_254
.LBB3_253:                              ; =>This Inner Loop Header: Depth=1
	s_sleep 1
	global_store_dwordx2 v[2:3], v[8:9], off
	v_mov_b32_e32 v6, s0
	v_mov_b32_e32 v7, s1
	buffer_wbl2 sc0 sc1
	s_waitcnt vmcnt(0)
	global_atomic_cmpswap_x2 v[6:7], v10, v[6:9], s[2:3] offset:24 sc0 sc1
	s_waitcnt vmcnt(0)
	v_cmp_eq_u64_e32 vcc, v[6:7], v[8:9]
	s_or_b64 s[4:5], vcc, s[4:5]
	v_mov_b64_e32 v[8:9], v[6:7]
	s_andn2_b64 exec, exec, s[4:5]
	s_cbranch_execnz .LBB3_253
.LBB3_254:
	s_or_b64 exec, exec, s[6:7]
.LBB3_255:
	v_readfirstlane_b32 s0, v1
	s_waitcnt vmcnt(0)
	v_mov_b64_e32 v[2:3], 0
	v_cmp_eq_u32_e64 s[0:1], s0, v1
	s_and_saveexec_b64 s[4:5], s[0:1]
	s_cbranch_execz .LBB3_261
; %bb.256:
	v_mov_b32_e32 v1, 0
	global_load_dwordx2 v[8:9], v1, s[2:3] offset:24 sc0 sc1
	s_waitcnt vmcnt(0)
	buffer_inv sc0 sc1
	global_load_dwordx2 v[2:3], v1, s[2:3] offset:40
	global_load_dwordx2 v[6:7], v1, s[2:3]
	s_waitcnt vmcnt(1)
	v_and_b32_e32 v2, v2, v8
	v_and_b32_e32 v3, v3, v9
	v_mul_lo_u32 v3, v3, 24
	v_mul_hi_u32 v10, v2, 24
	v_add_u32_e32 v3, v10, v3
	v_mul_lo_u32 v2, v2, 24
	s_waitcnt vmcnt(0)
	v_lshl_add_u64 v[2:3], v[6:7], 0, v[2:3]
	global_load_dwordx2 v[6:7], v[2:3], off sc0 sc1
	s_waitcnt vmcnt(0)
	global_atomic_cmpswap_x2 v[2:3], v1, v[6:9], s[2:3] offset:24 sc0 sc1
	s_waitcnt vmcnt(0)
	buffer_inv sc0 sc1
	v_cmp_ne_u64_e32 vcc, v[2:3], v[8:9]
	s_and_saveexec_b64 s[6:7], vcc
	s_cbranch_execz .LBB3_260
; %bb.257:
	s_mov_b64 s[10:11], 0
.LBB3_258:                              ; =>This Inner Loop Header: Depth=1
	s_sleep 1
	global_load_dwordx2 v[6:7], v1, s[2:3] offset:40
	global_load_dwordx2 v[10:11], v1, s[2:3]
	v_mov_b64_e32 v[8:9], v[2:3]
	s_waitcnt vmcnt(1)
	v_and_b32_e32 v2, v6, v8
	s_waitcnt vmcnt(0)
	v_mad_u64_u32 v[2:3], s[12:13], v2, 24, v[10:11]
	v_and_b32_e32 v7, v7, v9
	v_mov_b32_e32 v6, v3
	v_mad_u64_u32 v[6:7], s[12:13], v7, 24, v[6:7]
	v_mov_b32_e32 v3, v6
	global_load_dwordx2 v[6:7], v[2:3], off sc0 sc1
	s_waitcnt vmcnt(0)
	global_atomic_cmpswap_x2 v[2:3], v1, v[6:9], s[2:3] offset:24 sc0 sc1
	s_waitcnt vmcnt(0)
	buffer_inv sc0 sc1
	v_cmp_eq_u64_e32 vcc, v[2:3], v[8:9]
	s_or_b64 s[10:11], vcc, s[10:11]
	s_andn2_b64 exec, exec, s[10:11]
	s_cbranch_execnz .LBB3_258
; %bb.259:
	s_or_b64 exec, exec, s[10:11]
.LBB3_260:
	s_or_b64 exec, exec, s[6:7]
.LBB3_261:
	s_or_b64 exec, exec, s[4:5]
	v_mov_b32_e32 v25, 0
	global_load_dwordx2 v[6:7], v25, s[2:3] offset:40
	global_load_dwordx4 v[8:11], v25, s[2:3]
	v_readfirstlane_b32 s5, v3
	v_readfirstlane_b32 s4, v2
	s_mov_b64 s[6:7], exec
	s_waitcnt vmcnt(1)
	v_readfirstlane_b32 s10, v6
	v_readfirstlane_b32 s11, v7
	s_and_b64 s[10:11], s[10:11], s[4:5]
	s_mul_i32 s12, s11, 24
	s_mul_hi_u32 s13, s10, 24
	s_add_i32 s13, s13, s12
	s_mul_i32 s12, s10, 24
	s_waitcnt vmcnt(0)
	v_lshl_add_u64 v[12:13], v[8:9], 0, s[12:13]
	s_and_saveexec_b64 s[12:13], s[0:1]
	s_cbranch_execz .LBB3_263
; %bb.262:
	v_mov_b64_e32 v[14:15], s[6:7]
	v_mov_b32_e32 v16, 2
	v_mov_b32_e32 v17, 1
	global_store_dwordx4 v[12:13], v[14:17], off offset:8
.LBB3_263:
	s_or_b64 exec, exec, s[12:13]
	s_mov_b32 s12, 0
	s_lshl_b64 s[6:7], s[10:11], 12
	s_mov_b32 s13, s12
	v_lshl_add_u64 v[10:11], v[10:11], 0, s[6:7]
	s_movk_i32 s6, 0xff1f
	v_mov_b32_e32 v6, v0
	s_mov_b32 s14, s12
	s_mov_b32 s15, s12
	v_mov_b64_e32 v[0:1], s[12:13]
	v_and_or_b32 v4, v4, s6, 32
	v_mov_b32_e32 v7, v25
	v_readfirstlane_b32 s6, v10
	v_readfirstlane_b32 s7, v11
	v_mov_b64_e32 v[2:3], s[14:15]
	s_nop 3
	global_store_dwordx4 v24, v[4:7], s[6:7]
	global_store_dwordx4 v24, v[0:3], s[6:7] offset:16
	global_store_dwordx4 v24, v[0:3], s[6:7] offset:32
	;; [unrolled: 1-line block ×3, first 2 shown]
	s_and_saveexec_b64 s[6:7], s[0:1]
	s_cbranch_execz .LBB3_271
; %bb.264:
	v_mov_b32_e32 v6, 0
	global_load_dwordx2 v[16:17], v6, s[2:3] offset:32 sc0 sc1
	global_load_dwordx2 v[0:1], v6, s[2:3] offset:40
	v_mov_b32_e32 v14, s4
	v_mov_b32_e32 v15, s5
	s_waitcnt vmcnt(0)
	v_readfirstlane_b32 s10, v0
	v_readfirstlane_b32 s11, v1
	s_and_b64 s[10:11], s[10:11], s[4:5]
	s_mul_i32 s11, s11, 24
	s_mul_hi_u32 s12, s10, 24
	s_mul_i32 s10, s10, 24
	s_add_i32 s11, s12, s11
	v_lshl_add_u64 v[4:5], v[8:9], 0, s[10:11]
	global_store_dwordx2 v[4:5], v[16:17], off
	buffer_wbl2 sc0 sc1
	s_waitcnt vmcnt(0)
	global_atomic_cmpswap_x2 v[2:3], v6, v[14:17], s[2:3] offset:32 sc0 sc1
	s_waitcnt vmcnt(0)
	v_cmp_ne_u64_e32 vcc, v[2:3], v[16:17]
	s_and_saveexec_b64 s[10:11], vcc
	s_cbranch_execz .LBB3_267
; %bb.265:
	s_mov_b64 s[12:13], 0
.LBB3_266:                              ; =>This Inner Loop Header: Depth=1
	s_sleep 1
	global_store_dwordx2 v[4:5], v[2:3], off
	v_mov_b32_e32 v0, s4
	v_mov_b32_e32 v1, s5
	buffer_wbl2 sc0 sc1
	s_waitcnt vmcnt(0)
	global_atomic_cmpswap_x2 v[0:1], v6, v[0:3], s[2:3] offset:32 sc0 sc1
	s_waitcnt vmcnt(0)
	v_cmp_eq_u64_e32 vcc, v[0:1], v[2:3]
	s_or_b64 s[12:13], vcc, s[12:13]
	v_mov_b64_e32 v[2:3], v[0:1]
	s_andn2_b64 exec, exec, s[12:13]
	s_cbranch_execnz .LBB3_266
.LBB3_267:
	s_or_b64 exec, exec, s[10:11]
	v_mov_b32_e32 v3, 0
	global_load_dwordx2 v[0:1], v3, s[2:3] offset:16
	s_mov_b64 s[10:11], exec
	v_mbcnt_lo_u32_b32 v2, s10, 0
	v_mbcnt_hi_u32_b32 v2, s11, v2
	v_cmp_eq_u32_e32 vcc, 0, v2
	s_and_saveexec_b64 s[12:13], vcc
	s_cbranch_execz .LBB3_269
; %bb.268:
	s_bcnt1_i32_b64 s10, s[10:11]
	v_mov_b32_e32 v2, s10
	buffer_wbl2 sc0 sc1
	s_waitcnt vmcnt(0)
	global_atomic_add_x2 v[0:1], v[2:3], off offset:8 sc1
.LBB3_269:
	s_or_b64 exec, exec, s[12:13]
	s_waitcnt vmcnt(0)
	global_load_dwordx2 v[2:3], v[0:1], off offset:16
	s_waitcnt vmcnt(0)
	v_cmp_eq_u64_e32 vcc, 0, v[2:3]
	s_cbranch_vccnz .LBB3_271
; %bb.270:
	global_load_dword v0, v[0:1], off offset:24
	v_mov_b32_e32 v1, 0
	s_waitcnt vmcnt(0)
	v_readfirstlane_b32 s10, v0
	s_and_b32 m0, s10, 0xffffff
	buffer_wbl2 sc0 sc1
	global_store_dwordx2 v[2:3], v[0:1], off sc0 sc1
	s_sendmsg sendmsg(MSG_INTERRUPT)
.LBB3_271:
	s_or_b64 exec, exec, s[6:7]
	v_lshl_add_u64 v[0:1], v[10:11], 0, v[24:25]
	s_branch .LBB3_275
.LBB3_272:                              ;   in Loop: Header=BB3_275 Depth=1
	s_or_b64 exec, exec, s[6:7]
	v_readfirstlane_b32 s6, v2
	s_cmp_eq_u32 s6, 0
	s_cbranch_scc1 .LBB3_274
; %bb.273:                              ;   in Loop: Header=BB3_275 Depth=1
	s_sleep 1
	s_cbranch_execnz .LBB3_275
	s_branch .LBB3_277
.LBB3_274:
	s_branch .LBB3_277
.LBB3_275:                              ; =>This Inner Loop Header: Depth=1
	v_mov_b32_e32 v2, 1
	s_and_saveexec_b64 s[6:7], s[0:1]
	s_cbranch_execz .LBB3_272
; %bb.276:                              ;   in Loop: Header=BB3_275 Depth=1
	global_load_dword v2, v[12:13], off offset:20 sc0 sc1
	s_waitcnt vmcnt(0)
	buffer_inv sc0 sc1
	v_and_b32_e32 v2, 1, v2
	s_branch .LBB3_272
.LBB3_277:
	global_load_dwordx2 v[0:1], v[0:1], off
	s_and_saveexec_b64 s[6:7], s[0:1]
	s_cbranch_execz .LBB3_280
; %bb.278:
	v_mov_b32_e32 v8, 0
	global_load_dwordx2 v[2:3], v8, s[2:3] offset:40
	global_load_dwordx2 v[12:13], v8, s[2:3] offset:24 sc0 sc1
	global_load_dwordx2 v[4:5], v8, s[2:3]
	s_waitcnt vmcnt(2)
	v_readfirstlane_b32 s10, v2
	v_readfirstlane_b32 s11, v3
	s_add_u32 s12, s10, 1
	s_addc_u32 s13, s11, 0
	s_add_u32 s0, s12, s4
	s_addc_u32 s1, s13, s5
	s_cmp_eq_u64 s[0:1], 0
	s_cselect_b32 s1, s13, s1
	s_cselect_b32 s0, s12, s0
	s_and_b64 s[4:5], s[0:1], s[10:11]
	s_mul_i32 s5, s5, 24
	s_mul_hi_u32 s10, s4, 24
	s_mul_i32 s4, s4, 24
	s_add_i32 s5, s10, s5
	s_waitcnt vmcnt(0)
	v_lshl_add_u64 v[6:7], v[4:5], 0, s[4:5]
	v_mov_b32_e32 v10, s0
	global_store_dwordx2 v[6:7], v[12:13], off
	v_mov_b32_e32 v11, s1
	buffer_wbl2 sc0 sc1
	s_waitcnt vmcnt(0)
	global_atomic_cmpswap_x2 v[4:5], v8, v[10:13], s[2:3] offset:24 sc0 sc1
	s_mov_b64 s[4:5], 0
	s_waitcnt vmcnt(0)
	v_cmp_ne_u64_e32 vcc, v[4:5], v[12:13]
	s_and_b64 exec, exec, vcc
	s_cbranch_execz .LBB3_280
.LBB3_279:                              ; =>This Inner Loop Header: Depth=1
	s_sleep 1
	global_store_dwordx2 v[6:7], v[4:5], off
	v_mov_b32_e32 v2, s0
	v_mov_b32_e32 v3, s1
	buffer_wbl2 sc0 sc1
	s_waitcnt vmcnt(0)
	global_atomic_cmpswap_x2 v[2:3], v8, v[2:5], s[2:3] offset:24 sc0 sc1
	s_waitcnt vmcnt(0)
	v_cmp_eq_u64_e32 vcc, v[2:3], v[4:5]
	s_or_b64 s[4:5], vcc, s[4:5]
	v_mov_b64_e32 v[4:5], v[2:3]
	s_andn2_b64 exec, exec, s[4:5]
	s_cbranch_execnz .LBB3_279
.LBB3_280:
	s_or_b64 exec, exec, s[6:7]
	s_getpc_b64 s[0:1]
	s_add_u32 s0, s0, __FUNCTION__._ZL18flash_attn_ext_f16ILi64ELi64ELi4ELi4ELb1ELb0EEvPKcS1_S1_S1_S1_PKiPfP15HIP_vector_typeIfLj2EEffffjfiS5_IjLj3EEiiiiiiiiiiiliiliiiiil@rel32@lo+4
	s_addc_u32 s1, s1, __FUNCTION__._ZL18flash_attn_ext_f16ILi64ELi64ELi4ELi4ELb1ELb0EEvPKcS1_S1_S1_S1_PKiPfP15HIP_vector_typeIfLj2EEffffjfiS5_IjLj3EEiiiiiiiiiiiliiliiiiil@rel32@hi+12
	s_cmp_lg_u64 s[0:1], 0
	s_cselect_b32 s4, 19, 0
	s_getpc_b64 s[2:3]
	s_add_u32 s2, s2, __ockl_printf_append_string_n@rel32@lo+4
	s_addc_u32 s3, s3, __ockl_printf_append_string_n@rel32@hi+12
	v_mov_b32_e32 v2, s0
	v_mov_b32_e32 v3, s1
	;; [unrolled: 1-line block ×4, first 2 shown]
	s_mov_b64 s[18:19], s[8:9]
	s_swappc_b64 s[30:31], s[2:3]
	s_getpc_b64 s[0:1]
	s_add_u32 s0, s0, __ockl_printf_append_args@rel32@lo+4
	s_addc_u32 s1, s1, __ockl_printf_append_args@rel32@hi+12
	s_mov_b64 s[8:9], s[18:19]
	v_mov_b32_e32 v2, 0x514
	v_mov_b32_e32 v3, 0
	;; [unrolled: 1-line block ×3, first 2 shown]
	s_swappc_b64 s[30:31], s[0:1]
	s_trap 2
.Lfunc_end3:
	.size	_ZL14no_device_codePKciS0_iS0_, .Lfunc_end3-_ZL14no_device_codePKciS0_iS0_
                                        ; -- End function
	.set .L_ZL14no_device_codePKciS0_iS0_.num_vgpr, max(41, .L__ockl_printf_append_string_n.num_vgpr, .L__ockl_printf_append_args.num_vgpr)
	.set .L_ZL14no_device_codePKciS0_iS0_.num_agpr, max(0, .L__ockl_printf_append_string_n.num_agpr, .L__ockl_printf_append_args.num_agpr)
	.set .L_ZL14no_device_codePKciS0_iS0_.numbered_sgpr, max(34, .L__ockl_printf_append_string_n.numbered_sgpr, .L__ockl_printf_append_args.numbered_sgpr)
	.set .L_ZL14no_device_codePKciS0_iS0_.num_named_barrier, max(0, .L__ockl_printf_append_string_n.num_named_barrier, .L__ockl_printf_append_args.num_named_barrier)
	.set .L_ZL14no_device_codePKciS0_iS0_.private_seg_size, 16+max(.L__ockl_printf_append_string_n.private_seg_size, .L__ockl_printf_append_args.private_seg_size)
	.set .L_ZL14no_device_codePKciS0_iS0_.uses_vcc, or(1, .L__ockl_printf_append_string_n.uses_vcc, .L__ockl_printf_append_args.uses_vcc)
	.set .L_ZL14no_device_codePKciS0_iS0_.uses_flat_scratch, or(0, .L__ockl_printf_append_string_n.uses_flat_scratch, .L__ockl_printf_append_args.uses_flat_scratch)
	.set .L_ZL14no_device_codePKciS0_iS0_.has_dyn_sized_stack, or(0, .L__ockl_printf_append_string_n.has_dyn_sized_stack, .L__ockl_printf_append_args.has_dyn_sized_stack)
	.set .L_ZL14no_device_codePKciS0_iS0_.has_recursion, or(0, .L__ockl_printf_append_string_n.has_recursion, .L__ockl_printf_append_args.has_recursion)
	.set .L_ZL14no_device_codePKciS0_iS0_.has_indirect_call, or(0, .L__ockl_printf_append_string_n.has_indirect_call, .L__ockl_printf_append_args.has_indirect_call)
	.section	.AMDGPU.csdata,"",@progbits
; Function info:
; codeLenInByte = 9528
; TotalNumSgprs: 40
; NumVgprs: 52
; NumAgprs: 0
; TotalNumVgprs: 52
; ScratchSize: 16
; MemoryBound: 0
	.section	.text._ZL18flash_attn_ext_f16ILi64ELi64ELi4ELi4ELb1ELb0EEvPKcS1_S1_S1_S1_PKiPfP15HIP_vector_typeIfLj2EEffffjfiS5_IjLj3EEiiiiiiiiiiiliiliiiiil,"axG",@progbits,_ZL18flash_attn_ext_f16ILi64ELi64ELi4ELi4ELb1ELb0EEvPKcS1_S1_S1_S1_PKiPfP15HIP_vector_typeIfLj2EEffffjfiS5_IjLj3EEiiiiiiiiiiiliiliiiiil,comdat
	.globl	_ZL18flash_attn_ext_f16ILi64ELi64ELi4ELi4ELb1ELb0EEvPKcS1_S1_S1_S1_PKiPfP15HIP_vector_typeIfLj2EEffffjfiS5_IjLj3EEiiiiiiiiiiiliiliiiiil ; -- Begin function _ZL18flash_attn_ext_f16ILi64ELi64ELi4ELi4ELb1ELb0EEvPKcS1_S1_S1_S1_PKiPfP15HIP_vector_typeIfLj2EEffffjfiS5_IjLj3EEiiiiiiiiiiiliiliiiiil
	.p2align	8
	.type	_ZL18flash_attn_ext_f16ILi64ELi64ELi4ELi4ELb1ELb0EEvPKcS1_S1_S1_S1_PKiPfP15HIP_vector_typeIfLj2EEffffjfiS5_IjLj3EEiiiiiiiiiiiliiliiiiil,@function
_ZL18flash_attn_ext_f16ILi64ELi64ELi4ELi4ELb1ELb0EEvPKcS1_S1_S1_S1_PKiPfP15HIP_vector_typeIfLj2EEffffjfiS5_IjLj3EEiiiiiiiiiiiliiliiiiil: ; @_ZL18flash_attn_ext_f16ILi64ELi64ELi4ELi4ELb1ELb0EEvPKcS1_S1_S1_S1_PKiPfP15HIP_vector_typeIfLj2EEffffjfiS5_IjLj3EEiiiiiiiiiiiliiliiiiil
; %bb.0:
	s_add_u32 s8, s0, 0xd0
	s_addc_u32 s9, s1, 0
	s_getpc_b64 s[0:1]
	s_add_u32 s0, s0, _ZL14no_device_codePKciS0_iS0_@rel32@lo+4
	s_addc_u32 s1, s1, _ZL14no_device_codePKciS0_iS0_@rel32@hi+12
	v_mov_b32_e32 v0, 0x6cc
	s_mov_b32 s32, 0
	s_swappc_b64 s[30:31], s[0:1]
	.section	.rodata,"a",@progbits
	.p2align	6, 0x0
	.amdhsa_kernel _ZL18flash_attn_ext_f16ILi64ELi64ELi4ELi4ELb1ELb0EEvPKcS1_S1_S1_S1_PKiPfP15HIP_vector_typeIfLj2EEffffjfiS5_IjLj3EEiiiiiiiiiiiliiliiiiil
		.amdhsa_group_segment_fixed_size 0
		.amdhsa_private_segment_fixed_size 16
		.amdhsa_kernarg_size 464
		.amdhsa_user_sgpr_count 2
		.amdhsa_user_sgpr_dispatch_ptr 0
		.amdhsa_user_sgpr_queue_ptr 0
		.amdhsa_user_sgpr_kernarg_segment_ptr 1
		.amdhsa_user_sgpr_dispatch_id 0
		.amdhsa_user_sgpr_kernarg_preload_length 0
		.amdhsa_user_sgpr_kernarg_preload_offset 0
		.amdhsa_user_sgpr_private_segment_size 0
		.amdhsa_uses_dynamic_stack 0
		.amdhsa_enable_private_segment 1
		.amdhsa_system_sgpr_workgroup_id_x 1
		.amdhsa_system_sgpr_workgroup_id_y 0
		.amdhsa_system_sgpr_workgroup_id_z 0
		.amdhsa_system_sgpr_workgroup_info 0
		.amdhsa_system_vgpr_workitem_id 0
		.amdhsa_next_free_vgpr 52
		.amdhsa_next_free_sgpr 34
		.amdhsa_accum_offset 52
		.amdhsa_reserve_vcc 1
		.amdhsa_float_round_mode_32 0
		.amdhsa_float_round_mode_16_64 0
		.amdhsa_float_denorm_mode_32 3
		.amdhsa_float_denorm_mode_16_64 3
		.amdhsa_dx10_clamp 1
		.amdhsa_ieee_mode 1
		.amdhsa_fp16_overflow 0
		.amdhsa_tg_split 0
		.amdhsa_exception_fp_ieee_invalid_op 0
		.amdhsa_exception_fp_denorm_src 0
		.amdhsa_exception_fp_ieee_div_zero 0
		.amdhsa_exception_fp_ieee_overflow 0
		.amdhsa_exception_fp_ieee_underflow 0
		.amdhsa_exception_fp_ieee_inexact 0
		.amdhsa_exception_int_div_zero 0
	.end_amdhsa_kernel
	.section	.text._ZL18flash_attn_ext_f16ILi64ELi64ELi4ELi4ELb1ELb0EEvPKcS1_S1_S1_S1_PKiPfP15HIP_vector_typeIfLj2EEffffjfiS5_IjLj3EEiiiiiiiiiiiliiliiiiil,"axG",@progbits,_ZL18flash_attn_ext_f16ILi64ELi64ELi4ELi4ELb1ELb0EEvPKcS1_S1_S1_S1_PKiPfP15HIP_vector_typeIfLj2EEffffjfiS5_IjLj3EEiiiiiiiiiiiliiliiiiil,comdat
.Lfunc_end4:
	.size	_ZL18flash_attn_ext_f16ILi64ELi64ELi4ELi4ELb1ELb0EEvPKcS1_S1_S1_S1_PKiPfP15HIP_vector_typeIfLj2EEffffjfiS5_IjLj3EEiiiiiiiiiiiliiliiiiil, .Lfunc_end4-_ZL18flash_attn_ext_f16ILi64ELi64ELi4ELi4ELb1ELb0EEvPKcS1_S1_S1_S1_PKiPfP15HIP_vector_typeIfLj2EEffffjfiS5_IjLj3EEiiiiiiiiiiiliiliiiiil
                                        ; -- End function
	.set _ZL18flash_attn_ext_f16ILi64ELi64ELi4ELi4ELb1ELb0EEvPKcS1_S1_S1_S1_PKiPfP15HIP_vector_typeIfLj2EEffffjfiS5_IjLj3EEiiiiiiiiiiiliiliiiiil.num_vgpr, max(1, .L_ZL14no_device_codePKciS0_iS0_.num_vgpr)
	.set _ZL18flash_attn_ext_f16ILi64ELi64ELi4ELi4ELb1ELb0EEvPKcS1_S1_S1_S1_PKiPfP15HIP_vector_typeIfLj2EEffffjfiS5_IjLj3EEiiiiiiiiiiiliiliiiiil.num_agpr, max(0, .L_ZL14no_device_codePKciS0_iS0_.num_agpr)
	.set _ZL18flash_attn_ext_f16ILi64ELi64ELi4ELi4ELb1ELb0EEvPKcS1_S1_S1_S1_PKiPfP15HIP_vector_typeIfLj2EEffffjfiS5_IjLj3EEiiiiiiiiiiiliiliiiiil.numbered_sgpr, max(33, .L_ZL14no_device_codePKciS0_iS0_.numbered_sgpr)
	.set _ZL18flash_attn_ext_f16ILi64ELi64ELi4ELi4ELb1ELb0EEvPKcS1_S1_S1_S1_PKiPfP15HIP_vector_typeIfLj2EEffffjfiS5_IjLj3EEiiiiiiiiiiiliiliiiiil.num_named_barrier, max(0, .L_ZL14no_device_codePKciS0_iS0_.num_named_barrier)
	.set _ZL18flash_attn_ext_f16ILi64ELi64ELi4ELi4ELb1ELb0EEvPKcS1_S1_S1_S1_PKiPfP15HIP_vector_typeIfLj2EEffffjfiS5_IjLj3EEiiiiiiiiiiiliiliiiiil.private_seg_size, 0+max(.L_ZL14no_device_codePKciS0_iS0_.private_seg_size)
	.set _ZL18flash_attn_ext_f16ILi64ELi64ELi4ELi4ELb1ELb0EEvPKcS1_S1_S1_S1_PKiPfP15HIP_vector_typeIfLj2EEffffjfiS5_IjLj3EEiiiiiiiiiiiliiliiiiil.uses_vcc, or(1, .L_ZL14no_device_codePKciS0_iS0_.uses_vcc)
	.set _ZL18flash_attn_ext_f16ILi64ELi64ELi4ELi4ELb1ELb0EEvPKcS1_S1_S1_S1_PKiPfP15HIP_vector_typeIfLj2EEffffjfiS5_IjLj3EEiiiiiiiiiiiliiliiiiil.uses_flat_scratch, or(0, .L_ZL14no_device_codePKciS0_iS0_.uses_flat_scratch)
	.set _ZL18flash_attn_ext_f16ILi64ELi64ELi4ELi4ELb1ELb0EEvPKcS1_S1_S1_S1_PKiPfP15HIP_vector_typeIfLj2EEffffjfiS5_IjLj3EEiiiiiiiiiiiliiliiiiil.has_dyn_sized_stack, or(0, .L_ZL14no_device_codePKciS0_iS0_.has_dyn_sized_stack)
	.set _ZL18flash_attn_ext_f16ILi64ELi64ELi4ELi4ELb1ELb0EEvPKcS1_S1_S1_S1_PKiPfP15HIP_vector_typeIfLj2EEffffjfiS5_IjLj3EEiiiiiiiiiiiliiliiiiil.has_recursion, or(0, .L_ZL14no_device_codePKciS0_iS0_.has_recursion)
	.set _ZL18flash_attn_ext_f16ILi64ELi64ELi4ELi4ELb1ELb0EEvPKcS1_S1_S1_S1_PKiPfP15HIP_vector_typeIfLj2EEffffjfiS5_IjLj3EEiiiiiiiiiiiliiliiiiil.has_indirect_call, or(0, .L_ZL14no_device_codePKciS0_iS0_.has_indirect_call)
	.section	.AMDGPU.csdata,"",@progbits
; Kernel info:
; codeLenInByte = 48
; TotalNumSgprs: 40
; NumVgprs: 52
; NumAgprs: 0
; TotalNumVgprs: 52
; ScratchSize: 16
; MemoryBound: 0
; FloatMode: 240
; IeeeMode: 1
; LDSByteSize: 0 bytes/workgroup (compile time only)
; SGPRBlocks: 4
; VGPRBlocks: 6
; NumSGPRsForWavesPerEU: 40
; NumVGPRsForWavesPerEU: 52
; AccumOffset: 52
; Occupancy: 8
; WaveLimiterHint : 1
; COMPUTE_PGM_RSRC2:SCRATCH_EN: 1
; COMPUTE_PGM_RSRC2:USER_SGPR: 2
; COMPUTE_PGM_RSRC2:TRAP_HANDLER: 0
; COMPUTE_PGM_RSRC2:TGID_X_EN: 1
; COMPUTE_PGM_RSRC2:TGID_Y_EN: 0
; COMPUTE_PGM_RSRC2:TGID_Z_EN: 0
; COMPUTE_PGM_RSRC2:TIDIG_COMP_CNT: 0
; COMPUTE_PGM_RSRC3_GFX90A:ACCUM_OFFSET: 12
; COMPUTE_PGM_RSRC3_GFX90A:TG_SPLIT: 0
	.section	.text._ZL25flash_attn_mask_to_KV_maxILi4EEvPK7__half2Piiii,"axG",@progbits,_ZL25flash_attn_mask_to_KV_maxILi4EEvPK7__half2Piiii,comdat
	.globl	_ZL25flash_attn_mask_to_KV_maxILi4EEvPK7__half2Piiii ; -- Begin function _ZL25flash_attn_mask_to_KV_maxILi4EEvPK7__half2Piiii
	.p2align	8
	.type	_ZL25flash_attn_mask_to_KV_maxILi4EEvPK7__half2Piiii,@function
_ZL25flash_attn_mask_to_KV_maxILi4EEvPK7__half2Piiii: ; @_ZL25flash_attn_mask_to_KV_maxILi4EEvPK7__half2Piiii
; %bb.0:
	s_load_dwordx4 s[4:7], s[0:1], 0x0
	v_cmp_gt_u32_e32 vcc, 32, v0
	s_and_saveexec_b64 s[8:9], vcc
; %bb.1:
	v_lshlrev_b32_e32 v1, 2, v0
	v_mov_b32_e32 v2, 1
	ds_write_b32 v1, v2
; %bb.2:
	s_or_b64 exec, exec, s[8:9]
	s_load_dwordx4 s[8:11], s[0:1], 0x10
	s_load_dword s24, s[0:1], 0x20
	v_and_b32_e32 v2, 31, v0
	v_lshlrev_b32_e32 v6, 2, v2
	v_lshrrev_b32_e32 v1, 3, v0
	s_waitcnt lgkmcnt(0)
	s_mul_i32 s1, s2, s9
	s_mul_i32 s0, s10, s3
	s_lshl_b32 s1, s1, 2
	s_add_i32 s0, s0, s1
	s_ashr_i32 s1, s0, 31
	s_lshl_b64 s[0:1], s[0:1], 2
	s_add_u32 s10, s4, s0
	s_addc_u32 s11, s5, s1
	v_cmp_eq_u32_e64 s[0:1], 0, v2
	v_mbcnt_lo_u32_b32 v2, -1, 0
	v_mbcnt_hi_u32_b32 v7, -1, v2
	v_and_b32_e32 v2, 0x60, v7
	s_lshl_b32 s8, s8, 8
	s_mov_b64 s[12:13], 0
	v_mov_b32_e32 v3, 0
	s_movk_i32 s25, 0x204
	v_add_u32_e32 v8, 32, v2
	v_xor_b32_e32 v9, 16, v7
	v_xor_b32_e32 v10, 8, v7
	;; [unrolled: 1-line block ×5, first 2 shown]
	s_barrier
                                        ; implicit-def: $sgpr4_sgpr5
	s_branch .LBB5_5
.LBB5_3:                                ;   in Loop: Header=BB5_5 Depth=1
	s_or_b64 exec, exec, s[14:15]
	s_waitcnt lgkmcnt(0)
	s_barrier
	ds_read_b32 v16, v6
	s_waitcnt lgkmcnt(0)
	s_barrier
	ds_bpermute_b32 v2, v2, v16
	v_cmp_ne_u32_e32 vcc, 0, v16
	s_waitcnt lgkmcnt(0)
	v_cmp_ne_u32_e64 s[4:5], 0, v2
	s_and_b64 s[4:5], vcc, s[4:5]
	s_nop 0
	v_cndmask_b32_e64 v2, 0, 1, s[4:5]
	ds_bpermute_b32 v2, v4, v2
	s_waitcnt lgkmcnt(0)
	v_cmp_ne_u32_e32 vcc, 0, v2
	s_and_b64 s[4:5], vcc, s[4:5]
	v_cndmask_b32_e64 v2, 0, 1, s[4:5]
	ds_bpermute_b32 v2, v5, v2
	s_waitcnt lgkmcnt(0)
	v_cmp_ne_u32_e32 vcc, 0, v2
	s_and_b64 s[4:5], vcc, s[4:5]
	;; [unrolled: 5-line block ×3, first 2 shown]
	v_cndmask_b32_e64 v2, 0, 1, s[4:5]
	ds_bpermute_b32 v2, v15, v2
	s_xor_b64 s[4:5], s[4:5], -1
	s_waitcnt lgkmcnt(0)
	v_cmp_eq_u32_e32 vcc, 0, v2
	s_or_b64 s[4:5], vcc, s[4:5]
.LBB5_4:                                ;   in Loop: Header=BB5_5 Depth=1
	s_and_b64 s[14:15], exec, s[4:5]
	s_or_b64 s[12:13], s[14:15], s[12:13]
	v_mov_b32_e32 v2, s8
	s_mov_b32 s8, s26
	s_andn2_b64 exec, exec, s[12:13]
	s_cbranch_execz .LBB5_20
.LBB5_5:                                ; =>This Inner Loop Header: Depth=1
	s_add_i32 s26, s8, 0xffffff00
	s_or_b64 s[4:5], s[4:5], exec
	s_cmp_lt_i32 s26, 0
	s_cbranch_scc1 .LBB5_4
; %bb.6:                                ;   in Loop: Header=BB5_5 Depth=1
	s_lshr_b32 s4, s26, 1
	v_add_u32_e32 v2, s4, v0
	v_lshl_add_u64 v[4:5], v[2:3], 2, s[10:11]
	global_load_dword v4, v[4:5], off
	v_mov_b32_e32 v5, 0
	s_waitcnt vmcnt(0)
	v_cmp_class_f16_e64 s[4:5], v4, s25
	v_cmp_class_f16_sdwa s[14:15], v4, s25 src0_sel:WORD_1 src1_sel:DWORD
	s_and_b64 s[14:15], s[4:5], s[14:15]
	s_and_saveexec_b64 s[4:5], s[14:15]
	s_cbranch_execz .LBB5_18
; %bb.7:                                ;   in Loop: Header=BB5_5 Depth=1
	v_add_u32_e32 v4, s9, v2
	v_ashrrev_i32_e32 v5, 31, v4
	v_lshl_add_u64 v[14:15], v[4:5], 2, s[10:11]
	global_load_dword v2, v[14:15], off
	v_mov_b32_e32 v5, 0
	s_waitcnt vmcnt(0)
	v_cmp_class_f16_e64 s[16:17], v2, s25
	s_and_saveexec_b64 s[14:15], s[16:17]
	s_cbranch_execz .LBB5_17
; %bb.8:                                ;   in Loop: Header=BB5_5 Depth=1
	v_cmp_class_f16_sdwa s[18:19], v2, s25 src0_sel:WORD_1 src1_sel:DWORD
	v_mov_b32_e32 v5, 0
	s_and_saveexec_b64 s[16:17], s[18:19]
	s_cbranch_execz .LBB5_16
; %bb.9:                                ;   in Loop: Header=BB5_5 Depth=1
	v_add_u32_e32 v4, s9, v4
	v_ashrrev_i32_e32 v5, 31, v4
	v_lshl_add_u64 v[14:15], v[4:5], 2, s[10:11]
	global_load_dword v2, v[14:15], off
	v_mov_b32_e32 v5, 0
	s_waitcnt vmcnt(0)
	v_cmp_class_f16_e64 s[20:21], v2, s25
	s_and_saveexec_b64 s[18:19], s[20:21]
	s_cbranch_execz .LBB5_15
; %bb.10:                               ;   in Loop: Header=BB5_5 Depth=1
	v_cmp_class_f16_sdwa s[22:23], v2, s25 src0_sel:WORD_1 src1_sel:DWORD
	v_mov_b32_e32 v5, 0
	s_and_saveexec_b64 s[20:21], s[22:23]
	s_cbranch_execz .LBB5_14
; %bb.11:                               ;   in Loop: Header=BB5_5 Depth=1
	v_add_u32_e32 v4, s9, v4
	v_ashrrev_i32_e32 v5, 31, v4
	v_lshl_add_u64 v[4:5], v[4:5], 2, s[10:11]
	global_load_dword v2, v[4:5], off
	v_mov_b32_e32 v5, 0
	s_waitcnt vmcnt(0)
	v_cmp_class_f16_e64 s[28:29], v2, s25
	s_and_saveexec_b64 s[22:23], s[28:29]
; %bb.12:                               ;   in Loop: Header=BB5_5 Depth=1
	v_cmp_class_f16_sdwa s[28:29], v2, s25 src0_sel:WORD_1 src1_sel:DWORD
	s_nop 1
	v_cndmask_b32_e64 v5, 0, 1, s[28:29]
; %bb.13:                               ;   in Loop: Header=BB5_5 Depth=1
	s_or_b64 exec, exec, s[22:23]
.LBB5_14:                               ;   in Loop: Header=BB5_5 Depth=1
	s_or_b64 exec, exec, s[20:21]
.LBB5_15:                               ;   in Loop: Header=BB5_5 Depth=1
	s_or_b64 exec, exec, s[18:19]
.LBB5_16:                               ;   in Loop: Header=BB5_5 Depth=1
	s_or_b64 exec, exec, s[16:17]
.LBB5_17:                               ;   in Loop: Header=BB5_5 Depth=1
	s_or_b64 exec, exec, s[14:15]
.LBB5_18:                               ;   in Loop: Header=BB5_5 Depth=1
	s_or_b64 exec, exec, s[4:5]
	v_cmp_lt_i32_e32 vcc, v9, v8
	s_nop 1
	v_cndmask_b32_e32 v2, v7, v9, vcc
	v_lshlrev_b32_e32 v2, 2, v2
	ds_bpermute_b32 v4, v2, v5
	v_cmp_ne_u32_e32 vcc, 0, v5
	s_waitcnt lgkmcnt(0)
	v_cmp_ne_u32_e64 s[4:5], 0, v4
	s_and_b64 s[4:5], vcc, s[4:5]
	v_cmp_lt_i32_e32 vcc, v10, v8
	v_cndmask_b32_e64 v5, 0, 1, s[4:5]
	s_nop 0
	v_cndmask_b32_e32 v4, v7, v10, vcc
	v_lshlrev_b32_e32 v4, 2, v4
	ds_bpermute_b32 v5, v4, v5
	s_waitcnt lgkmcnt(0)
	v_cmp_ne_u32_e32 vcc, 0, v5
	s_and_b64 s[4:5], vcc, s[4:5]
	v_cmp_lt_i32_e32 vcc, v11, v8
	v_cndmask_b32_e64 v14, 0, 1, s[4:5]
	s_nop 0
	v_cndmask_b32_e32 v5, v7, v11, vcc
	v_lshlrev_b32_e32 v5, 2, v5
	ds_bpermute_b32 v14, v5, v14
	s_waitcnt lgkmcnt(0)
	v_cmp_ne_u32_e32 vcc, 0, v14
	;; [unrolled: 9-line block ×3, first 2 shown]
	s_and_b64 s[4:5], vcc, s[4:5]
	v_cmp_lt_i32_e32 vcc, v13, v8
	v_cndmask_b32_e64 v16, 0, 1, s[4:5]
	s_nop 0
	v_cndmask_b32_e32 v15, v7, v13, vcc
	v_lshlrev_b32_e32 v15, 2, v15
	ds_bpermute_b32 v16, v15, v16
	s_and_saveexec_b64 s[14:15], s[0:1]
	s_cbranch_execz .LBB5_3
; %bb.19:                               ;   in Loop: Header=BB5_5 Depth=1
	s_waitcnt lgkmcnt(0)
	v_cmp_ne_u32_e32 vcc, 0, v16
	s_and_b64 s[4:5], vcc, s[4:5]
	v_cndmask_b32_e64 v16, 0, 1, s[4:5]
	ds_write_b32 v1, v16
	s_branch .LBB5_3
.LBB5_20:
	s_or_b64 exec, exec, s[12:13]
	v_cmp_eq_u32_e32 vcc, 0, v0
	s_and_saveexec_b64 s[0:1], vcc
	s_cbranch_execz .LBB5_22
; %bb.21:
	s_mul_i32 s0, s24, s3
	s_add_i32 s0, s0, s2
	s_ashr_i32 s1, s0, 31
	s_lshl_b64 s[0:1], s[0:1], 2
	s_add_u32 s0, s6, s0
	s_addc_u32 s1, s7, s1
	v_mov_b32_e32 v0, 0
	global_store_dword v0, v2, s[0:1]
.LBB5_22:
	s_endpgm
	.section	.rodata,"a",@progbits
	.p2align	6, 0x0
	.amdhsa_kernel _ZL25flash_attn_mask_to_KV_maxILi4EEvPK7__half2Piiii
		.amdhsa_group_segment_fixed_size 128
		.amdhsa_private_segment_fixed_size 0
		.amdhsa_kernarg_size 288
		.amdhsa_user_sgpr_count 2
		.amdhsa_user_sgpr_dispatch_ptr 0
		.amdhsa_user_sgpr_queue_ptr 0
		.amdhsa_user_sgpr_kernarg_segment_ptr 1
		.amdhsa_user_sgpr_dispatch_id 0
		.amdhsa_user_sgpr_kernarg_preload_length 0
		.amdhsa_user_sgpr_kernarg_preload_offset 0
		.amdhsa_user_sgpr_private_segment_size 0
		.amdhsa_uses_dynamic_stack 0
		.amdhsa_enable_private_segment 0
		.amdhsa_system_sgpr_workgroup_id_x 1
		.amdhsa_system_sgpr_workgroup_id_y 1
		.amdhsa_system_sgpr_workgroup_id_z 0
		.amdhsa_system_sgpr_workgroup_info 0
		.amdhsa_system_vgpr_workitem_id 0
		.amdhsa_next_free_vgpr 17
		.amdhsa_next_free_sgpr 30
		.amdhsa_accum_offset 20
		.amdhsa_reserve_vcc 1
		.amdhsa_float_round_mode_32 0
		.amdhsa_float_round_mode_16_64 0
		.amdhsa_float_denorm_mode_32 3
		.amdhsa_float_denorm_mode_16_64 3
		.amdhsa_dx10_clamp 1
		.amdhsa_ieee_mode 1
		.amdhsa_fp16_overflow 0
		.amdhsa_tg_split 0
		.amdhsa_exception_fp_ieee_invalid_op 0
		.amdhsa_exception_fp_denorm_src 0
		.amdhsa_exception_fp_ieee_div_zero 0
		.amdhsa_exception_fp_ieee_overflow 0
		.amdhsa_exception_fp_ieee_underflow 0
		.amdhsa_exception_fp_ieee_inexact 0
		.amdhsa_exception_int_div_zero 0
	.end_amdhsa_kernel
	.section	.text._ZL25flash_attn_mask_to_KV_maxILi4EEvPK7__half2Piiii,"axG",@progbits,_ZL25flash_attn_mask_to_KV_maxILi4EEvPK7__half2Piiii,comdat
.Lfunc_end5:
	.size	_ZL25flash_attn_mask_to_KV_maxILi4EEvPK7__half2Piiii, .Lfunc_end5-_ZL25flash_attn_mask_to_KV_maxILi4EEvPK7__half2Piiii
                                        ; -- End function
	.set _ZL25flash_attn_mask_to_KV_maxILi4EEvPK7__half2Piiii.num_vgpr, 17
	.set _ZL25flash_attn_mask_to_KV_maxILi4EEvPK7__half2Piiii.num_agpr, 0
	.set _ZL25flash_attn_mask_to_KV_maxILi4EEvPK7__half2Piiii.numbered_sgpr, 30
	.set _ZL25flash_attn_mask_to_KV_maxILi4EEvPK7__half2Piiii.num_named_barrier, 0
	.set _ZL25flash_attn_mask_to_KV_maxILi4EEvPK7__half2Piiii.private_seg_size, 0
	.set _ZL25flash_attn_mask_to_KV_maxILi4EEvPK7__half2Piiii.uses_vcc, 1
	.set _ZL25flash_attn_mask_to_KV_maxILi4EEvPK7__half2Piiii.uses_flat_scratch, 0
	.set _ZL25flash_attn_mask_to_KV_maxILi4EEvPK7__half2Piiii.has_dyn_sized_stack, 0
	.set _ZL25flash_attn_mask_to_KV_maxILi4EEvPK7__half2Piiii.has_recursion, 0
	.set _ZL25flash_attn_mask_to_KV_maxILi4EEvPK7__half2Piiii.has_indirect_call, 0
	.section	.AMDGPU.csdata,"",@progbits
; Kernel info:
; codeLenInByte = 988
; TotalNumSgprs: 36
; NumVgprs: 17
; NumAgprs: 0
; TotalNumVgprs: 17
; ScratchSize: 0
; MemoryBound: 0
; FloatMode: 240
; IeeeMode: 1
; LDSByteSize: 128 bytes/workgroup (compile time only)
; SGPRBlocks: 4
; VGPRBlocks: 2
; NumSGPRsForWavesPerEU: 36
; NumVGPRsForWavesPerEU: 17
; AccumOffset: 20
; Occupancy: 8
; WaveLimiterHint : 0
; COMPUTE_PGM_RSRC2:SCRATCH_EN: 0
; COMPUTE_PGM_RSRC2:USER_SGPR: 2
; COMPUTE_PGM_RSRC2:TRAP_HANDLER: 0
; COMPUTE_PGM_RSRC2:TGID_X_EN: 1
; COMPUTE_PGM_RSRC2:TGID_Y_EN: 1
; COMPUTE_PGM_RSRC2:TGID_Z_EN: 0
; COMPUTE_PGM_RSRC2:TIDIG_COMP_CNT: 0
; COMPUTE_PGM_RSRC3_GFX90A:ACCUM_OFFSET: 4
; COMPUTE_PGM_RSRC3_GFX90A:TG_SPLIT: 0
	.section	.text._ZL33flash_attn_stream_k_fixup_uniformILi64ELi4ELi4EEvPfPK15HIP_vector_typeIfLj2EEiiiiiiS1_IjLj3EES5_S5_,"axG",@progbits,_ZL33flash_attn_stream_k_fixup_uniformILi64ELi4ELi4EEvPfPK15HIP_vector_typeIfLj2EEiiiiiiS1_IjLj3EES5_S5_,comdat
	.globl	_ZL33flash_attn_stream_k_fixup_uniformILi64ELi4ELi4EEvPfPK15HIP_vector_typeIfLj2EEiiiiiiS1_IjLj3EES5_S5_ ; -- Begin function _ZL33flash_attn_stream_k_fixup_uniformILi64ELi4ELi4EEvPfPK15HIP_vector_typeIfLj2EEiiiiiiS1_IjLj3EES5_S5_
	.p2align	8
	.type	_ZL33flash_attn_stream_k_fixup_uniformILi64ELi4ELi4EEvPfPK15HIP_vector_typeIfLj2EEiiiiiiS1_IjLj3EES5_S5_,@function
_ZL33flash_attn_stream_k_fixup_uniformILi64ELi4ELi4EEvPfPK15HIP_vector_typeIfLj2EEiiiiiiS1_IjLj3EES5_S5_: ; @_ZL33flash_attn_stream_k_fixup_uniformILi64ELi4ELi4EEvPfPK15HIP_vector_typeIfLj2EEiiiiiiS1_IjLj3EES5_S5_
; %bb.0:
	s_load_dwordx8 s[8:15], s[0:1], 0x1c
	s_load_dwordx2 s[6:7], s[0:1], 0x10
	s_load_dwordx4 s[20:23], s[0:1], 0x3c
	s_waitcnt lgkmcnt(0)
	s_mul_hi_u32 s5, s11, s2
	s_add_i32 s5, s2, s5
	s_lshr_b32 s5, s5, s12
	s_mul_i32 s11, s5, s13
	s_sub_i32 s11, s2, s11
	s_mul_hi_u32 s12, s11, s14
	s_add_i32 s12, s11, s12
	s_lshr_b32 s16, s12, s15
	s_mul_i32 s12, s16, s20
	s_sub_i32 s11, s11, s12
	;; [unrolled: 5-line block ×3, first 2 shown]
	s_lshl_b32 s11, s12, 2
	s_lshl_b32 s12, s17, 2
	s_add_i32 s12, s12, s3
	s_cmp_lt_i32 s12, s6
	s_cselect_b64 s[12:13], -1, 0
	s_add_i32 s14, s11, s4
	s_cmp_lt_i32 s14, s9
	s_cselect_b64 s[14:15], -1, 0
	s_and_b64 s[12:13], s[12:13], s[14:15]
	s_andn2_b64 vcc, exec, s[12:13]
	s_cbranch_vccnz .LBB6_6
; %bb.1:
	s_load_dwordx4 s[12:15], s[0:1], 0x0
	s_mul_i32 s0, s5, s6
	s_add_i32 s0, s0, s3
	s_mul_i32 s0, s0, s7
	s_mul_i32 s16, s16, s9
	s_add_i32 s0, s0, s4
	s_add_i32 s0, s0, s16
	s_mul_i32 s1, s7, s17
	s_add_i32 s0, s0, s11
	s_lshl_b32 s1, s1, 8
	s_lshl_b32 s0, s0, 6
	s_add_i32 s1, s1, s0
	v_or_b32_e32 v4, s1, v0
	s_waitcnt lgkmcnt(0)
	v_mov_b32_e32 v2, s12
	v_mov_b32_e32 v3, s13
	v_ashrrev_i32_e32 v5, 31, v4
	v_lshl_add_u64 v[2:3], v[4:5], 2, v[2:3]
	global_load_dword v5, v[2:3], off
	s_mul_i32 s5, s10, s2
	s_lshl_b32 s11, s3, 2
	s_add_i32 s9, s5, s10
	s_add_i32 s0, s11, s4
	s_lshl_b32 s1, s9, 4
	s_add_i32 s0, s0, s1
	s_add_i32 s0, s0, -16
	s_ashr_i32 s1, s0, 31
	s_lshl_b64 s[0:1], s[0:1], 3
	s_add_u32 s0, s14, s0
	s_addc_u32 s1, s15, s1
	s_load_dword s12, s[0:1], 0x4
	s_add_i32 s6, s9, -2
	s_cmp_lt_i32 s6, s5
	s_cbranch_scc1 .LBB6_4
; %bb.2:
	s_lshl_b32 s6, s8, 6
	s_ashr_i32 s7, s6, 31
	s_lshl_b64 s[6:7], s[6:7], 2
	s_add_u32 s6, s14, s6
	s_addc_u32 s7, s15, s7
	s_add_i32 s2, s2, 1
	s_load_dword s0, s[0:1], 0x0
	s_mul_i32 s1, s10, s2
	s_lshl_b32 s3, s3, 8
	s_lshl_b32 s10, s4, 6
	;; [unrolled: 1-line block ×3, first 2 shown]
	s_add_i32 s3, s10, s3
	s_lshl_b32 s1, s1, 4
	s_add_i32 s3, s3, s2
	s_add_i32 s1, s4, s1
	s_lshl_b32 s2, s8, 4
	s_add_i32 s1, s1, s2
	v_or_b32_e32 v0, s3, v0
	s_add_i32 s1, s1, s11
	s_add_i32 s9, s9, -1
	v_add_u32_e32 v0, 0xfffff800, v0
	s_sub_i32 s2, s1, 32
	s_waitcnt lgkmcnt(0)
	v_mov_b32_e32 v7, s0
	v_mov_b32_e32 v4, s12
	s_mov_b32 s4, 0x3fb8aa3b
	s_mov_b32 s8, 0xc2ce8ed0
	s_mov_b32 s10, 0x42b17218
	v_mov_b32_e32 v6, 0x7f800000
	s_mov_b32 s11, 0xc1a00000
.LBB6_3:                                ; =>This Inner Loop Header: Depth=1
	v_ashrrev_i32_e32 v1, 31, v0
	v_lshl_add_u64 v[8:9], v[0:1], 2, s[6:7]
	global_load_dword v9, v[8:9], off
	s_ashr_i32 s3, s2, 31
	s_lshl_b64 s[0:1], s[2:3], 3
	s_add_u32 s0, s14, s0
	s_addc_u32 s1, s15, s1
	s_load_dwordx2 s[0:1], s[0:1], 0x0
	v_max_f32_e32 v1, v7, v7
	s_add_i32 s9, s9, -1
	s_add_i32 s2, s2, -16
	v_add_u32_e32 v0, 0xfffffc00, v0
	s_waitcnt lgkmcnt(0)
	v_max_f32_e64 v10, s0, s0
	v_max_f32_e32 v1, v1, v10
	v_sub_f32_e32 v11, s0, v1
	v_sub_f32_e32 v10, v7, v1
	v_mul_f32_e32 v12, 0x3fb8aa3b, v11
	v_mov_b32_e32 v7, v1
	v_mul_f32_e32 v1, 0x3fb8aa3b, v10
	v_fma_f32 v15, v11, s4, -v12
	v_rndne_f32_e32 v16, v12
	v_fma_f32 v13, v10, s4, -v1
	v_rndne_f32_e32 v14, v1
	v_fmac_f32_e32 v15, 0x32a5705f, v11
	v_sub_f32_e32 v12, v12, v16
	v_fmac_f32_e32 v13, 0x32a5705f, v10
	v_sub_f32_e32 v1, v1, v14
	v_add_f32_e32 v12, v12, v15
	v_cvt_i32_f32_e32 v16, v16
	v_add_f32_e32 v1, v1, v13
	v_exp_f32_e32 v12, v12
	v_cvt_i32_f32_e32 v14, v14
	v_exp_f32_e32 v1, v1
	v_cmp_ngt_f32_e32 vcc, s8, v11
	v_ldexp_f32 v12, v12, v16
	v_mov_b32_e32 v8, s1
	v_ldexp_f32 v1, v1, v14
	v_cmp_ngt_f32_e64 s[0:1], s8, v10
	v_cndmask_b32_e32 v12, 0, v12, vcc
	v_cmp_nlt_f32_e32 vcc, s10, v11
	v_cndmask_b32_e64 v1, 0, v1, s[0:1]
	v_cmp_nlt_f32_e64 s[0:1], s10, v10
	v_cndmask_b32_e32 v12, v6, v12, vcc
	v_cmp_le_f32_e32 vcc, s11, v11
	v_cndmask_b32_e64 v1, v6, v1, s[0:1]
	v_cmp_le_f32_e64 s[0:1], s11, v10
	v_cndmask_b32_e32 v12, 0, v12, vcc
	s_cmp_le_i32 s9, s5
	v_cndmask_b32_e64 v10, 0, v1, s[0:1]
	s_waitcnt vmcnt(0)
	v_pk_mul_f32 v[8:9], v[8:9], v[12:13] op_sel_hi:[1,0]
	s_nop 0
	v_pk_fma_f32 v[4:5], v[4:5], v[10:11], v[8:9] op_sel_hi:[1,0,1]
	s_cbranch_scc0 .LBB6_3
	s_branch .LBB6_5
.LBB6_4:
	s_waitcnt lgkmcnt(0)
	v_mov_b32_e32 v4, s12
.LBB6_5:
	s_waitcnt vmcnt(0)
	v_div_scale_f32 v0, s[0:1], v4, v4, v5
	v_rcp_f32_e32 v1, v0
	v_div_scale_f32 v6, vcc, v5, v4, v5
	v_fma_f32 v7, -v0, v1, 1.0
	v_fmac_f32_e32 v1, v7, v1
	v_mul_f32_e32 v7, v6, v1
	v_fma_f32 v8, -v0, v7, v6
	v_fmac_f32_e32 v7, v8, v1
	v_fma_f32 v0, -v0, v7, v6
	v_div_fmas_f32 v0, v0, v1, v7
	v_div_fixup_f32 v0, v0, v4, v5
	global_store_dword v[2:3], v0, off
.LBB6_6:
	s_endpgm
	.section	.rodata,"a",@progbits
	.p2align	6, 0x0
	.amdhsa_kernel _ZL33flash_attn_stream_k_fixup_uniformILi64ELi4ELi4EEvPfPK15HIP_vector_typeIfLj2EEiiiiiiS1_IjLj3EES5_S5_
		.amdhsa_group_segment_fixed_size 0
		.amdhsa_private_segment_fixed_size 0
		.amdhsa_kernarg_size 76
		.amdhsa_user_sgpr_count 2
		.amdhsa_user_sgpr_dispatch_ptr 0
		.amdhsa_user_sgpr_queue_ptr 0
		.amdhsa_user_sgpr_kernarg_segment_ptr 1
		.amdhsa_user_sgpr_dispatch_id 0
		.amdhsa_user_sgpr_kernarg_preload_length 0
		.amdhsa_user_sgpr_kernarg_preload_offset 0
		.amdhsa_user_sgpr_private_segment_size 0
		.amdhsa_uses_dynamic_stack 0
		.amdhsa_enable_private_segment 0
		.amdhsa_system_sgpr_workgroup_id_x 1
		.amdhsa_system_sgpr_workgroup_id_y 1
		.amdhsa_system_sgpr_workgroup_id_z 1
		.amdhsa_system_sgpr_workgroup_info 0
		.amdhsa_system_vgpr_workitem_id 0
		.amdhsa_next_free_vgpr 17
		.amdhsa_next_free_sgpr 24
		.amdhsa_accum_offset 20
		.amdhsa_reserve_vcc 1
		.amdhsa_float_round_mode_32 0
		.amdhsa_float_round_mode_16_64 0
		.amdhsa_float_denorm_mode_32 3
		.amdhsa_float_denorm_mode_16_64 3
		.amdhsa_dx10_clamp 1
		.amdhsa_ieee_mode 1
		.amdhsa_fp16_overflow 0
		.amdhsa_tg_split 0
		.amdhsa_exception_fp_ieee_invalid_op 0
		.amdhsa_exception_fp_denorm_src 0
		.amdhsa_exception_fp_ieee_div_zero 0
		.amdhsa_exception_fp_ieee_overflow 0
		.amdhsa_exception_fp_ieee_underflow 0
		.amdhsa_exception_fp_ieee_inexact 0
		.amdhsa_exception_int_div_zero 0
	.end_amdhsa_kernel
	.section	.text._ZL33flash_attn_stream_k_fixup_uniformILi64ELi4ELi4EEvPfPK15HIP_vector_typeIfLj2EEiiiiiiS1_IjLj3EES5_S5_,"axG",@progbits,_ZL33flash_attn_stream_k_fixup_uniformILi64ELi4ELi4EEvPfPK15HIP_vector_typeIfLj2EEiiiiiiS1_IjLj3EES5_S5_,comdat
.Lfunc_end6:
	.size	_ZL33flash_attn_stream_k_fixup_uniformILi64ELi4ELi4EEvPfPK15HIP_vector_typeIfLj2EEiiiiiiS1_IjLj3EES5_S5_, .Lfunc_end6-_ZL33flash_attn_stream_k_fixup_uniformILi64ELi4ELi4EEvPfPK15HIP_vector_typeIfLj2EEiiiiiiS1_IjLj3EES5_S5_
                                        ; -- End function
	.set _ZL33flash_attn_stream_k_fixup_uniformILi64ELi4ELi4EEvPfPK15HIP_vector_typeIfLj2EEiiiiiiS1_IjLj3EES5_S5_.num_vgpr, 17
	.set _ZL33flash_attn_stream_k_fixup_uniformILi64ELi4ELi4EEvPfPK15HIP_vector_typeIfLj2EEiiiiiiS1_IjLj3EES5_S5_.num_agpr, 0
	.set _ZL33flash_attn_stream_k_fixup_uniformILi64ELi4ELi4EEvPfPK15HIP_vector_typeIfLj2EEiiiiiiS1_IjLj3EES5_S5_.numbered_sgpr, 24
	.set _ZL33flash_attn_stream_k_fixup_uniformILi64ELi4ELi4EEvPfPK15HIP_vector_typeIfLj2EEiiiiiiS1_IjLj3EES5_S5_.num_named_barrier, 0
	.set _ZL33flash_attn_stream_k_fixup_uniformILi64ELi4ELi4EEvPfPK15HIP_vector_typeIfLj2EEiiiiiiS1_IjLj3EES5_S5_.private_seg_size, 0
	.set _ZL33flash_attn_stream_k_fixup_uniformILi64ELi4ELi4EEvPfPK15HIP_vector_typeIfLj2EEiiiiiiS1_IjLj3EES5_S5_.uses_vcc, 1
	.set _ZL33flash_attn_stream_k_fixup_uniformILi64ELi4ELi4EEvPfPK15HIP_vector_typeIfLj2EEiiiiiiS1_IjLj3EES5_S5_.uses_flat_scratch, 0
	.set _ZL33flash_attn_stream_k_fixup_uniformILi64ELi4ELi4EEvPfPK15HIP_vector_typeIfLj2EEiiiiiiS1_IjLj3EES5_S5_.has_dyn_sized_stack, 0
	.set _ZL33flash_attn_stream_k_fixup_uniformILi64ELi4ELi4EEvPfPK15HIP_vector_typeIfLj2EEiiiiiiS1_IjLj3EES5_S5_.has_recursion, 0
	.set _ZL33flash_attn_stream_k_fixup_uniformILi64ELi4ELi4EEvPfPK15HIP_vector_typeIfLj2EEiiiiiiS1_IjLj3EES5_S5_.has_indirect_call, 0
	.section	.AMDGPU.csdata,"",@progbits
; Kernel info:
; codeLenInByte = 836
; TotalNumSgprs: 30
; NumVgprs: 17
; NumAgprs: 0
; TotalNumVgprs: 17
; ScratchSize: 0
; MemoryBound: 0
; FloatMode: 240
; IeeeMode: 1
; LDSByteSize: 0 bytes/workgroup (compile time only)
; SGPRBlocks: 3
; VGPRBlocks: 2
; NumSGPRsForWavesPerEU: 30
; NumVGPRsForWavesPerEU: 17
; AccumOffset: 20
; Occupancy: 8
; WaveLimiterHint : 0
; COMPUTE_PGM_RSRC2:SCRATCH_EN: 0
; COMPUTE_PGM_RSRC2:USER_SGPR: 2
; COMPUTE_PGM_RSRC2:TRAP_HANDLER: 0
; COMPUTE_PGM_RSRC2:TGID_X_EN: 1
; COMPUTE_PGM_RSRC2:TGID_Y_EN: 1
; COMPUTE_PGM_RSRC2:TGID_Z_EN: 1
; COMPUTE_PGM_RSRC2:TIDIG_COMP_CNT: 0
; COMPUTE_PGM_RSRC3_GFX90A:ACCUM_OFFSET: 4
; COMPUTE_PGM_RSRC3_GFX90A:TG_SPLIT: 0
	.section	.text._ZL33flash_attn_stream_k_fixup_generalILi64ELi4ELi4EEvPfPK15HIP_vector_typeIfLj2EEiiiiS1_IjLj3EES5_S5_S5_,"axG",@progbits,_ZL33flash_attn_stream_k_fixup_generalILi64ELi4ELi4EEvPfPK15HIP_vector_typeIfLj2EEiiiiS1_IjLj3EES5_S5_S5_,comdat
	.globl	_ZL33flash_attn_stream_k_fixup_generalILi64ELi4ELi4EEvPfPK15HIP_vector_typeIfLj2EEiiiiS1_IjLj3EES5_S5_S5_ ; -- Begin function _ZL33flash_attn_stream_k_fixup_generalILi64ELi4ELi4EEvPfPK15HIP_vector_typeIfLj2EEiiiiS1_IjLj3EES5_S5_S5_
	.p2align	8
	.type	_ZL33flash_attn_stream_k_fixup_generalILi64ELi4ELi4EEvPfPK15HIP_vector_typeIfLj2EEiiiiS1_IjLj3EES5_S5_S5_,@function
_ZL33flash_attn_stream_k_fixup_generalILi64ELi4ELi4EEvPfPK15HIP_vector_typeIfLj2EEiiiiS1_IjLj3EES5_S5_S5_: ; @_ZL33flash_attn_stream_k_fixup_generalILi64ELi4ELi4EEvPfPK15HIP_vector_typeIfLj2EEiiiiS1_IjLj3EES5_S5_S5_
; %bb.0:
	s_load_dwordx4 s[8:11], s[0:1], 0x10
	s_load_dword s22, s[0:1], 0x50
	s_mov_b32 s12, 0
	s_waitcnt lgkmcnt(0)
	s_mul_hi_i32 s13, s11, s2
	s_cmp_lg_u64 s[12:13], 0
	s_mul_i32 s5, s11, s2
	s_cbranch_scc0 .LBB7_20
; %bb.1:
	s_add_u32 s6, s22, 0
	s_addc_u32 s7, 0, 0
	s_xor_b64 s[6:7], s[6:7], 0
	v_cvt_f32_u32_e32 v1, s6
	v_cvt_f32_u32_e32 v2, s7
	s_sub_u32 s12, 0, s6
	s_subb_u32 s18, 0, s7
	v_fmamk_f32 v1, v2, 0x4f800000, v1
	v_rcp_f32_e32 v1, v1
	s_nop 0
	v_mul_f32_e32 v1, 0x5f7ffffc, v1
	v_mul_f32_e32 v2, 0x2f800000, v1
	v_trunc_f32_e32 v2, v2
	v_fmamk_f32 v1, v2, 0xcf800000, v1
	v_cvt_u32_f32_e32 v2, v2
	v_cvt_u32_f32_e32 v1, v1
	v_readfirstlane_b32 s19, v2
	v_readfirstlane_b32 s14, v1
	s_mul_i32 s15, s12, s19
	s_mul_hi_u32 s21, s12, s14
	s_mul_i32 s20, s18, s14
	s_add_i32 s15, s21, s15
	s_add_i32 s15, s15, s20
	s_mul_i32 s23, s12, s14
	s_mul_i32 s21, s14, s15
	s_mul_hi_u32 s24, s14, s23
	s_mul_hi_u32 s20, s14, s15
	s_add_u32 s21, s24, s21
	s_addc_u32 s20, 0, s20
	s_mul_hi_u32 s25, s19, s23
	s_mul_i32 s23, s19, s23
	s_add_u32 s21, s21, s23
	s_mul_hi_u32 s24, s19, s15
	s_addc_u32 s20, s20, s25
	s_addc_u32 s21, s24, 0
	s_mul_i32 s15, s19, s15
	s_add_u32 s15, s20, s15
	s_addc_u32 s20, 0, s21
	s_add_u32 s21, s14, s15
	s_cselect_b64 s[14:15], -1, 0
	s_cmp_lg_u64 s[14:15], 0
	s_addc_u32 s19, s19, s20
	s_mul_i32 s14, s12, s19
	s_mul_hi_u32 s15, s12, s21
	s_add_i32 s14, s15, s14
	s_mul_i32 s18, s18, s21
	s_add_i32 s14, s14, s18
	s_mul_i32 s12, s12, s21
	s_mul_hi_u32 s18, s19, s12
	s_mul_i32 s20, s19, s12
	s_mul_i32 s24, s21, s14
	s_mul_hi_u32 s12, s21, s12
	s_mul_hi_u32 s23, s21, s14
	s_add_u32 s12, s12, s24
	s_addc_u32 s23, 0, s23
	s_add_u32 s12, s12, s20
	s_mul_hi_u32 s15, s19, s14
	s_addc_u32 s12, s23, s18
	s_addc_u32 s15, s15, 0
	s_mul_i32 s14, s19, s14
	s_add_u32 s12, s12, s14
	s_addc_u32 s18, 0, s15
	s_add_u32 s20, s21, s12
	s_cselect_b64 s[14:15], -1, 0
	s_cmp_lg_u64 s[14:15], 0
	s_addc_u32 s18, s19, s18
	s_ashr_i32 s14, s13, 31
	s_add_u32 s12, s5, s14
	s_mov_b32 s15, s14
	s_addc_u32 s13, s13, s14
	s_xor_b64 s[12:13], s[12:13], s[14:15]
	s_mul_i32 s21, s12, s18
	s_mul_hi_u32 s23, s12, s20
	s_mul_hi_u32 s19, s12, s18
	s_add_u32 s21, s23, s21
	s_addc_u32 s19, 0, s19
	s_mul_hi_u32 s24, s13, s20
	s_mul_i32 s20, s13, s20
	s_add_u32 s20, s21, s20
	s_mul_hi_u32 s23, s13, s18
	s_addc_u32 s19, s19, s24
	s_addc_u32 s20, s23, 0
	s_mul_i32 s18, s13, s18
	s_add_u32 s23, s19, s18
	s_addc_u32 s24, 0, s20
	s_mul_i32 s18, s6, s24
	s_mul_hi_u32 s19, s6, s23
	s_add_i32 s18, s19, s18
	s_mul_i32 s19, s7, s23
	s_add_i32 s25, s18, s19
	s_sub_i32 s20, s13, s25
	s_mul_i32 s18, s6, s23
	s_sub_u32 s12, s12, s18
	s_cselect_b64 s[18:19], -1, 0
	s_cmp_lg_u64 s[18:19], 0
	s_subb_u32 s26, s20, s7
	s_sub_u32 s27, s12, s6
	s_cselect_b64 s[20:21], -1, 0
	s_cmp_lg_u64 s[20:21], 0
	s_subb_u32 s20, s26, 0
	s_cmp_ge_u32 s20, s7
	s_cselect_b32 s21, -1, 0
	s_cmp_ge_u32 s27, s6
	s_cselect_b32 s26, -1, 0
	s_cmp_eq_u32 s20, s7
	s_cselect_b32 s20, s26, s21
	s_add_u32 s21, s23, 1
	s_addc_u32 s26, s24, 0
	s_add_u32 s27, s23, 2
	s_addc_u32 s28, s24, 0
	s_cmp_lg_u32 s20, 0
	s_cselect_b32 s20, s27, s21
	s_cselect_b32 s21, s28, s26
	s_cmp_lg_u64 s[18:19], 0
	s_subb_u32 s13, s13, s25
	s_cmp_ge_u32 s13, s7
	s_cselect_b32 s18, -1, 0
	s_cmp_ge_u32 s12, s6
	s_cselect_b32 s6, -1, 0
	s_cmp_eq_u32 s13, s7
	s_cselect_b32 s6, s6, s18
	s_cmp_lg_u32 s6, 0
	s_cselect_b32 s7, s21, s24
	s_cselect_b32 s6, s20, s23
	s_xor_b64 s[12:13], s[14:15], 0
	s_xor_b64 s[6:7], s[6:7], s[12:13]
	s_sub_u32 s6, s6, s12
	s_load_dwordx4 s[12:15], s[0:1], 0x44
	s_cbranch_execnz .LBB7_3
.LBB7_2:
	v_cvt_f32_u32_e32 v1, s22
	s_sub_i32 s6, 0, s22
	v_rcp_iflag_f32_e32 v1, v1
	s_nop 0
	v_mul_f32_e32 v1, 0x4f7ffffe, v1
	v_cvt_u32_f32_e32 v1, v1
	s_nop 0
	v_readfirstlane_b32 s7, v1
	s_mul_i32 s6, s6, s7
	s_mul_hi_u32 s6, s7, s6
	s_add_i32 s7, s7, s6
	s_mul_hi_u32 s6, s5, s7
	s_waitcnt lgkmcnt(0)
	s_mul_i32 s15, s6, s22
	s_sub_i32 s5, s5, s15
	s_add_i32 s7, s6, 1
	s_sub_i32 s15, s5, s22
	s_cmp_ge_u32 s5, s22
	s_cselect_b32 s6, s7, s6
	s_cselect_b32 s5, s15, s5
	s_add_i32 s7, s6, 1
	s_cmp_ge_u32 s5, s22
	s_cselect_b32 s6, s7, s6
.LBB7_3:
	s_add_i32 s5, s2, 1
	s_mul_hi_i32 s21, s11, s5
	s_mov_b32 s20, 0
	s_cmp_lg_u64 s[20:21], 0
	s_mul_i32 s5, s11, s5
	s_cbranch_scc0 .LBB7_21
; %bb.4:
	s_add_u32 s16, s22, 0
	s_addc_u32 s17, 0, 0
	s_xor_b64 s[18:19], s[16:17], 0
	v_cvt_f32_u32_e32 v1, s18
	v_cvt_f32_u32_e32 v2, s19
	s_sub_u32 s7, 0, s18
	s_waitcnt lgkmcnt(0)
	s_subb_u32 s15, 0, s19
	v_fmamk_f32 v1, v2, 0x4f800000, v1
	v_rcp_f32_e32 v1, v1
	s_nop 0
	v_mul_f32_e32 v1, 0x5f7ffffc, v1
	v_mul_f32_e32 v2, 0x2f800000, v1
	v_trunc_f32_e32 v2, v2
	v_fmamk_f32 v1, v2, 0xcf800000, v1
	v_cvt_u32_f32_e32 v2, v2
	v_cvt_u32_f32_e32 v1, v1
	v_readfirstlane_b32 s20, v2
	v_readfirstlane_b32 s23, v1
	s_mul_i32 s24, s7, s20
	s_mul_hi_u32 s26, s7, s23
	s_mul_i32 s25, s15, s23
	s_add_i32 s24, s26, s24
	s_add_i32 s24, s24, s25
	s_mul_i32 s27, s7, s23
	s_mul_i32 s26, s23, s24
	s_mul_hi_u32 s28, s23, s27
	s_mul_hi_u32 s25, s23, s24
	s_add_u32 s26, s28, s26
	s_addc_u32 s25, 0, s25
	s_mul_hi_u32 s29, s20, s27
	s_mul_i32 s27, s20, s27
	s_add_u32 s26, s26, s27
	s_mul_hi_u32 s28, s20, s24
	s_addc_u32 s25, s25, s29
	s_addc_u32 s26, s28, 0
	s_mul_i32 s24, s20, s24
	s_add_u32 s24, s25, s24
	s_addc_u32 s26, 0, s26
	s_add_u32 s23, s23, s24
	s_cselect_b64 s[24:25], -1, 0
	s_cmp_lg_u64 s[24:25], 0
	s_addc_u32 s20, s20, s26
	s_mul_i32 s24, s7, s20
	s_mul_hi_u32 s25, s7, s23
	s_add_i32 s24, s25, s24
	s_mul_i32 s15, s15, s23
	s_add_i32 s24, s24, s15
	s_mul_i32 s7, s7, s23
	s_mul_hi_u32 s25, s20, s7
	s_mul_i32 s26, s20, s7
	s_mul_i32 s28, s23, s24
	s_mul_hi_u32 s7, s23, s7
	s_mul_hi_u32 s27, s23, s24
	s_add_u32 s7, s7, s28
	s_addc_u32 s27, 0, s27
	s_add_u32 s7, s7, s26
	s_mul_hi_u32 s15, s20, s24
	s_addc_u32 s7, s27, s25
	s_addc_u32 s15, s15, 0
	s_mul_i32 s24, s20, s24
	s_add_u32 s7, s7, s24
	s_addc_u32 s15, 0, s15
	s_add_u32 s7, s23, s7
	s_cselect_b64 s[24:25], -1, 0
	s_cmp_lg_u64 s[24:25], 0
	s_addc_u32 s15, s20, s15
	s_ashr_i32 s24, s21, 31
	s_add_u32 s20, s5, s24
	s_mov_b32 s25, s24
	s_addc_u32 s21, s21, s24
	s_xor_b64 s[20:21], s[20:21], s[24:25]
	s_mul_i32 s26, s20, s15
	s_mul_hi_u32 s27, s20, s7
	s_mul_hi_u32 s23, s20, s15
	s_add_u32 s26, s27, s26
	s_addc_u32 s23, 0, s23
	s_mul_hi_u32 s28, s21, s7
	s_mul_i32 s7, s21, s7
	s_add_u32 s7, s26, s7
	s_mul_hi_u32 s27, s21, s15
	s_addc_u32 s7, s23, s28
	s_addc_u32 s23, s27, 0
	s_mul_i32 s15, s21, s15
	s_add_u32 s7, s7, s15
	s_addc_u32 s15, 0, s23
	s_mul_i32 s23, s18, s15
	s_mul_hi_u32 s26, s18, s7
	s_add_i32 s23, s26, s23
	s_mul_i32 s26, s19, s7
	s_add_i32 s23, s23, s26
	s_sub_i32 s28, s21, s23
	s_mul_i32 s26, s18, s7
	s_sub_u32 s20, s20, s26
	s_cselect_b64 s[26:27], -1, 0
	s_cmp_lg_u64 s[26:27], 0
	s_subb_u32 s30, s28, s19
	s_sub_u32 s31, s20, s18
	s_cselect_b64 s[28:29], -1, 0
	s_cmp_lg_u64 s[28:29], 0
	s_subb_u32 s28, s30, 0
	s_cmp_ge_u32 s28, s19
	s_cselect_b32 s29, -1, 0
	s_cmp_ge_u32 s31, s18
	s_cselect_b32 s30, -1, 0
	s_cmp_eq_u32 s28, s19
	s_cselect_b32 s28, s30, s29
	s_add_u32 s29, s7, 1
	s_addc_u32 s30, s15, 0
	s_add_u32 s31, s7, 2
	s_addc_u32 s33, s15, 0
	s_cmp_lg_u32 s28, 0
	s_cselect_b32 s28, s31, s29
	s_cselect_b32 s29, s33, s30
	s_cmp_lg_u64 s[26:27], 0
	s_subb_u32 s21, s21, s23
	s_cmp_ge_u32 s21, s19
	s_cselect_b32 s23, -1, 0
	s_cmp_ge_u32 s20, s18
	s_cselect_b32 s18, -1, 0
	s_cmp_eq_u32 s21, s19
	s_cselect_b32 s18, s18, s23
	s_cmp_lg_u32 s18, 0
	s_cselect_b32 s19, s29, s15
	s_cselect_b32 s18, s28, s7
	s_xor_b64 s[20:21], s[24:25], 0
	s_xor_b64 s[18:19], s[18:19], s[20:21]
	s_sub_u32 s18, s18, s20
	s_cbranch_execnz .LBB7_6
.LBB7_5:
	v_cvt_f32_u32_e32 v1, s22
	s_sub_i32 s7, 0, s22
	v_rcp_iflag_f32_e32 v1, v1
	s_nop 0
	v_mul_f32_e32 v1, 0x4f7ffffe, v1
	v_cvt_u32_f32_e32 v1, v1
	s_waitcnt lgkmcnt(0)
	v_readfirstlane_b32 s15, v1
	s_mul_i32 s7, s7, s15
	s_mul_hi_u32 s7, s15, s7
	s_add_i32 s15, s15, s7
	s_mul_hi_u32 s7, s5, s15
	s_mul_i32 s16, s7, s22
	s_sub_i32 s5, s5, s16
	s_add_i32 s15, s7, 1
	s_sub_i32 s16, s5, s22
	s_cmp_ge_u32 s5, s22
	s_cselect_b32 s7, s15, s7
	s_cselect_b32 s5, s16, s5
	s_add_i32 s15, s7, 1
	s_cmp_ge_u32 s5, s22
	s_cselect_b32 s18, s15, s7
.LBB7_6:
	s_cmp_eq_u32 s6, s18
	s_waitcnt lgkmcnt(0)
	s_mul_hi_u32 s5, s6, s12
	s_cselect_b64 s[16:17], -1, 0
	s_add_i32 s5, s5, s6
	s_lshr_b32 s7, s5, s13
	s_mul_i32 s5, s7, s14
	s_cmp_eq_u32 s5, s6
	s_mul_hi_u32 s5, s18, s12
	s_cselect_b64 s[20:21], -1, 0
	s_add_i32 s5, s5, s18
	s_lshr_b32 s5, s5, s13
	s_cmp_eq_u32 s7, s5
	s_mul_i32 s5, s5, s14
	s_cselect_b64 s[24:25], -1, 0
	s_cmp_lg_u32 s5, s18
	s_cselect_b64 s[18:19], -1, 0
	s_and_b64 s[18:19], s[24:25], s[18:19]
	s_or_b64 s[16:17], s[16:17], s[20:21]
	s_or_b64 s[16:17], s[16:17], s[18:19]
	s_and_b64 vcc, exec, s[16:17]
	s_cbranch_vccnz .LBB7_23
; %bb.7:
	s_load_dwordx8 s[24:31], s[0:1], 0x20
	s_load_dword s15, s[0:1], 0x40
	s_waitcnt lgkmcnt(0)
	s_mul_hi_u32 s5, s6, s24
	s_add_i32 s5, s5, s6
	s_lshr_b32 s5, s5, s25
	s_mul_i32 s16, s5, s26
	s_sub_i32 s16, s6, s16
	s_mul_hi_u32 s17, s16, s27
	s_add_i32 s17, s16, s17
	s_lshr_b32 s20, s17, s28
	s_mul_i32 s17, s20, s29
	s_sub_i32 s16, s16, s17
	;; [unrolled: 5-line block ×3, first 2 shown]
	s_mul_hi_u32 s16, s15, s12
	s_add_i32 s15, s15, s16
	s_lshr_b32 s23, s15, s13
	s_lshl_b32 s15, s23, 2
	s_lshl_b32 s21, s17, 2
	s_add_i32 s15, s15, s3
	s_cmp_lt_i32 s15, s8
	s_cselect_b64 s[16:17], -1, 0
	s_add_i32 s15, s21, s4
	s_cmp_lt_i32 s15, s10
	s_cselect_b64 s[18:19], -1, 0
	s_and_b64 s[16:17], s[16:17], s[18:19]
	s_andn2_b64 vcc, exec, s[16:17]
	s_cbranch_vccnz .LBB7_23
; %bb.8:
	s_load_dwordx4 s[16:19], s[0:1], 0x0
	s_mov_b32 s0, 0
	s_lshl_b32 s15, s3, 2
	s_lshl_b32 s24, s22, 6
	s_mov_b32 s25, s0
	s_add_i32 s15, s15, s4
	s_waitcnt lgkmcnt(0)
	v_mov_b32_e32 v2, s16
	v_mov_b32_e32 v3, s17
	s_lshl_b64 s[16:17], s[24:25], 2
	s_add_u32 s16, s18, s16
	s_mul_i32 s1, s5, s8
	s_addc_u32 s17, s19, s17
	s_add_i32 s1, s1, s3
	s_mul_i32 s1, s1, s9
	s_mul_i32 s20, s20, s10
	s_add_i32 s1, s1, s4
	s_add_i32 s1, s1, s20
	s_mul_i32 s5, s9, s23
	s_add_i32 s1, s1, s21
	s_lshl_b32 s5, s5, 8
	s_lshl_b32 s1, s1, 6
	s_add_i32 s5, s5, s1
	v_or_b32_e32 v4, s5, v0
	v_ashrrev_i32_e32 v5, 31, v4
	v_lshl_add_u64 v[2:3], v[4:5], 2, v[2:3]
	global_load_dword v1, v[2:3], off
	v_cvt_f32_u32_e32 v4, s22
	s_lshl_b32 s1, s2, 4
	s_add_i32 s4, s15, s1
	s_ashr_i32 s5, s4, 31
	s_lshl_b64 s[4:5], s[4:5], 3
	v_rcp_iflag_f32_e32 v4, v4
	s_add_u32 s4, s18, s4
	s_addc_u32 s5, s19, s5
	s_load_dwordx2 s[4:5], s[4:5], 0x0
	v_mul_f32_e32 v4, 0x4f7ffffe, v4
	v_cvt_u32_f32_e32 v7, v4
	s_add_i32 s24, s2, -1
	v_lshl_or_b32 v6, s15, 6, v0
	s_waitcnt lgkmcnt(0)
	v_mov_b32_e32 v0, s5
	v_mov_b32_e32 v9, s4
	s_mov_b32 s10, 0x3fb8aa3b
	s_mov_b32 s20, 0xc2ce8ed0
	;; [unrolled: 1-line block ×4, first 2 shown]
	v_mov_b32_e32 v8, 0x7f800000
	s_mul_hi_i32 s1, s24, s11
	s_cmp_lg_u64 s[0:1], 0
	s_mul_i32 s8, s24, s11
	s_cbranch_scc0 .LBB7_19
.LBB7_9:
	s_add_u32 s2, s22, 0
	s_addc_u32 s3, 0, 0
	s_xor_b64 s[2:3], s[2:3], 0
	v_cvt_f32_u32_e32 v4, s2
	v_cvt_f32_u32_e32 v5, s3
	s_sub_u32 s9, 0, s2
	s_subb_u32 s25, 0, s3
	v_fmac_f32_e32 v4, 0x4f800000, v5
	v_rcp_f32_e32 v4, v4
	s_nop 0
	v_mul_f32_e32 v4, 0x5f7ffffc, v4
	v_mul_f32_e32 v5, 0x2f800000, v4
	v_trunc_f32_e32 v5, v5
	v_fmac_f32_e32 v4, 0xcf800000, v5
	v_cvt_u32_f32_e32 v5, v5
	v_cvt_u32_f32_e32 v4, v4
	v_readfirstlane_b32 s26, v5
	v_readfirstlane_b32 s4, v4
	s_mul_i32 s5, s9, s26
	s_mul_hi_u32 s28, s9, s4
	s_mul_i32 s27, s25, s4
	s_add_i32 s5, s28, s5
	s_mul_i32 s29, s9, s4
	s_add_i32 s5, s5, s27
	s_mul_i32 s28, s4, s5
	s_mul_hi_u32 s30, s4, s29
	s_mul_hi_u32 s27, s4, s5
	s_add_u32 s28, s30, s28
	s_addc_u32 s27, 0, s27
	s_mul_hi_u32 s31, s26, s29
	s_mul_i32 s29, s26, s29
	s_add_u32 s28, s28, s29
	s_mul_hi_u32 s30, s26, s5
	s_addc_u32 s27, s27, s31
	s_addc_u32 s28, s30, 0
	s_mul_i32 s5, s26, s5
	s_add_u32 s5, s27, s5
	s_addc_u32 s27, 0, s28
	s_add_u32 s28, s4, s5
	s_cselect_b64 s[4:5], -1, 0
	s_cmp_lg_u64 s[4:5], 0
	s_addc_u32 s26, s26, s27
	s_mul_i32 s4, s9, s26
	s_mul_hi_u32 s5, s9, s28
	s_add_i32 s4, s5, s4
	s_mul_i32 s25, s25, s28
	s_add_i32 s4, s4, s25
	s_mul_i32 s9, s9, s28
	s_mul_hi_u32 s25, s26, s9
	s_mul_i32 s27, s26, s9
	s_mul_i32 s30, s28, s4
	s_mul_hi_u32 s9, s28, s9
	s_mul_hi_u32 s29, s28, s4
	s_add_u32 s9, s9, s30
	s_addc_u32 s29, 0, s29
	s_add_u32 s9, s9, s27
	s_mul_hi_u32 s5, s26, s4
	s_addc_u32 s9, s29, s25
	s_addc_u32 s5, s5, 0
	s_mul_i32 s4, s26, s4
	s_add_u32 s4, s9, s4
	s_addc_u32 s9, 0, s5
	s_add_u32 s25, s28, s4
	s_cselect_b64 s[4:5], -1, 0
	s_cmp_lg_u64 s[4:5], 0
	s_addc_u32 s9, s26, s9
	s_ashr_i32 s4, s1, 31
	s_add_u32 s26, s8, s4
	s_mov_b32 s5, s4
	s_addc_u32 s27, s1, s4
	s_xor_b64 s[26:27], s[26:27], s[4:5]
	s_mul_i32 s28, s26, s9
	s_mul_hi_u32 s29, s26, s25
	s_mul_hi_u32 s1, s26, s9
	s_add_u32 s28, s29, s28
	s_addc_u32 s1, 0, s1
	s_mul_hi_u32 s30, s27, s25
	s_mul_i32 s25, s27, s25
	s_add_u32 s25, s28, s25
	s_mul_hi_u32 s29, s27, s9
	s_addc_u32 s1, s1, s30
	s_addc_u32 s25, s29, 0
	s_mul_i32 s9, s27, s9
	s_add_u32 s1, s1, s9
	s_addc_u32 s9, 0, s25
	s_mul_i32 s25, s2, s9
	s_mul_hi_u32 s28, s2, s1
	s_add_i32 s25, s28, s25
	s_mul_i32 s28, s3, s1
	s_add_i32 s25, s25, s28
	s_sub_i32 s30, s27, s25
	s_mul_i32 s28, s2, s1
	s_sub_u32 s26, s26, s28
	s_cselect_b64 s[28:29], -1, 0
	s_cmp_lg_u64 s[28:29], 0
	s_subb_u32 s33, s30, s3
	s_sub_u32 s34, s26, s2
	s_cselect_b64 s[30:31], -1, 0
	s_cmp_lg_u64 s[30:31], 0
	s_subb_u32 s30, s33, 0
	s_cmp_ge_u32 s30, s3
	s_cselect_b32 s31, -1, 0
	s_cmp_ge_u32 s34, s2
	s_cselect_b32 s33, -1, 0
	s_cmp_eq_u32 s30, s3
	s_cselect_b32 s30, s33, s31
	s_add_u32 s31, s1, 1
	s_addc_u32 s33, s9, 0
	s_add_u32 s34, s1, 2
	s_addc_u32 s35, s9, 0
	s_cmp_lg_u32 s30, 0
	s_cselect_b32 s30, s34, s31
	s_cselect_b32 s31, s35, s33
	s_cmp_lg_u64 s[28:29], 0
	s_subb_u32 s25, s27, s25
	s_cmp_ge_u32 s25, s3
	s_cselect_b32 s27, -1, 0
	s_cmp_ge_u32 s26, s2
	s_cselect_b32 s2, -1, 0
	s_cmp_eq_u32 s25, s3
	s_cselect_b32 s2, s2, s27
	s_cmp_lg_u32 s2, 0
	s_cselect_b32 s3, s31, s9
	s_cselect_b32 s2, s30, s1
	s_xor_b64 s[4:5], s[4:5], 0
	s_xor_b64 s[2:3], s[2:3], s[4:5]
	s_sub_u32 s4, s2, s4
	s_cbranch_execnz .LBB7_11
.LBB7_10:
	s_sub_i32 s1, 0, s22
	v_readfirstlane_b32 s2, v7
	s_mul_i32 s1, s1, s2
	s_mul_hi_u32 s1, s2, s1
	s_add_i32 s2, s2, s1
	s_mul_hi_u32 s1, s8, s2
	s_mul_i32 s3, s1, s22
	s_sub_i32 s3, s8, s3
	s_add_i32 s2, s1, 1
	s_sub_i32 s4, s3, s22
	s_cmp_ge_u32 s3, s22
	s_cselect_b32 s1, s2, s1
	s_cselect_b32 s3, s4, s3
	s_add_i32 s2, s1, 1
	s_cmp_ge_u32 s3, s22
	s_cselect_b32 s4, s2, s1
.LBB7_11:
	s_cmp_lg_u32 s6, s4
	s_cbranch_scc0 .LBB7_15
; %bb.12:
	s_add_i32 s1, s24, s22
	s_lshl_b32 s1, s1, 4
	s_add_i32 s2, s1, s15
	s_mov_b32 s3, s0
	s_lshl_b64 s[2:3], s[2:3], 3
	s_add_u32 s8, s18, s2
	s_mul_hi_u32 s1, s4, s12
	s_addc_u32 s9, s19, s3
	s_add_i32 s1, s1, s4
	s_lshr_b32 s1, s1, s13
	s_mul_i32 s2, s1, s14
	s_cmp_eq_u32 s2, s4
	s_cselect_b64 s[2:3], -1, 0
	s_cmp_lt_u32 s1, s7
	s_cselect_b64 s[26:27], -1, 0
	s_or_b64 s[26:27], s[26:27], s[2:3]
	s_mov_b64 s[2:3], -1
	s_and_b64 vcc, exec, s[26:27]
	s_mov_b32 s1, s24
	s_mov_b32 s25, s6
	s_cbranch_vccnz .LBB7_14
; %bb.13:
	s_add_i32 s1, s24, -1
	s_mov_b64 s[2:3], 0
	s_mov_b32 s25, s4
.LBB7_14:
	v_lshl_add_u32 v4, s24, 10, v6
	v_ashrrev_i32_e32 v5, 31, v4
	v_lshl_add_u64 v[4:5], v[4:5], 2, s[16:17]
	global_load_dword v5, v[4:5], off
	s_load_dwordx2 s[4:5], s[8:9], 0x0
	v_max_f32_e32 v4, v9, v9
	s_waitcnt lgkmcnt(0)
	v_max_f32_e64 v10, s4, s4
	v_max_f32_e32 v10, v4, v10
	v_sub_f32_e32 v11, v9, v10
	v_sub_f32_e32 v13, s4, v10
	v_mul_f32_e32 v4, 0x3fb8aa3b, v11
	v_mul_f32_e32 v12, 0x3fb8aa3b, v13
	v_fma_f32 v14, v11, s10, -v4
	v_rndne_f32_e32 v15, v4
	v_fma_f32 v16, v13, s10, -v12
	v_rndne_f32_e32 v17, v12
	v_fmac_f32_e32 v14, 0x32a5705f, v11
	v_sub_f32_e32 v4, v4, v15
	v_fmac_f32_e32 v16, 0x32a5705f, v13
	v_sub_f32_e32 v12, v12, v17
	v_add_f32_e32 v4, v4, v14
	v_cvt_i32_f32_e32 v15, v15
	v_add_f32_e32 v12, v12, v16
	v_exp_f32_e32 v14, v4
	v_cvt_i32_f32_e32 v17, v17
	v_exp_f32_e32 v12, v12
	v_cmp_ngt_f32_e32 vcc, s20, v11
	v_ldexp_f32 v14, v14, v15
	v_mov_b32_e32 v4, s5
	v_ldexp_f32 v12, v12, v17
	v_cndmask_b32_e32 v14, 0, v14, vcc
	v_cmp_ngt_f32_e32 vcc, s20, v13
	s_nop 1
	v_cndmask_b32_e32 v12, 0, v12, vcc
	v_cmp_nlt_f32_e32 vcc, s21, v11
	s_nop 1
	v_cndmask_b32_e32 v14, v8, v14, vcc
	v_cmp_nlt_f32_e32 vcc, s21, v13
	s_nop 1
	v_cndmask_b32_e32 v15, v8, v12, vcc
	v_cmp_le_f32_e32 vcc, s23, v11
	s_nop 1
	v_cndmask_b32_e32 v12, 0, v14, vcc
	v_cmp_le_f32_e32 vcc, s23, v13
	s_nop 1
	v_cndmask_b32_e32 v14, 0, v15, vcc
	s_waitcnt vmcnt(0)
	v_pk_mul_f32 v[4:5], v[4:5], v[14:15] op_sel_hi:[1,0]
	s_nop 0
	v_pk_fma_f32 v[4:5], v[0:1], v[12:13], v[4:5] op_sel_hi:[1,0,1]
	s_cbranch_execz .LBB7_16
	s_branch .LBB7_17
.LBB7_15:
                                        ; implicit-def: $vgpr4_vgpr5
                                        ; implicit-def: $sgpr2_sgpr3
                                        ; implicit-def: $vgpr10
                                        ; implicit-def: $sgpr1
                                        ; implicit-def: $sgpr25
.LBB7_16:
	s_add_i32 s1, s24, -1
	s_mov_b64 s[2:3], 0
	s_mov_b32 s25, s6
	v_mov_b32_e32 v10, v9
	s_waitcnt vmcnt(0)
	v_mov_b64_e32 v[4:5], v[0:1]
.LBB7_17:
	s_andn2_b64 vcc, exec, s[2:3]
	s_cbranch_vccz .LBB7_22
; %bb.18:
	s_mov_b32 s6, s25
	s_mov_b32 s24, s1
	v_mov_b32_e32 v9, v10
	s_waitcnt vmcnt(0)
	v_mov_b64_e32 v[0:1], v[4:5]
	s_mul_hi_i32 s1, s24, s11
	s_cmp_lg_u64 s[0:1], 0
	s_mul_i32 s8, s24, s11
	s_cbranch_scc1 .LBB7_9
.LBB7_19:
                                        ; implicit-def: $sgpr4_sgpr5
	s_branch .LBB7_10
.LBB7_20:
                                        ; implicit-def: $sgpr6_sgpr7
	s_load_dwordx4 s[12:15], s[0:1], 0x44
	s_branch .LBB7_2
.LBB7_21:
                                        ; implicit-def: $sgpr18_sgpr19
	s_branch .LBB7_5
.LBB7_22:
	v_div_scale_f32 v0, s[0:1], v4, v4, v5
	s_waitcnt vmcnt(0)
	v_rcp_f32_e32 v1, v0
	v_div_scale_f32 v6, vcc, v5, v4, v5
	v_fma_f32 v7, -v0, v1, 1.0
	v_fmac_f32_e32 v1, v7, v1
	v_mul_f32_e32 v7, v6, v1
	v_fma_f32 v8, -v0, v7, v6
	v_fmac_f32_e32 v7, v8, v1
	v_fma_f32 v0, -v0, v7, v6
	v_div_fmas_f32 v0, v0, v1, v7
	v_div_fixup_f32 v0, v0, v4, v5
	global_store_dword v[2:3], v0, off
.LBB7_23:
	s_endpgm
	.section	.rodata,"a",@progbits
	.p2align	6, 0x0
	.amdhsa_kernel _ZL33flash_attn_stream_k_fixup_generalILi64ELi4ELi4EEvPfPK15HIP_vector_typeIfLj2EEiiiiS1_IjLj3EES5_S5_S5_
		.amdhsa_group_segment_fixed_size 0
		.amdhsa_private_segment_fixed_size 0
		.amdhsa_kernarg_size 336
		.amdhsa_user_sgpr_count 2
		.amdhsa_user_sgpr_dispatch_ptr 0
		.amdhsa_user_sgpr_queue_ptr 0
		.amdhsa_user_sgpr_kernarg_segment_ptr 1
		.amdhsa_user_sgpr_dispatch_id 0
		.amdhsa_user_sgpr_kernarg_preload_length 0
		.amdhsa_user_sgpr_kernarg_preload_offset 0
		.amdhsa_user_sgpr_private_segment_size 0
		.amdhsa_uses_dynamic_stack 0
		.amdhsa_enable_private_segment 0
		.amdhsa_system_sgpr_workgroup_id_x 1
		.amdhsa_system_sgpr_workgroup_id_y 1
		.amdhsa_system_sgpr_workgroup_id_z 1
		.amdhsa_system_sgpr_workgroup_info 0
		.amdhsa_system_vgpr_workitem_id 0
		.amdhsa_next_free_vgpr 18
		.amdhsa_next_free_sgpr 36
		.amdhsa_accum_offset 20
		.amdhsa_reserve_vcc 1
		.amdhsa_float_round_mode_32 0
		.amdhsa_float_round_mode_16_64 0
		.amdhsa_float_denorm_mode_32 3
		.amdhsa_float_denorm_mode_16_64 3
		.amdhsa_dx10_clamp 1
		.amdhsa_ieee_mode 1
		.amdhsa_fp16_overflow 0
		.amdhsa_tg_split 0
		.amdhsa_exception_fp_ieee_invalid_op 0
		.amdhsa_exception_fp_denorm_src 0
		.amdhsa_exception_fp_ieee_div_zero 0
		.amdhsa_exception_fp_ieee_overflow 0
		.amdhsa_exception_fp_ieee_underflow 0
		.amdhsa_exception_fp_ieee_inexact 0
		.amdhsa_exception_int_div_zero 0
	.end_amdhsa_kernel
	.section	.text._ZL33flash_attn_stream_k_fixup_generalILi64ELi4ELi4EEvPfPK15HIP_vector_typeIfLj2EEiiiiS1_IjLj3EES5_S5_S5_,"axG",@progbits,_ZL33flash_attn_stream_k_fixup_generalILi64ELi4ELi4EEvPfPK15HIP_vector_typeIfLj2EEiiiiS1_IjLj3EES5_S5_S5_,comdat
.Lfunc_end7:
	.size	_ZL33flash_attn_stream_k_fixup_generalILi64ELi4ELi4EEvPfPK15HIP_vector_typeIfLj2EEiiiiS1_IjLj3EES5_S5_S5_, .Lfunc_end7-_ZL33flash_attn_stream_k_fixup_generalILi64ELi4ELi4EEvPfPK15HIP_vector_typeIfLj2EEiiiiS1_IjLj3EES5_S5_S5_
                                        ; -- End function
	.set _ZL33flash_attn_stream_k_fixup_generalILi64ELi4ELi4EEvPfPK15HIP_vector_typeIfLj2EEiiiiS1_IjLj3EES5_S5_S5_.num_vgpr, 18
	.set _ZL33flash_attn_stream_k_fixup_generalILi64ELi4ELi4EEvPfPK15HIP_vector_typeIfLj2EEiiiiS1_IjLj3EES5_S5_S5_.num_agpr, 0
	.set _ZL33flash_attn_stream_k_fixup_generalILi64ELi4ELi4EEvPfPK15HIP_vector_typeIfLj2EEiiiiS1_IjLj3EES5_S5_S5_.numbered_sgpr, 36
	.set _ZL33flash_attn_stream_k_fixup_generalILi64ELi4ELi4EEvPfPK15HIP_vector_typeIfLj2EEiiiiS1_IjLj3EES5_S5_S5_.num_named_barrier, 0
	.set _ZL33flash_attn_stream_k_fixup_generalILi64ELi4ELi4EEvPfPK15HIP_vector_typeIfLj2EEiiiiS1_IjLj3EES5_S5_S5_.private_seg_size, 0
	.set _ZL33flash_attn_stream_k_fixup_generalILi64ELi4ELi4EEvPfPK15HIP_vector_typeIfLj2EEiiiiS1_IjLj3EES5_S5_S5_.uses_vcc, 1
	.set _ZL33flash_attn_stream_k_fixup_generalILi64ELi4ELi4EEvPfPK15HIP_vector_typeIfLj2EEiiiiS1_IjLj3EES5_S5_S5_.uses_flat_scratch, 0
	.set _ZL33flash_attn_stream_k_fixup_generalILi64ELi4ELi4EEvPfPK15HIP_vector_typeIfLj2EEiiiiS1_IjLj3EES5_S5_S5_.has_dyn_sized_stack, 0
	.set _ZL33flash_attn_stream_k_fixup_generalILi64ELi4ELi4EEvPfPK15HIP_vector_typeIfLj2EEiiiiS1_IjLj3EES5_S5_S5_.has_recursion, 0
	.set _ZL33flash_attn_stream_k_fixup_generalILi64ELi4ELi4EEvPfPK15HIP_vector_typeIfLj2EEiiiiS1_IjLj3EES5_S5_S5_.has_indirect_call, 0
	.section	.AMDGPU.csdata,"",@progbits
; Kernel info:
; codeLenInByte = 2940
; TotalNumSgprs: 42
; NumVgprs: 18
; NumAgprs: 0
; TotalNumVgprs: 18
; ScratchSize: 0
; MemoryBound: 0
; FloatMode: 240
; IeeeMode: 1
; LDSByteSize: 0 bytes/workgroup (compile time only)
; SGPRBlocks: 5
; VGPRBlocks: 2
; NumSGPRsForWavesPerEU: 42
; NumVGPRsForWavesPerEU: 18
; AccumOffset: 20
; Occupancy: 8
; WaveLimiterHint : 0
; COMPUTE_PGM_RSRC2:SCRATCH_EN: 0
; COMPUTE_PGM_RSRC2:USER_SGPR: 2
; COMPUTE_PGM_RSRC2:TRAP_HANDLER: 0
; COMPUTE_PGM_RSRC2:TGID_X_EN: 1
; COMPUTE_PGM_RSRC2:TGID_Y_EN: 1
; COMPUTE_PGM_RSRC2:TGID_Z_EN: 1
; COMPUTE_PGM_RSRC2:TIDIG_COMP_CNT: 0
; COMPUTE_PGM_RSRC3_GFX90A:ACCUM_OFFSET: 4
; COMPUTE_PGM_RSRC3_GFX90A:TG_SPLIT: 0
	.section	.text._ZL26flash_attn_combine_resultsILi64EEvPKfPK15HIP_vector_typeIfLj2EEPfi,"axG",@progbits,_ZL26flash_attn_combine_resultsILi64EEvPKfPK15HIP_vector_typeIfLj2EEPfi,comdat
	.globl	_ZL26flash_attn_combine_resultsILi64EEvPKfPK15HIP_vector_typeIfLj2EEPfi ; -- Begin function _ZL26flash_attn_combine_resultsILi64EEvPKfPK15HIP_vector_typeIfLj2EEPfi
	.p2align	8
	.type	_ZL26flash_attn_combine_resultsILi64EEvPKfPK15HIP_vector_typeIfLj2EEPfi,@function
_ZL26flash_attn_combine_resultsILi64EEvPKfPK15HIP_vector_typeIfLj2EEPfi: ; @_ZL26flash_attn_combine_resultsILi64EEvPKfPK15HIP_vector_typeIfLj2EEPfi
; %bb.0:
	s_load_dwordx2 s[6:7], s[0:1], 0x20
	s_load_dword s19, s[0:1], 0x18
	s_load_dwordx4 s[8:11], s[0:1], 0x0
	s_load_dwordx2 s[14:15], s[0:1], 0x10
	s_waitcnt lgkmcnt(0)
	s_mul_i32 s0, s6, s4
	s_add_i32 s0, s0, s2
	s_mul_i32 s18, s0, s7
	s_add_i32 s18, s18, s3
	s_lshl_b32 s20, s19, 1
	s_mul_i32 s2, s18, s19
	v_cmp_gt_i32_e32 vcc, s20, v0
	s_and_saveexec_b64 s[0:1], vcc
	s_cbranch_execz .LBB8_13
; %bb.1:
	v_xad_u32 v1, v0, -1, s20
	s_ashr_i32 s3, s2, 31
	v_cmp_lt_u32_e32 vcc, 63, v1
	s_mov_b64 s[6:7], -1
	v_mov_b32_e32 v2, v0
	s_and_saveexec_b64 s[4:5], vcc
	s_cbranch_execz .LBB8_10
; %bb.2:
	v_lshrrev_b32_e32 v6, 6, v1
	s_lshl_b64 s[6:7], s[2:3], 3
	v_add_u32_e32 v2, -1, v6
	s_add_u32 s6, s10, s6
	v_or_b32_e32 v1, 64, v0
	v_lshrrev_b32_e32 v3, 1, v2
	s_addc_u32 s7, s11, s7
	s_mov_b32 s21, 0
	v_add_u32_e32 v7, 1, v3
	v_cmp_lt_u32_e32 vcc, 13, v2
	v_mov_b32_e32 v4, 0
	v_mov_b64_e32 v[2:3], v[0:1]
	s_and_saveexec_b64 s[12:13], vcc
	s_cbranch_execz .LBB8_6
; %bb.3:
	v_and_b32_e32 v8, -8, v7
	v_lshl_add_u32 v9, v0, 2, 0
	s_mov_b64 s[16:17], 0
	v_mov_b32_e32 v5, 0
	v_mov_b64_e32 v[2:3], v[0:1]
.LBB8_4:                                ; =>This Inner Loop Header: Depth=1
	v_mov_b32_e32 v4, v2
	v_lshl_add_u64 v[24:25], v[4:5], 2, s[6:7]
	v_mov_b32_e32 v4, v3
	v_add_u32_e32 v10, 0x80, v3
	v_mov_b32_e32 v11, v5
	v_lshl_add_u64 v[26:27], v[4:5], 2, s[6:7]
	v_add_u32_e32 v4, 0x80, v2
	v_lshl_add_u64 v[10:11], v[10:11], 2, s[6:7]
	global_load_dword v1, v[24:25], off
	v_lshl_add_u64 v[24:25], v[4:5], 2, s[6:7]
	v_add_u32_e32 v4, 0x100, v2
	global_load_dword v28, v[26:27], off
	global_load_dword v29, v[24:25], off
	;; [unrolled: 1-line block ×3, first 2 shown]
	v_lshl_add_u64 v[10:11], v[4:5], 2, s[6:7]
	v_add_u32_e32 v4, 0x180, v2
	v_add_u32_e32 v12, 0x100, v3
	v_mov_b32_e32 v13, v5
	v_add_u32_e32 v14, 0x180, v3
	v_mov_b32_e32 v15, v5
	v_lshl_add_u64 v[24:25], v[4:5], 2, s[6:7]
	v_add_u32_e32 v4, 0x200, v2
	v_lshl_add_u64 v[12:13], v[12:13], 2, s[6:7]
	v_lshl_add_u64 v[14:15], v[14:15], 2, s[6:7]
	global_load_dword v26, v[10:11], off
	global_load_dword v27, v[12:13], off
	;; [unrolled: 1-line block ×4, first 2 shown]
	v_lshl_add_u64 v[10:11], v[4:5], 2, s[6:7]
	v_add_u32_e32 v4, 0x280, v2
	v_add_u32_e32 v16, 0x200, v3
	v_mov_b32_e32 v17, v5
	v_add_u32_e32 v18, 0x280, v3
	v_mov_b32_e32 v19, v5
	v_lshl_add_u64 v[12:13], v[4:5], 2, s[6:7]
	v_add_u32_e32 v4, 0x300, v2
	v_add_u32_e32 v20, 0x300, v3
	v_mov_b32_e32 v21, v5
	v_add_u32_e32 v22, 0x380, v3
	v_mov_b32_e32 v23, v5
	v_lshl_add_u64 v[16:17], v[16:17], 2, s[6:7]
	v_lshl_add_u64 v[18:19], v[18:19], 2, s[6:7]
	global_load_dword v14, v[10:11], off
	global_load_dword v15, v[16:17], off
	;; [unrolled: 1-line block ×4, first 2 shown]
	v_lshl_add_u64 v[10:11], v[4:5], 2, s[6:7]
	v_add_u32_e32 v4, 0x380, v2
	v_lshl_add_u64 v[20:21], v[20:21], 2, s[6:7]
	v_lshl_add_u64 v[22:23], v[22:23], 2, s[6:7]
	;; [unrolled: 1-line block ×3, first 2 shown]
	global_load_dword v16, v[10:11], off
	global_load_dword v17, v[20:21], off
	;; [unrolled: 1-line block ×4, first 2 shown]
	v_add_u32_e32 v8, -8, v8
	s_add_i32 s21, s21, 16
	v_cmp_eq_u32_e32 vcc, 0, v8
	v_add_u32_e32 v3, 0x400, v3
	v_mov_b32_e32 v4, s21
	s_or_b64 s[16:17], vcc, s[16:17]
	v_add_u32_e32 v2, 0x400, v2
	s_waitcnt vmcnt(14)
	ds_write2st64_b32 v9, v1, v28 offset1:1
	s_waitcnt vmcnt(12)
	ds_write2st64_b32 v9, v29, v30 offset0:2 offset1:3
	s_waitcnt vmcnt(10)
	ds_write2st64_b32 v9, v26, v27 offset0:4 offset1:5
	;; [unrolled: 2-line block ×7, first 2 shown]
	v_add_u32_e32 v9, 0x1000, v9
	s_andn2_b64 exec, exec, s[16:17]
	s_cbranch_execnz .LBB8_4
; %bb.5:
	s_or_b64 exec, exec, s[16:17]
.LBB8_6:
	s_or_b64 exec, exec, s[12:13]
	v_and_b32_e32 v1, 7, v7
	v_cmp_ne_u32_e32 vcc, 0, v1
	s_and_saveexec_b64 s[12:13], vcc
	s_cbranch_execz .LBB8_9
; %bb.7:
	v_lshlrev_b32_e32 v5, 2, v0
	v_lshl_or_b32 v4, v4, 8, v5
	v_add_u32_e32 v7, 0, v4
	s_mov_b64 s[16:17], 0
	v_mov_b32_e32 v5, 0
.LBB8_8:                                ; =>This Inner Loop Header: Depth=1
	v_mov_b32_e32 v4, v2
	v_lshl_add_u64 v[8:9], v[4:5], 2, s[6:7]
	v_mov_b32_e32 v4, v3
	v_lshl_add_u64 v[10:11], v[4:5], 2, s[6:7]
	global_load_dword v4, v[8:9], off
	global_load_dword v12, v[10:11], off
	v_add_u32_e32 v1, -1, v1
	v_cmp_eq_u32_e32 vcc, 0, v1
	v_add_u32_e32 v2, 0x80, v2
	v_add_u32_e32 v3, 0x80, v3
	s_or_b64 s[16:17], vcc, s[16:17]
	s_waitcnt vmcnt(0)
	ds_write2st64_b32 v7, v4, v12 offset1:1
	v_add_u32_e32 v7, 0x200, v7
	s_andn2_b64 exec, exec, s[16:17]
	s_cbranch_execnz .LBB8_8
.LBB8_9:
	s_or_b64 exec, exec, s[12:13]
	v_add_u32_e32 v1, 1, v6
	v_and_b32_e32 v3, 0x7fffffe, v1
	v_cmp_ne_u32_e32 vcc, v1, v3
	v_lshl_or_b32 v2, v3, 6, v0
	s_orn2_b64 s[6:7], vcc, exec
.LBB8_10:
	s_or_b64 exec, exec, s[4:5]
	s_and_b64 exec, exec, s[6:7]
	s_cbranch_execz .LBB8_13
; %bb.11:
	s_lshl_b64 s[4:5], s[2:3], 3
	s_add_u32 s4, s10, s4
	v_mov_b32_e32 v3, 0
	s_addc_u32 s5, s11, s5
	v_lshl_add_u64 v[4:5], v[2:3], 2, s[4:5]
	v_lshl_add_u32 v1, v2, 2, 0
	s_mov_b64 s[4:5], 0
	s_mov_b64 s[6:7], 0x100
.LBB8_12:                               ; =>This Inner Loop Header: Depth=1
	global_load_dword v3, v[4:5], off
	v_add_u32_e32 v2, 64, v2
	v_cmp_le_i32_e32 vcc, s20, v2
	v_lshl_add_u64 v[4:5], v[4:5], 0, s[6:7]
	s_or_b64 s[4:5], vcc, s[4:5]
	s_waitcnt vmcnt(0)
	ds_write_b32 v1, v3
	v_add_u32_e32 v1, 0x100, v1
	s_andn2_b64 exec, exec, s[4:5]
	s_cbranch_execnz .LBB8_12
.LBB8_13:
	s_or_b64 exec, exec, s[0:1]
	v_mov_b32_e32 v1, 0
	s_waitcnt lgkmcnt(0)
	; wave barrier
	ds_read_b32 v1, v1
	s_cmp_lt_i32 s19, 2
	s_cbranch_scc1 .LBB8_21
; %bb.14:
	s_cmp_eq_u32 s19, 2
	s_cbranch_scc1 .LBB8_18
; %bb.15:
	s_add_i32 s3, s19, -1
	s_and_b32 s4, s3, -2
	s_add_i32 s6, 0, 8
	s_mov_b32 s5, 2
	s_waitcnt lgkmcnt(0)
	v_mov_b32_e32 v4, v1
.LBB8_16:                               ; =>This Inner Loop Header: Depth=1
	v_mov_b32_e32 v2, v1
	v_mov_b32_e32 v1, s6
	;; [unrolled: 1-line block ×3, first 2 shown]
	ds_read2_b32 v[4:5], v1 offset1:2
	s_cmp_lg_u32 s4, s5
	s_cselect_b64 s[10:11], -1, 0
	v_max_f32_e32 v1, v3, v3
	v_max_f32_e32 v6, v2, v2
	s_waitcnt lgkmcnt(0)
	v_cmp_u_f32_e32 vcc, v5, v5
	v_max_f32_e32 v7, v5, v5
	v_max_f32_e32 v8, v4, v4
	v_cndmask_b32_e64 v5, 0, 1, vcc
	v_cmp_u_f32_e32 vcc, v4, v4
	v_readfirstlane_b32 s0, v5
	s_lshl_b32 s0, s0, 1
	v_cndmask_b32_e64 v9, 0, 1, vcc
	v_max_f32_e32 v4, v1, v7
	v_readfirstlane_b32 s1, v9
	s_or_b32 s0, s1, s0
	s_and_b32 s7, s0, 3
	s_cmp_lg_u32 s7, 0
	s_cselect_b64 s[0:1], -1, 0
	s_cmp_eq_u32 s7, 0
	s_cselect_b64 s[12:13], -1, 0
	s_and_b64 s[10:11], s[12:13], s[10:11]
	v_max_f32_e32 v1, v6, v8
	s_add_i32 s5, s5, 2
	s_add_i32 s6, s6, 16
	s_and_b64 vcc, exec, s[10:11]
	s_cbranch_vccnz .LBB8_16
; %bb.17:
	s_add_i32 s5, s5, -4
	s_and_b64 s[6:7], s[0:1], exec
	s_cselect_b32 s5, s5, s3
	s_or_b32 s5, s5, 1
	v_cndmask_b32_e64 v1, v1, v2, s[0:1]
	v_cndmask_b32_e64 v2, v4, v3, s[0:1]
	s_cmp_lg_u32 s3, s4
	v_max_f32_e32 v2, v2, v2
	v_max_f32_e32 v1, v1, v1
	s_cselect_b64 s[6:7], -1, 0
	v_max_f32_e32 v1, v1, v2
	s_or_b64 s[0:1], s[6:7], s[0:1]
	s_and_b64 vcc, exec, s[0:1]
	s_cbranch_vccnz .LBB8_19
	s_branch .LBB8_21
.LBB8_18:
	s_mov_b32 s5, 1
	s_cbranch_execz .LBB8_21
.LBB8_19:
	s_lshl_b32 s1, s5, 3
	s_sub_i32 s0, s19, s5
	s_add_i32 s1, s1, 0
.LBB8_20:                               ; =>This Inner Loop Header: Depth=1
	v_mov_b32_e32 v2, s1
	ds_read_b32 v2, v2
	s_waitcnt lgkmcnt(1)
	v_max_f32_e32 v1, v1, v1
	s_add_i32 s0, s0, -1
	s_add_i32 s1, s1, 8
	s_cmp_eq_u32 s0, 0
	s_waitcnt lgkmcnt(0)
	v_max_f32_e32 v2, v2, v2
	v_max_f32_e32 v1, v1, v2
	s_cbranch_scc0 .LBB8_20
.LBB8_21:
	s_cmp_lt_i32 s19, 1
	s_cbranch_scc1 .LBB8_26
; %bb.22:
	s_lshl_b32 s0, s2, 6
	s_ashr_i32 s1, s0, 31
	s_lshl_b64 s[0:1], s[0:1], 2
	s_add_u32 s16, s8, s0
	s_addc_u32 s17, s9, s1
	s_cmp_lt_u32 s19, 8
	s_cbranch_scc1 .LBB8_27
; %bb.23:
	v_mov_b32_e32 v7, 0
	s_and_b32 s20, s19, 0x7ffffff8
	v_or_b32_e32 v4, 0x1c0, v0
	s_mov_b32 s21, 0
	s_mov_b32 s22, 0x3fb8aa3b
	s_mov_b32 s23, 0xc2ce8ed0
	s_mov_b32 s24, 0x42b17218
	v_mov_b32_e32 v8, 0x7f800000
	s_mov_b32 s25, 0
	v_mov_b32_e32 v2, v7
	v_mov_b32_e32 v3, v7
.LBB8_24:                               ; =>This Inner Loop Header: Depth=1
	v_add_u32_e32 v6, 0xfffffe40, v4
	v_lshl_add_u64 v[26:27], v[6:7], 2, s[16:17]
	v_add_u32_e32 v6, 0xfffffe80, v4
	v_mov_b32_e32 v9, s21
	v_lshl_add_u64 v[30:31], v[6:7], 2, s[16:17]
	v_add_u32_e32 v6, 0xfffffec0, v4
	ds_read2_b64 v[10:13], v9 offset1:1
	ds_read2_b64 v[14:17], v9 offset0:2 offset1:3
	ds_read2_b64 v[18:21], v9 offset0:4 offset1:5
	;; [unrolled: 1-line block ×3, first 2 shown]
	global_load_dword v33, v[26:27], off
	global_load_dword v35, v[30:31], off
	v_lshl_add_u64 v[26:27], v[6:7], 2, s[16:17]
	v_add_u32_e32 v6, 0xffffff00, v4
	v_lshl_add_u64 v[30:31], v[6:7], 2, s[16:17]
	v_add_u32_e32 v6, 0xffffff40, v4
	global_load_dword v37, v[26:27], off
	global_load_dword v39, v[30:31], off
	v_lshl_add_u64 v[26:27], v[6:7], 2, s[16:17]
	v_add_u32_e32 v6, 0xffffff80, v4
	s_waitcnt lgkmcnt(3)
	v_mov_b32_e32 v32, v11
	v_sub_f32_e32 v9, v12, v1
	v_mov_b32_e32 v34, v13
	global_load_dword v11, v[26:27], off
	v_lshl_add_u64 v[12:13], v[6:7], 2, s[16:17]
	s_waitcnt lgkmcnt(2)
	v_mov_b32_e32 v36, v15
	v_subrev_u32_e32 v6, 64, v4
	global_load_dword v15, v[12:13], off
	v_mov_b32_e32 v5, v7
	v_lshl_add_u64 v[12:13], v[6:7], 2, s[16:17]
	v_lshl_add_u64 v[28:29], v[4:5], 2, s[16:17]
	v_sub_f32_e32 v5, v10, v1
	v_mov_b32_e32 v38, v17
	s_waitcnt lgkmcnt(1)
	v_mov_b32_e32 v10, v19
	global_load_dword v17, v[12:13], off
	global_load_dword v19, v[28:29], off
	v_sub_f32_e32 v30, v14, v1
	v_sub_f32_e32 v31, v16, v1
	;; [unrolled: 1-line block ×3, first 2 shown]
	v_mov_b32_e32 v14, v21
	s_waitcnt lgkmcnt(0)
	v_sub_f32_e32 v21, v22, v1
	v_mov_b32_e32 v16, v23
	v_sub_f32_e32 v22, v24, v1
	v_mul_f32_e32 v23, 0x3fb8aa3b, v5
	v_mov_b32_e32 v18, v25
	v_mul_f32_e32 v24, 0x3fb8aa3b, v9
	v_mul_f32_e32 v25, 0x3fb8aa3b, v30
	;; [unrolled: 1-line block ×5, first 2 shown]
	v_fma_f32 v43, v5, s22, -v23
	v_rndne_f32_e32 v44, v23
	v_sub_f32_e32 v20, v20, v1
	v_fma_f32 v45, v9, s22, -v24
	v_rndne_f32_e32 v46, v24
	v_fma_f32 v47, v30, s22, -v25
	v_rndne_f32_e32 v48, v25
	;; [unrolled: 2-line block ×5, first 2 shown]
	v_fmac_f32_e32 v43, 0x32a5705f, v5
	v_sub_f32_e32 v12, v23, v44
	v_mul_f32_e32 v26, 0x3fb8aa3b, v31
	v_mul_f32_e32 v41, 0x3fb8aa3b, v20
	v_fmac_f32_e32 v45, 0x32a5705f, v9
	v_sub_f32_e32 v23, v24, v46
	v_fmac_f32_e32 v47, 0x32a5705f, v30
	v_sub_f32_e32 v25, v25, v48
	;; [unrolled: 2-line block ×5, first 2 shown]
	v_add_f32_e32 v12, v12, v43
	v_fma_f32 v49, v31, s22, -v26
	v_rndne_f32_e32 v50, v26
	v_fma_f32 v53, v20, s22, -v41
	v_rndne_f32_e32 v54, v41
	v_cvt_i32_f32_e32 v13, v44
	v_add_f32_e32 v23, v23, v45
	v_add_f32_e32 v25, v25, v47
	;; [unrolled: 1-line block ×5, first 2 shown]
	v_exp_f32_e32 v12, v12
	v_cvt_i32_f32_e32 v24, v46
	v_cvt_i32_f32_e32 v28, v48
	v_fmac_f32_e32 v49, 0x32a5705f, v31
	v_sub_f32_e32 v26, v26, v50
	v_cvt_i32_f32_e32 v29, v50
	v_cvt_i32_f32_e32 v44, v52
	v_fmac_f32_e32 v53, 0x32a5705f, v20
	v_sub_f32_e32 v41, v41, v54
	v_cvt_i32_f32_e32 v48, v56
	v_cvt_i32_f32_e32 v50, v58
	v_exp_f32_e32 v23, v23
	v_exp_f32_e32 v25, v25
	;; [unrolled: 1-line block ×5, first 2 shown]
	v_add_f32_e32 v26, v26, v49
	v_add_f32_e32 v41, v41, v53
	v_cvt_i32_f32_e32 v46, v54
	v_exp_f32_e32 v26, v26
	v_exp_f32_e32 v41, v41
	v_ldexp_f32 v12, v12, v13
	v_cmp_ngt_f32_e64 s[12:13], s23, v5
	v_ldexp_f32 v13, v23, v24
	v_cmp_ngt_f32_e32 vcc, s23, v9
	v_ldexp_f32 v23, v25, v28
	v_ldexp_f32 v25, v27, v44
	;; [unrolled: 1-line block ×3, first 2 shown]
	v_cmp_ngt_f32_e64 s[8:9], s23, v21
	v_ldexp_f32 v6, v6, v50
	v_cmp_ngt_f32_e64 s[10:11], s23, v22
	v_cndmask_b32_e64 v12, 0, v12, s[12:13]
	v_cmp_nlt_f32_e64 s[12:13], s24, v5
	v_cmp_ngt_f32_e64 s[0:1], s23, v30
	v_cndmask_b32_e32 v13, 0, v13, vcc
	v_cmp_nlt_f32_e32 vcc, s24, v9
	v_cndmask_b32_e64 v27, 0, v27, s[8:9]
	v_cmp_nlt_f32_e64 s[8:9], s24, v21
	v_cndmask_b32_e64 v21, 0, v6, s[10:11]
	v_cndmask_b32_e64 v6, v8, v12, s[12:13]
	v_ldexp_f32 v24, v26, v29
	v_cmp_ngt_f32_e64 s[2:3], s23, v31
	v_cmp_ngt_f32_e64 s[4:5], s23, v40
	v_ldexp_f32 v26, v41, v46
	v_cmp_ngt_f32_e64 s[6:7], s23, v20
	v_cndmask_b32_e64 v9, 0, v23, s[0:1]
	v_cmp_nlt_f32_e64 s[0:1], s24, v30
	v_cndmask_b32_e32 v12, v8, v13, vcc
	s_waitcnt vmcnt(7)
	v_pk_fma_f32 v[2:3], v[6:7], v[32:33], v[2:3] op_sel_hi:[0,1,1]
	v_cndmask_b32_e64 v23, 0, v24, s[2:3]
	v_cmp_nlt_f32_e64 s[2:3], s24, v31
	v_cndmask_b32_e64 v24, 0, v25, s[4:5]
	v_cndmask_b32_e64 v25, 0, v26, s[6:7]
	v_cmp_nlt_f32_e64 s[6:7], s24, v20
	v_cndmask_b32_e64 v20, v8, v9, s[0:1]
	s_waitcnt vmcnt(6)
	v_pk_fma_f32 v[2:3], v[12:13], v[34:35], v[2:3] op_sel_hi:[0,1,1]
	v_cmp_nlt_f32_e64 s[4:5], s24, v40
	v_cmp_nlt_f32_e64 s[10:11], s24, v22
	v_cndmask_b32_e64 v22, v8, v23, s[2:3]
	s_waitcnt vmcnt(5)
	v_pk_fma_f32 v[2:3], v[20:21], v[36:37], v[2:3] op_sel_hi:[0,1,1]
	v_cndmask_b32_e64 v24, v8, v24, s[4:5]
	s_waitcnt vmcnt(4)
	v_pk_fma_f32 v[2:3], v[22:23], v[38:39], v[2:3] op_sel_hi:[0,1,1]
	;; [unrolled: 3-line block ×4, first 2 shown]
	s_add_i32 s25, s25, 8
	s_add_i32 s21, s21, 64
	v_cndmask_b32_e64 v30, v8, v21, s[10:11]
	s_waitcnt vmcnt(1)
	v_pk_fma_f32 v[2:3], v[28:29], v[16:17], v[2:3] op_sel_hi:[0,1,1]
	s_cmp_eq_u32 s20, s25
	v_add_u32_e32 v4, 0x200, v4
	s_waitcnt vmcnt(0)
	v_pk_fma_f32 v[2:3], v[30:31], v[18:19], v[2:3] op_sel_hi:[0,1,1]
	s_cbranch_scc0 .LBB8_24
; %bb.25:
	s_and_b32 s0, s19, 7
	s_cmp_eq_u32 s0, 0
	s_cbranch_scc0 .LBB8_28
	s_branch .LBB8_30
.LBB8_26:
	s_waitcnt lgkmcnt(0)
	v_mov_b32_e32 v1, 0x7fc00000
	s_branch .LBB8_31
.LBB8_27:
	v_mov_b32_e32 v2, 0
	s_mov_b32 s20, 0
	v_mov_b32_e32 v3, v2
	s_and_b32 s0, s19, 7
	s_cmp_eq_u32 s0, 0
	s_cbranch_scc1 .LBB8_30
.LBB8_28:
	s_lshl_b32 s1, s20, 3
	v_lshl_or_b32 v4, s20, 6, v0
	s_add_i32 s1, s1, 0
	s_mov_b32 s2, 0x3fb8aa3b
	s_mov_b32 s3, 0xc2ce8ed0
	;; [unrolled: 1-line block ×3, first 2 shown]
	v_mov_b32_e32 v6, 0x7f800000
	v_mov_b32_e32 v5, 0
.LBB8_29:                               ; =>This Inner Loop Header: Depth=1
	v_lshl_add_u64 v[8:9], v[4:5], 2, s[16:17]
	global_load_dword v9, v[8:9], off
	v_mov_b32_e32 v7, s1
	ds_read_b64 v[10:11], v7
	s_add_i32 s1, s1, 8
	s_add_i32 s0, s0, -1
	v_add_u32_e32 v4, 64, v4
	s_cmp_lg_u32 s0, 0
	s_waitcnt lgkmcnt(0)
	v_sub_f32_e32 v7, v10, v1
	v_mul_f32_e32 v8, 0x3fb8aa3b, v7
	v_fma_f32 v10, v7, s2, -v8
	v_rndne_f32_e32 v12, v8
	v_fmac_f32_e32 v10, 0x32a5705f, v7
	v_sub_f32_e32 v8, v8, v12
	v_add_f32_e32 v8, v8, v10
	v_cvt_i32_f32_e32 v12, v12
	v_exp_f32_e32 v10, v8
	v_cmp_ngt_f32_e32 vcc, s3, v7
	v_mov_b32_e32 v8, v11
	v_ldexp_f32 v10, v10, v12
	v_cndmask_b32_e32 v10, 0, v10, vcc
	v_cmp_nlt_f32_e32 vcc, s4, v7
	s_nop 1
	v_cndmask_b32_e32 v10, v6, v10, vcc
	s_waitcnt vmcnt(0)
	v_pk_fma_f32 v[2:3], v[10:11], v[8:9], v[2:3] op_sel_hi:[0,1,1]
	s_cbranch_scc1 .LBB8_29
.LBB8_30:
	s_waitcnt lgkmcnt(0)
	v_div_scale_f32 v1, s[0:1], v2, v2, v3
	v_rcp_f32_e32 v4, v1
	v_div_scale_f32 v5, vcc, v3, v2, v3
	v_fma_f32 v6, -v1, v4, 1.0
	v_fmac_f32_e32 v4, v6, v4
	v_mul_f32_e32 v6, v5, v4
	v_fma_f32 v7, -v1, v6, v5
	v_fmac_f32_e32 v6, v7, v4
	v_fma_f32 v1, -v1, v6, v5
	v_div_fmas_f32 v1, v1, v4, v6
	v_div_fixup_f32 v1, v1, v2, v3
.LBB8_31:
	s_lshl_b32 s0, s18, 6
	s_ashr_i32 s1, s0, 31
	s_lshl_b64 s[0:1], s[0:1], 2
	s_add_u32 s0, s14, s0
	s_addc_u32 s1, s15, s1
	v_lshlrev_b32_e32 v0, 2, v0
	global_store_dword v0, v1, s[0:1]
	s_endpgm
	.section	.rodata,"a",@progbits
	.p2align	6, 0x0
	.amdhsa_kernel _ZL26flash_attn_combine_resultsILi64EEvPKfPK15HIP_vector_typeIfLj2EEPfi
		.amdhsa_group_segment_fixed_size 0
		.amdhsa_private_segment_fixed_size 0
		.amdhsa_kernarg_size 288
		.amdhsa_user_sgpr_count 2
		.amdhsa_user_sgpr_dispatch_ptr 0
		.amdhsa_user_sgpr_queue_ptr 0
		.amdhsa_user_sgpr_kernarg_segment_ptr 1
		.amdhsa_user_sgpr_dispatch_id 0
		.amdhsa_user_sgpr_kernarg_preload_length 0
		.amdhsa_user_sgpr_kernarg_preload_offset 0
		.amdhsa_user_sgpr_private_segment_size 0
		.amdhsa_uses_dynamic_stack 0
		.amdhsa_enable_private_segment 0
		.amdhsa_system_sgpr_workgroup_id_x 1
		.amdhsa_system_sgpr_workgroup_id_y 1
		.amdhsa_system_sgpr_workgroup_id_z 1
		.amdhsa_system_sgpr_workgroup_info 0
		.amdhsa_system_vgpr_workitem_id 0
		.amdhsa_next_free_vgpr 59
		.amdhsa_next_free_sgpr 26
		.amdhsa_accum_offset 60
		.amdhsa_reserve_vcc 1
		.amdhsa_float_round_mode_32 0
		.amdhsa_float_round_mode_16_64 0
		.amdhsa_float_denorm_mode_32 3
		.amdhsa_float_denorm_mode_16_64 3
		.amdhsa_dx10_clamp 1
		.amdhsa_ieee_mode 1
		.amdhsa_fp16_overflow 0
		.amdhsa_tg_split 0
		.amdhsa_exception_fp_ieee_invalid_op 0
		.amdhsa_exception_fp_denorm_src 0
		.amdhsa_exception_fp_ieee_div_zero 0
		.amdhsa_exception_fp_ieee_overflow 0
		.amdhsa_exception_fp_ieee_underflow 0
		.amdhsa_exception_fp_ieee_inexact 0
		.amdhsa_exception_int_div_zero 0
	.end_amdhsa_kernel
	.section	.text._ZL26flash_attn_combine_resultsILi64EEvPKfPK15HIP_vector_typeIfLj2EEPfi,"axG",@progbits,_ZL26flash_attn_combine_resultsILi64EEvPKfPK15HIP_vector_typeIfLj2EEPfi,comdat
.Lfunc_end8:
	.size	_ZL26flash_attn_combine_resultsILi64EEvPKfPK15HIP_vector_typeIfLj2EEPfi, .Lfunc_end8-_ZL26flash_attn_combine_resultsILi64EEvPKfPK15HIP_vector_typeIfLj2EEPfi
                                        ; -- End function
	.set _ZL26flash_attn_combine_resultsILi64EEvPKfPK15HIP_vector_typeIfLj2EEPfi.num_vgpr, 59
	.set _ZL26flash_attn_combine_resultsILi64EEvPKfPK15HIP_vector_typeIfLj2EEPfi.num_agpr, 0
	.set _ZL26flash_attn_combine_resultsILi64EEvPKfPK15HIP_vector_typeIfLj2EEPfi.numbered_sgpr, 26
	.set _ZL26flash_attn_combine_resultsILi64EEvPKfPK15HIP_vector_typeIfLj2EEPfi.num_named_barrier, 0
	.set _ZL26flash_attn_combine_resultsILi64EEvPKfPK15HIP_vector_typeIfLj2EEPfi.private_seg_size, 0
	.set _ZL26flash_attn_combine_resultsILi64EEvPKfPK15HIP_vector_typeIfLj2EEPfi.uses_vcc, 1
	.set _ZL26flash_attn_combine_resultsILi64EEvPKfPK15HIP_vector_typeIfLj2EEPfi.uses_flat_scratch, 0
	.set _ZL26flash_attn_combine_resultsILi64EEvPKfPK15HIP_vector_typeIfLj2EEPfi.has_dyn_sized_stack, 0
	.set _ZL26flash_attn_combine_resultsILi64EEvPKfPK15HIP_vector_typeIfLj2EEPfi.has_recursion, 0
	.set _ZL26flash_attn_combine_resultsILi64EEvPKfPK15HIP_vector_typeIfLj2EEPfi.has_indirect_call, 0
	.section	.AMDGPU.csdata,"",@progbits
; Kernel info:
; codeLenInByte = 2900
; TotalNumSgprs: 32
; NumVgprs: 59
; NumAgprs: 0
; TotalNumVgprs: 59
; ScratchSize: 0
; MemoryBound: 0
; FloatMode: 240
; IeeeMode: 1
; LDSByteSize: 0 bytes/workgroup (compile time only)
; SGPRBlocks: 3
; VGPRBlocks: 7
; NumSGPRsForWavesPerEU: 32
; NumVGPRsForWavesPerEU: 59
; AccumOffset: 60
; Occupancy: 8
; WaveLimiterHint : 0
; COMPUTE_PGM_RSRC2:SCRATCH_EN: 0
; COMPUTE_PGM_RSRC2:USER_SGPR: 2
; COMPUTE_PGM_RSRC2:TRAP_HANDLER: 0
; COMPUTE_PGM_RSRC2:TGID_X_EN: 1
; COMPUTE_PGM_RSRC2:TGID_Y_EN: 1
; COMPUTE_PGM_RSRC2:TGID_Z_EN: 1
; COMPUTE_PGM_RSRC2:TIDIG_COMP_CNT: 0
; COMPUTE_PGM_RSRC3_GFX90A:ACCUM_OFFSET: 14
; COMPUTE_PGM_RSRC3_GFX90A:TG_SPLIT: 0
	.section	.text._ZL18flash_attn_ext_f16ILi80ELi80ELi4ELi4ELb0ELb0EEvPKcS1_S1_S1_S1_PKiPfP15HIP_vector_typeIfLj2EEffffjfiS5_IjLj3EEiiiiiiiiiiiliiliiiiil,"axG",@progbits,_ZL18flash_attn_ext_f16ILi80ELi80ELi4ELi4ELb0ELb0EEvPKcS1_S1_S1_S1_PKiPfP15HIP_vector_typeIfLj2EEffffjfiS5_IjLj3EEiiiiiiiiiiiliiliiiiil,comdat
	.globl	_ZL18flash_attn_ext_f16ILi80ELi80ELi4ELi4ELb0ELb0EEvPKcS1_S1_S1_S1_PKiPfP15HIP_vector_typeIfLj2EEffffjfiS5_IjLj3EEiiiiiiiiiiiliiliiiiil ; -- Begin function _ZL18flash_attn_ext_f16ILi80ELi80ELi4ELi4ELb0ELb0EEvPKcS1_S1_S1_S1_PKiPfP15HIP_vector_typeIfLj2EEffffjfiS5_IjLj3EEiiiiiiiiiiiliiliiiiil
	.p2align	8
	.type	_ZL18flash_attn_ext_f16ILi80ELi80ELi4ELi4ELb0ELb0EEvPKcS1_S1_S1_S1_PKiPfP15HIP_vector_typeIfLj2EEffffjfiS5_IjLj3EEiiiiiiiiiiiliiliiiiil,@function
_ZL18flash_attn_ext_f16ILi80ELi80ELi4ELi4ELb0ELb0EEvPKcS1_S1_S1_S1_PKiPfP15HIP_vector_typeIfLj2EEffffjfiS5_IjLj3EEiiiiiiiiiiiliiliiiiil: ; @_ZL18flash_attn_ext_f16ILi80ELi80ELi4ELi4ELb0ELb0EEvPKcS1_S1_S1_S1_PKiPfP15HIP_vector_typeIfLj2EEffffjfiS5_IjLj3EEiiiiiiiiiiiliiliiiiil
; %bb.0:
	s_load_dwordx2 s[4:5], s[0:1], 0x80
	s_load_dwordx4 s[20:23], s[0:1], 0x64
	s_mov_b32 s57, s2
                                        ; implicit-def: $vgpr163 : SGPR spill to VGPR lane
	s_load_dword s60, s[0:1], 0xd0
	s_mov_b32 s6, 0
	s_waitcnt lgkmcnt(0)
	s_abs_i32 s2, s5
	v_cvt_f32_u32_e32 v1, s2
	s_sub_i32 s8, 0, s2
	s_abs_i32 s7, s21
	s_xor_b32 s3, s21, s5
	v_rcp_iflag_f32_e32 v1, v1
	s_ashr_i32 s3, s3, 31
	v_mul_f32_e32 v1, 0x4f7ffffe, v1
	v_cvt_u32_f32_e32 v1, v1
	s_nop 0
	v_readfirstlane_b32 s9, v1
	s_mul_i32 s8, s8, s9
	s_mul_hi_u32 s8, s9, s8
	s_add_i32 s9, s9, s8
	s_mul_hi_u32 s8, s7, s9
	s_mul_i32 s9, s8, s2
	s_sub_i32 s7, s7, s9
	s_add_i32 s10, s8, 1
	s_sub_i32 s9, s7, s2
	s_cmp_ge_u32 s7, s2
	s_cselect_b32 s8, s10, s8
	s_cselect_b32 s7, s9, s7
	s_add_i32 s9, s8, 1
	s_cmp_ge_u32 s7, s2
	s_cselect_b32 s2, s9, s8
	s_add_i32 s4, s4, 63
	s_xor_b32 s2, s2, s3
	s_ashr_i32 s7, s4, 31
	s_sub_i32 s3, s2, s3
	s_lshr_b32 s2, s7, 26
	s_add_i32 s4, s4, s2
	s_add_i32 s2, s20, 3
	s_lshr_b32 s7, s2, 2
	s_add_i32 s2, s3, 3
	s_ashr_i32 s98, s4, 6
	s_ashr_i32 s4, s2, 31
	s_lshr_b32 s4, s4, 30
	s_add_i32 s2, s2, s4
	s_ashr_i32 s2, s2, 2
	v_writelane_b32 v163, s7, 0
	s_mul_i32 s4, s7, s98
	v_writelane_b32 v163, s4, 1
	s_mul_i32 s2, s4, s2
	;; [unrolled: 2-line block ×4, first 2 shown]
	s_ashr_i32 s10, s2, 31
	s_mul_i32 s4, s10, s57
	s_mul_hi_u32 s5, s2, s57
	s_add_i32 s7, s5, s4
	s_cmp_lg_u64 s[6:7], 0
	s_mul_i32 s6, s2, s57
	s_cbranch_scc0 .LBB9_208
; %bb.1:
	s_add_u32 s4, s60, 0
	s_addc_u32 s5, 0, 0
	s_xor_b64 s[8:9], s[4:5], 0
	v_cvt_f32_u32_e32 v1, s8
	v_cvt_f32_u32_e32 v2, s9
	s_sub_u32 s11, 0, s8
	s_subb_u32 s14, 0, s9
	v_fmamk_f32 v1, v2, 0x4f800000, v1
	v_rcp_f32_e32 v1, v1
	s_nop 0
	v_mul_f32_e32 v1, 0x5f7ffffc, v1
	v_mul_f32_e32 v2, 0x2f800000, v1
	v_trunc_f32_e32 v2, v2
	v_fmamk_f32 v1, v2, 0xcf800000, v1
	v_cvt_u32_f32_e32 v2, v2
	v_cvt_u32_f32_e32 v1, v1
	v_readfirstlane_b32 s15, v2
	v_readfirstlane_b32 s12, v1
	s_mul_i32 s13, s11, s15
	s_mul_hi_u32 s17, s11, s12
	s_mul_i32 s16, s14, s12
	s_add_i32 s13, s17, s13
	s_add_i32 s13, s13, s16
	s_mul_i32 s18, s11, s12
	s_mul_i32 s17, s12, s13
	s_mul_hi_u32 s19, s12, s18
	s_mul_hi_u32 s16, s12, s13
	s_add_u32 s17, s19, s17
	s_addc_u32 s16, 0, s16
	s_mul_hi_u32 s22, s15, s18
	s_mul_i32 s18, s15, s18
	s_add_u32 s17, s17, s18
	s_mul_hi_u32 s19, s15, s13
	s_addc_u32 s16, s16, s22
	s_addc_u32 s17, s19, 0
	s_mul_i32 s13, s15, s13
	s_add_u32 s13, s16, s13
	s_addc_u32 s16, 0, s17
	s_add_u32 s17, s12, s13
	s_cselect_b64 s[12:13], -1, 0
	s_cmp_lg_u64 s[12:13], 0
	s_addc_u32 s15, s15, s16
	s_mul_i32 s12, s11, s15
	s_mul_hi_u32 s13, s11, s17
	s_add_i32 s12, s13, s12
	s_mul_i32 s14, s14, s17
	s_add_i32 s12, s12, s14
	s_mul_i32 s11, s11, s17
	s_mul_hi_u32 s14, s15, s11
	s_mul_i32 s16, s15, s11
	s_mul_i32 s19, s17, s12
	s_mul_hi_u32 s11, s17, s11
	s_mul_hi_u32 s18, s17, s12
	s_add_u32 s11, s11, s19
	s_addc_u32 s18, 0, s18
	s_add_u32 s11, s11, s16
	s_mul_hi_u32 s13, s15, s12
	s_addc_u32 s11, s18, s14
	s_addc_u32 s13, s13, 0
	s_mul_i32 s12, s15, s12
	s_add_u32 s11, s11, s12
	s_addc_u32 s14, 0, s13
	s_add_u32 s11, s17, s11
	s_cselect_b64 s[12:13], -1, 0
	s_cmp_lg_u64 s[12:13], 0
	s_addc_u32 s16, s15, s14
	s_ashr_i32 s12, s7, 31
	s_add_u32 s14, s6, s12
	s_mov_b32 s13, s12
	s_addc_u32 s15, s7, s12
	s_xor_b64 s[14:15], s[14:15], s[12:13]
	s_mul_i32 s17, s14, s16
	s_mul_hi_u32 s18, s14, s11
	s_mul_hi_u32 s7, s14, s16
	s_add_u32 s17, s18, s17
	s_addc_u32 s7, 0, s7
	s_mul_hi_u32 s19, s15, s11
	s_mul_i32 s11, s15, s11
	s_add_u32 s11, s17, s11
	s_mul_hi_u32 s18, s15, s16
	s_addc_u32 s7, s7, s19
	s_addc_u32 s11, s18, 0
	s_mul_i32 s16, s15, s16
	s_add_u32 s7, s7, s16
	s_addc_u32 s11, 0, s11
	s_mul_i32 s16, s8, s11
	s_mul_hi_u32 s17, s8, s7
	s_add_i32 s16, s17, s16
	s_mul_i32 s17, s9, s7
	s_add_i32 s22, s16, s17
	s_sub_i32 s18, s15, s22
	s_mul_i32 s16, s8, s7
	s_sub_u32 s14, s14, s16
	s_cselect_b64 s[16:17], -1, 0
	s_cmp_lg_u64 s[16:17], 0
	s_subb_u32 s24, s18, s9
	s_sub_u32 s25, s14, s8
	s_cselect_b64 s[18:19], -1, 0
	s_cmp_lg_u64 s[18:19], 0
	s_subb_u32 s18, s24, 0
	s_cmp_ge_u32 s18, s9
	s_cselect_b32 s19, -1, 0
	s_cmp_ge_u32 s25, s8
	s_cselect_b32 s24, -1, 0
	s_cmp_eq_u32 s18, s9
	s_cselect_b32 s18, s24, s19
	s_add_u32 s19, s7, 1
	s_addc_u32 s24, s11, 0
	s_add_u32 s25, s7, 2
	s_addc_u32 s26, s11, 0
	s_cmp_lg_u32 s18, 0
	s_cselect_b32 s18, s25, s19
	s_cselect_b32 s19, s26, s24
	s_cmp_lg_u64 s[16:17], 0
	s_subb_u32 s15, s15, s22
	s_cmp_ge_u32 s15, s9
	s_cselect_b32 s16, -1, 0
	s_cmp_ge_u32 s14, s8
	s_cselect_b32 s8, -1, 0
	s_cmp_eq_u32 s15, s9
	s_cselect_b32 s8, s8, s16
	s_cmp_lg_u32 s8, 0
	s_cselect_b32 s9, s19, s11
	s_cselect_b32 s8, s18, s7
	s_xor_b64 s[12:13], s[12:13], 0
	s_xor_b64 s[8:9], s[8:9], s[12:13]
	s_sub_u32 s58, s8, s12
	s_load_dwordx2 s[34:35], s[0:1], 0x74
	v_cvt_f32_u32_e32 v1, s60
	s_cbranch_execnz .LBB9_3
.LBB9_2:
	v_rcp_iflag_f32_e32 v2, v1
	s_sub_i32 s4, 0, s60
	v_mul_f32_e32 v2, 0x4f7ffffe, v2
	v_cvt_u32_f32_e32 v2, v2
	s_nop 0
	v_readfirstlane_b32 s5, v2
	s_mul_i32 s4, s4, s5
	s_mul_hi_u32 s4, s5, s4
	s_add_i32 s5, s5, s4
	s_mul_hi_u32 s4, s6, s5
	s_mul_i32 s7, s4, s60
	s_sub_i32 s6, s6, s7
	s_add_i32 s5, s4, 1
	s_sub_i32 s7, s6, s60
	s_cmp_ge_u32 s6, s60
	s_cselect_b32 s4, s5, s4
	s_cselect_b32 s6, s7, s6
	s_add_i32 s5, s4, 1
	s_cmp_ge_u32 s6, s60
	s_cselect_b32 s58, s5, s4
.LBB9_3:
	s_add_i32 s4, s57, 1
	s_mul_i32 s5, s10, s4
	s_mul_hi_u32 s6, s2, s4
	s_add_i32 s9, s6, s5
	s_mov_b32 s8, 0
	s_cmp_lg_u64 s[8:9], 0
	s_mul_i32 s2, s2, s4
	s_cbranch_scc0 .LBB9_209
; %bb.4:
	s_add_u32 s4, s60, 0
	s_addc_u32 s5, 0, 0
	s_xor_b64 s[6:7], s[4:5], 0
	v_cvt_f32_u32_e32 v2, s6
	v_cvt_f32_u32_e32 v3, s7
	s_sub_u32 s8, 0, s6
	s_subb_u32 s12, 0, s7
	v_fmamk_f32 v2, v3, 0x4f800000, v2
	v_rcp_f32_e32 v2, v2
	s_nop 0
	v_mul_f32_e32 v2, 0x5f7ffffc, v2
	v_mul_f32_e32 v3, 0x2f800000, v2
	v_trunc_f32_e32 v3, v3
	v_fmamk_f32 v2, v3, 0xcf800000, v2
	v_cvt_u32_f32_e32 v3, v3
	v_cvt_u32_f32_e32 v2, v2
	v_readfirstlane_b32 s13, v3
	v_readfirstlane_b32 s10, v2
	s_mul_i32 s11, s8, s13
	s_mul_hi_u32 s15, s8, s10
	s_mul_i32 s14, s12, s10
	s_add_i32 s11, s15, s11
	s_add_i32 s11, s11, s14
	s_mul_i32 s16, s8, s10
	s_mul_i32 s15, s10, s11
	s_mul_hi_u32 s17, s10, s16
	s_mul_hi_u32 s14, s10, s11
	s_add_u32 s15, s17, s15
	s_addc_u32 s14, 0, s14
	s_mul_hi_u32 s18, s13, s16
	s_mul_i32 s16, s13, s16
	s_add_u32 s15, s15, s16
	s_mul_hi_u32 s17, s13, s11
	s_addc_u32 s14, s14, s18
	s_addc_u32 s15, s17, 0
	s_mul_i32 s11, s13, s11
	s_add_u32 s11, s14, s11
	s_addc_u32 s14, 0, s15
	s_add_u32 s15, s10, s11
	s_cselect_b64 s[10:11], -1, 0
	s_cmp_lg_u64 s[10:11], 0
	s_addc_u32 s13, s13, s14
	s_mul_i32 s10, s8, s13
	s_mul_hi_u32 s11, s8, s15
	s_add_i32 s10, s11, s10
	s_mul_i32 s12, s12, s15
	s_add_i32 s10, s10, s12
	s_mul_i32 s8, s8, s15
	s_mul_hi_u32 s12, s13, s8
	s_mul_i32 s14, s13, s8
	s_mul_i32 s17, s15, s10
	s_mul_hi_u32 s8, s15, s8
	s_mul_hi_u32 s16, s15, s10
	s_add_u32 s8, s8, s17
	s_addc_u32 s16, 0, s16
	s_add_u32 s8, s8, s14
	s_mul_hi_u32 s11, s13, s10
	s_addc_u32 s8, s16, s12
	s_addc_u32 s11, s11, 0
	s_mul_i32 s10, s13, s10
	s_add_u32 s8, s8, s10
	s_addc_u32 s12, 0, s11
	s_add_u32 s14, s15, s8
	s_cselect_b64 s[10:11], -1, 0
	s_cmp_lg_u64 s[10:11], 0
	s_addc_u32 s12, s13, s12
	s_ashr_i32 s10, s9, 31
	s_add_u32 s8, s2, s10
	s_mov_b32 s11, s10
	s_addc_u32 s9, s9, s10
	s_xor_b64 s[8:9], s[8:9], s[10:11]
	s_mul_i32 s15, s8, s12
	s_mul_hi_u32 s16, s8, s14
	s_mul_hi_u32 s13, s8, s12
	s_add_u32 s15, s16, s15
	s_addc_u32 s13, 0, s13
	s_mul_hi_u32 s17, s9, s14
	s_mul_i32 s14, s9, s14
	s_add_u32 s14, s15, s14
	s_mul_hi_u32 s16, s9, s12
	s_addc_u32 s13, s13, s17
	s_addc_u32 s14, s16, 0
	s_mul_i32 s12, s9, s12
	s_add_u32 s16, s13, s12
	s_addc_u32 s17, 0, s14
	s_mul_i32 s12, s6, s17
	s_mul_hi_u32 s13, s6, s16
	s_add_i32 s12, s13, s12
	s_mul_i32 s13, s7, s16
	s_add_i32 s18, s12, s13
	s_sub_i32 s14, s9, s18
	s_mul_i32 s12, s6, s16
	s_sub_u32 s8, s8, s12
	s_cselect_b64 s[12:13], -1, 0
	s_cmp_lg_u64 s[12:13], 0
	s_subb_u32 s19, s14, s7
	s_sub_u32 s22, s8, s6
	s_cselect_b64 s[14:15], -1, 0
	s_cmp_lg_u64 s[14:15], 0
	s_subb_u32 s14, s19, 0
	s_cmp_ge_u32 s14, s7
	s_cselect_b32 s15, -1, 0
	s_cmp_ge_u32 s22, s6
	s_cselect_b32 s19, -1, 0
	s_cmp_eq_u32 s14, s7
	s_cselect_b32 s14, s19, s15
	s_add_u32 s15, s16, 1
	s_addc_u32 s19, s17, 0
	s_add_u32 s22, s16, 2
	s_addc_u32 s24, s17, 0
	s_cmp_lg_u32 s14, 0
	s_cselect_b32 s14, s22, s15
	s_cselect_b32 s15, s24, s19
	s_cmp_lg_u64 s[12:13], 0
	s_subb_u32 s9, s9, s18
	s_cmp_ge_u32 s9, s7
	s_cselect_b32 s12, -1, 0
	s_cmp_ge_u32 s8, s6
	s_cselect_b32 s6, -1, 0
	s_cmp_eq_u32 s9, s7
	s_cselect_b32 s6, s6, s12
	s_cmp_lg_u32 s6, 0
	s_cselect_b32 s7, s15, s17
	s_cselect_b32 s6, s14, s16
	s_xor_b64 s[8:9], s[10:11], 0
	s_xor_b64 s[6:7], s[6:7], s[8:9]
	s_sub_u32 s62, s6, s8
	s_load_dwordx2 s[28:29], s[0:1], 0x5c
	s_cbranch_execnz .LBB9_6
.LBB9_5:
	v_rcp_iflag_f32_e32 v1, v1
	s_sub_i32 s4, 0, s60
	v_mul_f32_e32 v1, 0x4f7ffffe, v1
	v_cvt_u32_f32_e32 v1, v1
	s_nop 0
	v_readfirstlane_b32 s5, v1
	s_mul_i32 s4, s4, s5
	s_mul_hi_u32 s4, s5, s4
	s_add_i32 s5, s5, s4
	s_mul_hi_u32 s4, s2, s5
	s_mul_i32 s6, s4, s60
	s_sub_i32 s2, s2, s6
	s_add_i32 s5, s4, 1
	s_sub_i32 s6, s2, s60
	s_cmp_ge_u32 s2, s60
	s_cselect_b32 s4, s5, s4
	s_cselect_b32 s2, s6, s2
	s_add_i32 s5, s4, 1
	s_cmp_ge_u32 s2, s60
	s_cselect_b32 s62, s5, s4
.LBB9_6:
	s_abs_i32 s99, s98
	v_cvt_f32_u32_e32 v1, s99
	s_load_dwordx16 s[36:51], s[0:1], 0x0
	s_load_dword s2, s[0:1], 0x40
	s_load_dwordx2 s[4:5], s[0:1], 0x8c
	s_load_dwordx4 s[24:27], s[0:1], 0x98
	s_load_dwordx2 s[52:53], s[0:1], 0xa8
	s_load_dwordx2 s[30:31], s[0:1], 0xb8
	;; [unrolled: 1-line block ×3, first 2 shown]
	s_ashr_i32 s0, s23, 3
	v_writelane_b32 v163, s0, 4
	v_rcp_iflag_f32_e32 v1, v1
	s_waitcnt lgkmcnt(0)
	s_mov_b32 s1, s5
	s_ashr_i32 s22, s4, 2
	s_sub_i32 s4, 0, s99
	v_mul_f32_e32 v1, 0x4f7ffffe, v1
	v_cvt_u32_f32_e32 v1, v1
	v_writelane_b32 v163, s0, 5
	s_ashr_i32 s15, s34, 3
	s_ashr_i32 s66, s31, 1
	v_readfirstlane_b32 s56, v1
	s_mul_i32 s4, s4, s56
	v_writelane_b32 v163, s1, 6
	s_ashr_i32 s1, s98, 31
	s_mul_hi_u32 s4, s56, s4
	v_writelane_b32 v163, s1, 7
	s_abs_i32 s1, s58
	s_add_i32 s56, s56, s4
	s_mul_hi_u32 s4, s1, s56
	s_mul_i32 s4, s4, s99
	s_sub_i32 s1, s1, s4
	s_ashr_i32 s18, s26, 2
	s_ashr_i32 s0, s58, 31
	s_sub_i32 s4, s1, s99
	s_cmp_ge_u32 s1, s99
	s_cselect_b32 s1, s4, s1
	s_sub_i32 s4, s1, s99
	s_cmp_ge_u32 s1, s99
	s_cselect_b32 s1, s4, s1
	s_xor_b32 s1, s1, s0
	s_sub_i32 s90, s1, s0
	s_sub_i32 s0, s62, s58
	s_add_i32 s4, s0, s90
	s_min_i32 s33, s98, s4
	s_cmp_gt_i32 s62, s58
	s_cselect_b64 s[12:13], -1, 0
	s_cmp_le_i32 s62, s58
	s_cselect_b64 s[0:1], -1, 0
	s_cmp_gt_i32 s98, s4
	v_cvt_f16_f32_e32 v1, s2
	s_cselect_b64 s[4:5], -1, 0
	s_or_b64 s[0:1], s[4:5], s[0:1]
	v_bfe_u32 v51, v0, 10, 10
	s_mov_b32 s65, 0
	s_and_b64 vcc, exec, s[0:1]
	v_bfe_u32 v53, v0, 5, 5
	v_lshlrev_b32_e32 v21, 1, v51
	v_and_b32_e32 v20, 31, v0
	v_lshlrev_b32_e32 v57, 2, v51
	v_lshlrev_b32_e32 v55, 4, v51
	v_mbcnt_lo_u32_b32 v59, -1, 0
	s_cbranch_vccz .LBB9_9
; %bb.7:
	s_andn2_b64 vcc, exec, s[12:13]
	s_cbranch_vccz .LBB9_184
.LBB9_8:
	s_endpgm
.LBB9_9:
	s_cmp_eq_u64 s[44:45], 0
	v_writelane_b32 v163, s60, 8
	s_cselect_b64 s[0:1], -1, 0
	v_writelane_b32 v163, s0, 9
	s_cmp_lg_u64 s[46:47], 0
	v_and_b32_e32 v4, 0x3ff, v0
	v_writelane_b32 v163, s1, 10
	s_cselect_b64 s[0:1], -1, 0
	v_writelane_b32 v163, s0, 11
	v_and_b32_e32 v7, 0x3f0, v57
	v_and_b32_e32 v9, 15, v0
	v_writelane_b32 v163, s1, 12
	s_movk_i32 s1, 0xb0
	v_bfe_u32 v11, v0, 1, 9
	v_lshlrev_b32_e32 v13, 1, v4
	v_add_u32_e32 v17, v21, v53
	v_mad_u32_u24 v8, v7, s1, 0
	v_mul_u32_u24_e32 v10, 0xb0, v9
	v_and_b32_e32 v12, 0x78, v11
	v_and_b32_e32 v18, 62, v13
	v_bfe_u32 v2, v0, 3, 7
	v_add3_u32 v25, v8, v10, v12
	v_mul_u32_u24_e32 v8, 0x90, v17
	v_lshlrev_b32_e32 v13, 1, v18
	v_lshl_add_u32 v3, v51, 3, v2
	v_and_b32_e32 v16, 7, v0
	v_add3_u32 v27, 0, v8, v13
	v_lshl_add_u32 v8, v51, 5, v11
	v_lshlrev_b32_e32 v11, 2, v4
	v_mad_u32_u24 v5, v3, s1, 0
	v_lshlrev_b32_e32 v6, 2, v16
	v_and_b32_e32 v24, 28, v11
	v_add_u32_e32 v19, v5, v6
	v_lshl_add_u32 v61, v24, 2, v5
	v_and_b32_e32 v5, 48, v55
	v_mad_u32_u24 v13, v5, s1, 0
	v_and_b32_e32 v26, 4, v11
	v_add3_u32 v63, v13, v10, v12
	v_mad_u32_u24 v10, v8, s1, 0
	v_lshlrev_b32_e32 v11, 2, v26
	s_movk_i32 s1, 0x80
	v_add3_u32 v67, v10, v11, s1
	v_lshrrev_b16_e32 v10, 2, v4
	v_and_b32_e32 v10, 60, v10
	v_and_or_b32 v7, v0, 12, v7
	v_add_u16_e32 v5, v5, v10
	v_lshrrev_b32_e32 v7, 2, v7
	v_lshrrev_b16_e32 v5, 1, v5
	v_mul_u32_u24_e32 v7, 0x90, v7
	v_lshlrev_b32_e32 v5, 2, v5
	v_add3_u32 v86, 0, v7, v5
	v_lshlrev_b32_e32 v5, 1, v2
	v_or_b32_e32 v7, 3, v5
	v_or_b32_e32 v10, 2, v5
	v_and_b32_e32 v5, 60, v5
	v_mul_u32_u24_e32 v5, 0xb0, v5
	v_lshlrev_b32_e32 v11, 1, v9
	v_add3_u32 v87, v13, v5, v11
	v_bfe_u32 v5, v0, 10, 2
	v_cmp_eq_u32_e64 s[6:7], 0, v5
	v_cmp_ne_u32_e64 s[8:9], 0, v5
	v_or_b32_e32 v5, v57, v4
	v_lshlrev_b32_e32 v22, 3, v5
	v_or_b32_e32 v5, v55, v9
	v_mul_u32_u24_e32 v5, 0xb0, v5
	v_add3_u32 v90, 0, v5, v12
	v_lshrrev_b32_e32 v5, 10, v0
	v_bfe_u32 v5, v5, 1, 9
	v_mul_u32_u24_e32 v7, 0xb0, v7
	v_add_u32_e32 v5, v5, v53
	v_add3_u32 v89, v13, v7, v11
	v_lshlrev_b32_e32 v7, 2, v5
	v_and_b32_e32 v9, 15, v5
	s_movk_i32 s1, 0x3c0
	v_mul_u32_u24_e32 v10, 0xb0, v10
	v_and_or_b32 v7, v7, s1, v9
	v_add_u32_e32 v9, 2, v5
	v_add3_u32 v88, v13, v10, v11
	v_lshlrev_b32_e32 v10, 2, v9
	v_and_b32_e32 v11, 15, v9
	s_movk_i32 s1, 0x7c0
	v_and_or_b32 v10, v10, s1, v11
	v_add_u32_e32 v11, 4, v5
	v_lshlrev_b32_e32 v12, 2, v11
	v_and_b32_e32 v13, 15, v11
	v_cmp_gt_u32_e64 s[4:5], 16, v3
	v_and_or_b32 v12, v12, s1, v13
	v_add_u32_e32 v13, 6, v5
	v_writelane_b32 v163, s4, 13
	v_lshlrev_b32_e32 v14, 2, v13
	v_and_b32_e32 v15, 15, v13
	v_writelane_b32 v163, s5, 14
	v_and_or_b32 v14, v14, s1, v15
	v_add_u32_e32 v15, 8, v5
	v_writelane_b32 v163, s8, 15
	v_lshlrev_b32_e32 v28, 2, v15
	v_and_b32_e32 v29, 15, v15
	v_add_u32_e32 v60, 10, v5
	v_writelane_b32 v163, s9, 16
	s_lshl_b32 s64, s57, 4
	v_and_or_b32 v42, v28, s1, v29
	v_lshlrev_b32_e32 v28, 2, v60
	v_and_b32_e32 v29, 15, v60
	v_add_u32_e32 v44, 12, v5
	s_ashr_i32 s67, s66, 31
	s_ashr_i32 s23, s22, 31
	;; [unrolled: 1-line block ×3, first 2 shown]
	v_writelane_b32 v163, s57, 17
	s_lshl_b64 s[8:9], s[64:65], 3
	v_and_or_b32 v43, v28, s1, v29
	v_lshlrev_b32_e32 v28, 2, v44
	v_and_b32_e32 v29, 15, v44
	v_add_u32_e32 v62, 14, v5
	s_add_u32 s10, s50, s8
	v_add_u32_e32 v2, v21, v2
	v_and_or_b32 v45, v28, s1, v29
	v_lshlrev_b32_e32 v28, 2, v62
	v_and_b32_e32 v29, 15, v62
	v_readlane_b32 s12, v163, 3
	s_addc_u32 s11, s51, s9
	v_and_or_b32 v46, v28, s1, v29
	v_lshlrev_b32_e32 v28, 2, v2
	v_and_b32_e32 v29, 15, v2
	s_movk_i32 s1, 0xfc0
	s_abs_i32 s61, s12
	v_and_or_b32 v47, v28, s1, v29
	v_cvt_f32_u32_e32 v28, s61
	v_readlane_b32 s16, v163, 2
	s_abs_i32 s63, s16
	v_cvt_f32_u32_e32 v31, s63
	v_rcp_iflag_f32_e32 v28, v28
	v_add_u32_e32 v48, 8, v2
	v_lshlrev_b32_e32 v29, 2, v48
	v_and_b32_e32 v30, 15, v48
	s_movk_i32 s1, 0x1fc0
	v_mul_f32_e32 v28, 0x4f7ffffe, v28
	v_readlane_b32 s13, v163, 1
	v_and_or_b32 v49, v29, s1, v30
	v_cvt_u32_f32_e32 v28, v28
	v_rcp_iflag_f32_e32 v29, v31
	s_abs_i32 s60, s13
	v_cvt_f32_u32_e32 v30, s60
	s_mov_b32 s2, s30
	v_writelane_b32 v163, s2, 18
	s_ashr_i32 s12, s12, 31
	s_abs_i32 s70, s30
	v_writelane_b32 v163, s3, 19
	v_readfirstlane_b32 s1, v28
	v_mul_f32_e32 v29, 0x4f7ffffe, v29
	v_writelane_b32 v163, s12, 20
	s_sub_i32 s12, 0, s61
	v_cvt_f32_u32_e32 v31, s70
	v_rcp_iflag_f32_e32 v28, v30
	v_cvt_u32_f32_e32 v29, v29
	s_mul_i32 s12, s12, s1
	s_mul_hi_u32 s12, s1, s12
	s_add_i32 s1, s1, s12
	v_writelane_b32 v163, s1, 21
	s_ashr_i32 s1, s16, 31
	v_rcp_iflag_f32_e32 v30, v31
	v_mul_f32_e32 v28, 0x4f7ffffe, v28
	v_readfirstlane_b32 s2, v29
	v_writelane_b32 v163, s1, 22
	s_sub_i32 s1, 0, s63
	v_cvt_u32_f32_e32 v31, v28
	s_mul_i32 s1, s1, s2
	s_mul_hi_u32 s1, s2, s1
	s_add_i32 s1, s2, s1
	v_mul_f32_e32 v28, 0x4f7ffffe, v30
	v_writelane_b32 v163, s1, 23
	s_ashr_i32 s1, s13, 31
	v_cvt_u32_f32_e32 v30, v28
	v_readfirstlane_b32 s8, v31
	v_writelane_b32 v163, s1, 24
	s_sub_i32 s1, 0, s60
	s_mul_i32 s1, s1, s8
	s_mul_hi_u32 s1, s8, s1
	s_add_i32 s1, s8, s1
	v_mov_b32_e32 v23, 0
	v_cmp_gt_u32_e64 s[4:5], 64, v8
	v_readfirstlane_b32 s9, v30
	v_mul_lo_u32 v30, s22, v3
	v_mul_lo_u32 v34, s22, v8
	;; [unrolled: 1-line block ×3, first 2 shown]
	v_add_u32_e32 v8, 32, v3
	v_lshrrev_b32_e32 v91, 2, v3
	v_mul_lo_u32 v40, s18, v3
	v_add_u32_e32 v3, v55, v4
	v_writelane_b32 v163, s1, 25
	s_sub_i32 s1, 0, s70
	v_lshl_add_u64 v[28:29], s[10:11], 0, v[22:23]
	v_and_b32_e32 v22, 1, v0
	v_mul_u32_u24_e32 v92, 0xb0, v3
	v_add_u32_e32 v3, 8, v17
	s_mul_i32 s1, s1, s9
	v_lshlrev_b32_e32 v22, 4, v22
	v_ashrrev_i32_e32 v37, 31, v36
	v_lshrrev_b32_e32 v94, 2, v3
	v_lshrrev_b32_e32 v106, 2, v2
	s_mul_hi_u32 s1, s9, s1
	v_lshlrev_b32_e32 v2, 2, v20
	v_mov_b32_e32 v3, v23
	v_mul_u32_u24_e32 v101, 0xb0, v42
	v_mul_u32_u24_e32 v102, 0xb0, v43
	s_add_i32 s1, s9, s1
	v_add_u32_e32 v110, 0, v2
	v_lshl_add_u64 v[42:43], s[42:43], 0, v[2:3]
	v_lshl_add_u64 v[2:3], v[36:37], 2, v[22:23]
	v_ashrrev_i32_e32 v35, 31, v34
	v_writelane_b32 v163, s1, 26
	s_mov_b32 s2, s66
	v_lshl_add_u64 v[2:3], s[40:41], 0, v[2:3]
	s_mov_b64 s[72:73], 0x80
	v_lshrrev_b32_e32 v103, 2, v44
	v_mul_u32_u24_e32 v104, 0xb0, v45
	v_writelane_b32 v163, s2, 27
	v_lshl_add_u64 v[44:45], v[2:3], 0, s[72:73]
	v_lshl_add_u64 v[2:3], v[34:35], 2, v[22:23]
	s_mov_b32 s17, s15
	v_lshl_add_u32 v32, s22, 5, v30
	v_mul_lo_u32 v38, s18, v8
	v_writelane_b32 v163, s3, 28
	s_lshl_b64 s[8:9], s[66:67], 1
	v_lshl_add_u64 v[2:3], s[38:39], 0, v[2:3]
	v_bfe_u32 v50, v4, 3, 2
	s_mov_b32 s0, 0x10001
	v_ashrrev_i32_e32 v31, 31, v30
	v_ashrrev_i32_e32 v33, 31, v32
	;; [unrolled: 1-line block ×4, first 2 shown]
	v_lshrrev_b32_e32 v108, 2, v48
	v_mul_u32_u24_e32 v109, 0xb0, v49
	v_writelane_b32 v163, s8, 29
	v_lshl_add_u64 v[48:49], v[2:3], 0, s[72:73]
	v_and_b32_e32 v112, 3, v17
	v_mul_lo_u32 v2, s17, v50
	v_cmp_gt_u32_e64 s[14:15], 4, v17
	v_cmp_gt_u32_e64 s[10:11], 16, v4
	v_add_u32_e32 v93, 0, v6
	v_mul_u32_u24_e32 v95, 0xb0, v7
	v_mul_u32_u24_e32 v96, 0xb0, v10
	v_lshrrev_b32_e32 v97, 2, v11
	v_mul_u32_u24_e32 v98, 0xb0, v12
	v_mul_u32_u24_e32 v99, 0xb0, v14
	v_lshrrev_b32_e32 v100, 2, v15
	v_mul_u32_u24_e32 v105, 0xb0, v46
	v_mul_u32_u24_e32 v107, 0xb0, v47
	v_writelane_b32 v163, s9, 30
	s_lshl_b64 s[74:75], s[18:19], 8
	v_lshlrev_b32_e32 v46, 4, v16
	v_mov_b32_e32 v47, v23
	s_lshl_b64 s[76:77], s[22:23], 8
	s_mov_b32 s67, 0x3fb8aa3b
	s_mov_b32 s68, 0xc2ce8ed0
	;; [unrolled: 1-line block ×5, first 2 shown]
	v_mul_lo_u32 v111, v1, s0
	v_add3_u32 v52, v2, v16, 32
	v_add_u32_e32 v113, 0x1600, v61
	v_lshrrev_b32_e32 v114, 2, v17
	v_mul_u32_u24_e32 v115, 0xb0, v17
	v_lshrrev_b32_e32 v116, 2, v5
	v_and_b32_e32 v54, 3, v5
	v_lshrrev_b32_e32 v117, 2, v9
	v_and_b32_e32 v56, 3, v9
	;; [unrolled: 2-line block ×5, first 2 shown]
	v_mbcnt_hi_u32_b32 v121, -1, v59
	v_mov_b32_e32 v122, 0x7f800000
	v_mad_u64_u32 v[64:65], s[0:1], s17, v112, v[20:21]
	v_and_b32_e32 v66, 3, v0
	v_lshl_add_u64 v[68:69], v[40:41], 2, s[40:41]
	v_lshl_add_u64 v[70:71], v[38:39], 2, s[40:41]
	;; [unrolled: 1-line block ×4, first 2 shown]
	v_writelane_b32 v163, s17, 31
	s_branch .LBB9_12
.LBB9_10:                               ;   in Loop: Header=BB9_12 Depth=1
	s_or_b64 exec, exec, s[80:81]
	s_barrier
.LBB9_11:                               ;   in Loop: Header=BB9_12 Depth=1
	s_add_i32 s0, s58, s98
	s_abs_i32 s2, s0
	s_mul_hi_u32 s8, s2, s56
	s_mul_i32 s8, s8, s99
	s_sub_i32 s2, s2, s8
	s_ashr_i32 s1, s0, 31
	s_sub_i32 s8, s2, s99
	s_cmp_ge_u32 s2, s99
	s_cselect_b32 s2, s8, s2
	s_sub_i32 s8, s2, s99
	s_cmp_ge_u32 s2, s99
	s_cselect_b32 s2, s8, s2
	s_xor_b32 s2, s2, s1
	s_sub_i32 s1, s1, s2
	s_add_i32 s58, s0, s1
	s_sub_i32 s0, s62, s58
	s_min_i32 s33, s98, s0
	s_cmp_gt_i32 s62, s58
	s_cselect_b64 s[12:13], -1, 0
	s_cmp_le_i32 s98, s0
	s_cselect_b64 s[0:1], -1, 0
	s_and_b64 s[0:1], s[0:1], s[12:13]
	s_mov_b32 s90, 0
	s_and_b64 vcc, exec, s[0:1]
	s_cbranch_vccz .LBB9_183
.LBB9_12:                               ; =>This Loop Header: Depth=1
                                        ;     Child Loop BB9_117 Depth 2
                                        ;     Child Loop BB9_31 Depth 2
	s_ashr_i32 s0, s58, 31
	v_readlane_b32 s1, v163, 20
	s_xor_b32 s0, s0, s1
	s_abs_i32 s1, s58
	v_readlane_b32 s2, v163, 21
	s_mul_hi_u32 s2, s1, s2
	s_mul_i32 s8, s2, s61
	s_sub_i32 s1, s1, s8
	s_add_i32 s8, s2, 1
	s_sub_i32 s9, s1, s61
	s_cmp_ge_u32 s1, s61
	s_cselect_b32 s2, s8, s2
	s_cselect_b32 s1, s9, s1
	s_add_i32 s8, s2, 1
	s_cmp_ge_u32 s1, s61
	s_cselect_b32 s1, s8, s2
	s_xor_b32 s1, s1, s0
	s_sub_i32 s2, s1, s0
	v_readlane_b32 s0, v163, 3
	s_mul_i32 s0, s2, s0
	s_sub_i32 s0, s58, s0
	s_ashr_i32 s1, s0, 31
	v_readlane_b32 s8, v163, 22
	s_xor_b32 s1, s1, s8
	s_abs_i32 s8, s0
	v_readlane_b32 s9, v163, 23
	s_mul_hi_u32 s9, s8, s9
	s_mul_i32 s12, s9, s63
	s_sub_i32 s8, s8, s12
	s_add_i32 s12, s9, 1
	s_sub_i32 s13, s8, s63
	s_cmp_ge_u32 s8, s63
	s_cselect_b32 s9, s12, s9
	s_cselect_b32 s8, s13, s8
	s_add_i32 s12, s9, 1
	s_cmp_ge_u32 s8, s63
	s_cselect_b32 s8, s12, s9
	s_xor_b32 s8, s8, s1
	s_sub_i32 s8, s8, s1
	v_readlane_b32 s1, v163, 2
	s_mul_i32 s1, s8, s1
	s_sub_i32 s1, s0, s1
	;; [unrolled: 21-line block ×3, first 2 shown]
	s_ashr_i32 s9, s1, 31
	v_readlane_b32 s12, v163, 7
	s_abs_i32 s1, s1
	s_xor_b32 s9, s9, s12
	s_mul_hi_u32 s12, s1, s56
	s_mul_i32 s13, s12, s99
	s_sub_i32 s1, s1, s13
	s_add_i32 s13, s12, 1
	s_sub_i32 s16, s1, s99
	s_cmp_ge_u32 s1, s99
	s_cselect_b32 s12, s13, s12
	s_cselect_b32 s1, s16, s1
	s_add_i32 s13, s12, 1
	s_cmp_ge_u32 s1, s99
	s_cselect_b32 s1, s13, s12
	v_readlane_b32 s12, v163, 11
	s_xor_b32 s1, s1, s9
	v_readlane_b32 s13, v163, 12
	s_andn2_b64 vcc, exec, s[12:13]
	s_sub_i32 s9, s1, s9
	s_cbranch_vccnz .LBB9_14
; %bb.13:                               ;   in Loop: Header=BB9_12 Depth=1
	v_readlane_b32 s1, v163, 0
	s_mul_i32 s1, s2, s1
	s_add_i32 s12, s9, s1
	s_ashr_i32 s13, s12, 31
	s_lshl_b64 s[12:13], s[12:13], 2
	s_add_u32 s12, s46, s12
	s_addc_u32 s13, s47, s13
	global_load_dword v2, v23, s[12:13]
	s_waitcnt vmcnt(0)
	v_readfirstlane_b32 s1, v2
	s_ashr_i32 s12, s1, 31
	s_lshr_b32 s12, s12, 26
	s_add_i32 s1, s1, s12
	s_ashr_i32 s1, s1, 6
	s_min_i32 s33, s33, s1
.LBB9_14:                               ;   in Loop: Header=BB9_12 Depth=1
	s_mul_i32 s1, s8, s3
	s_lshl_b32 s71, s0, 2
	s_mul_i32 s0, s2, s35
	s_add_i32 s12, s71, s1
	s_ashr_i32 s1, s0, 31
	s_add_u32 s0, s36, s0
	s_mul_i32 s13, s12, s34
	s_addc_u32 s1, s37, s1
	s_ashr_i32 s16, s13, 31
	s_add_u32 s84, s0, s13
	s_addc_u32 s85, s1, s16
	s_ashr_i32 s13, s2, 31
	s_mul_hi_u32 s0, s24, s2
	s_mul_i32 s1, s24, s13
	s_add_i32 s0, s0, s1
	s_mul_i32 s1, s25, s2
	s_add_i32 s66, s0, s1
	v_readlane_b32 s0, v163, 5
	s_mul_i32 s95, s24, s2
	v_readlane_b32 s1, v163, 6
	s_add_u32 s16, s38, s95
	s_mul_i32 s0, s8, s1
	s_addc_u32 s17, s39, s66
	s_ashr_i32 s1, s0, 31
	s_add_u32 s30, s16, s0
	s_addc_u32 s31, s17, s1
	s_abs_i32 s16, s2
	v_readlane_b32 s17, v163, 26
	s_mul_hi_u32 s17, s16, s17
	s_mul_i32 s17, s17, s70
	s_sub_i32 s16, s16, s17
	s_sub_i32 s17, s16, s70
	s_cmp_ge_u32 s16, s70
	s_cselect_b32 s16, s17, s16
	s_sub_i32 s17, s16, s70
	s_cmp_ge_u32 s16, s70
	s_cselect_b32 s16, s17, s16
	s_xor_b32 s16, s16, s13
	s_sub_i32 s16, s16, s13
	s_ashr_i32 s17, s16, 31
	s_mul_i32 s17, s54, s17
	s_mul_hi_u32 s59, s54, s16
	s_add_i32 s17, s59, s17
	s_mul_i32 s59, s55, s16
	s_add_i32 s87, s17, s59
	s_mul_i32 s86, s54, s16
	s_mul_i32 s16, s20, s21
	s_add_u32 s82, s42, s86
	s_mul_i32 s16, s16, s2
	s_addc_u32 s83, s43, s87
	s_add_i32 s16, s12, s16
	s_mul_i32 s64, s16, 40
	s_lshl_b64 s[16:17], s[64:65], 3
	s_add_u32 s78, s48, s16
	s_mul_hi_u32 s16, s52, s2
	s_mul_i32 s13, s52, s13
	s_addc_u32 s79, s49, s17
	s_add_i32 s13, s16, s13
	s_mul_i32 s16, s53, s2
	s_add_i32 s64, s13, s16
	s_mul_i32 s96, s52, s2
	s_add_u32 s2, s40, s96
	s_mul_i32 s97, s8, s27
	s_addc_u32 s13, s41, s64
	s_ashr_i32 s8, s97, 31
	s_add_u32 s94, s2, s97
	s_addc_u32 s2, s13, s8
	s_ashr_i32 s13, s12, 31
	s_lshl_b64 s[12:13], s[12:13], 2
	s_add_u32 s16, s44, s12
	s_addc_u32 s17, s45, s13
	v_readlane_b32 s12, v163, 9
	v_readlane_b32 s13, v163, 10
	s_and_b64 s[12:13], s[12:13], exec
	s_cselect_b32 s81, 0, s17
	s_cselect_b32 s80, 0, s16
	s_cmp_lg_u32 s90, 0
	v_or_b32_e32 v65, s71, v112
	s_cbranch_scc0 .LBB9_37
; %bb.15:                               ;   in Loop: Header=BB9_12 Depth=1
	s_lshl_b32 s59, s9, 2
	v_add_u32_e32 v2, s59, v114
	v_cmp_le_i32_e64 s[12:13], s3, v65
	v_cmp_le_i32_e64 s[16:17], s20, v2
	v_cmp_gt_i32_e32 vcc, s3, v65
	s_or_b64 s[12:13], s[16:17], s[12:13]
	s_and_saveexec_b64 s[16:17], s[12:13]
	s_xor_b64 s[12:13], exec, s[16:17]
; %bb.16:                               ;   in Loop: Header=BB9_12 Depth=1
	v_add_u32_e32 v2, v110, v115
	ds_write_b32 v2, v23
                                        ; implicit-def: $vgpr2
; %bb.17:                               ;   in Loop: Header=BB9_12 Depth=1
	s_andn2_saveexec_b64 s[12:13], s[12:13]
	s_cbranch_execz .LBB9_19
; %bb.18:                               ;   in Loop: Header=BB9_12 Depth=1
	v_readlane_b32 s16, v163, 4
	s_nop 1
	v_mad_u64_u32 v[2:3], s[16:17], v2, s16, v[64:65]
	v_ashrrev_i32_e32 v3, 31, v2
	v_lshl_add_u64 v[2:3], v[2:3], 3, s[84:85]
	global_load_dwordx2 v[2:3], v[2:3], off
	s_waitcnt vmcnt(0)
	v_cvt_pk_f16_f32 v2, v2, v3
	v_pk_mul_f16 v2, v2, v111
	v_add_u32_e32 v3, v110, v115
	ds_write_b32 v3, v2
.LBB9_19:                               ;   in Loop: Header=BB9_12 Depth=1
	s_or_b64 exec, exec, s[12:13]
	v_add_u32_e32 v2, s59, v94
	v_cmp_le_i32_e64 s[12:13], s20, v2
	s_xor_b64 s[16:17], vcc, -1
	s_or_b64 s[12:13], s[12:13], s[16:17]
	s_and_saveexec_b64 s[16:17], s[12:13]
	s_xor_b64 s[12:13], exec, s[16:17]
; %bb.20:                               ;   in Loop: Header=BB9_12 Depth=1
	v_add_u32_e32 v2, v110, v115
	ds_write_b32 v2, v23 offset:1408
                                        ; implicit-def: $vgpr2
; %bb.21:                               ;   in Loop: Header=BB9_12 Depth=1
	s_andn2_saveexec_b64 s[12:13], s[12:13]
	s_cbranch_execz .LBB9_23
; %bb.22:                               ;   in Loop: Header=BB9_12 Depth=1
	v_readlane_b32 s16, v163, 4
	s_nop 1
	v_mad_u64_u32 v[2:3], s[16:17], v2, s16, v[64:65]
	v_ashrrev_i32_e32 v3, 31, v2
	v_lshl_add_u64 v[2:3], v[2:3], 3, s[84:85]
	global_load_dwordx2 v[2:3], v[2:3], off
	s_waitcnt vmcnt(0)
	v_cvt_pk_f16_f32 v2, v2, v3
	v_pk_mul_f16 v2, v2, v111
	v_add_u32_e32 v3, v110, v115
	ds_write_b32 v3, v2 offset:1408
.LBB9_23:                               ;   in Loop: Header=BB9_12 Depth=1
	s_or_b64 exec, exec, s[12:13]
	s_mov_b64 s[16:17], exec
	v_readlane_b32 s12, v163, 13
	v_readlane_b32 s13, v163, 14
	s_and_b64 s[12:13], s[16:17], s[12:13]
	s_mov_b64 exec, s[12:13]
	s_cbranch_execz .LBB9_28
; %bb.24:                               ;   in Loop: Header=BB9_12 Depth=1
	v_or_b32_e32 v2, s59, v91
	v_or_b32_e32 v3, s71, v50
	v_cmp_le_i32_e32 vcc, s20, v2
	v_cmp_le_i32_e64 s[12:13], s3, v3
	s_or_b64 s[12:13], vcc, s[12:13]
	s_and_saveexec_b64 s[88:89], s[12:13]
	s_xor_b64 s[12:13], exec, s[88:89]
; %bb.25:                               ;   in Loop: Header=BB9_12 Depth=1
	ds_write_b32 v19, v23 offset:128
                                        ; implicit-def: $vgpr2
; %bb.26:                               ;   in Loop: Header=BB9_12 Depth=1
	s_andn2_saveexec_b64 s[12:13], s[12:13]
	s_cbranch_execz .LBB9_28
; %bb.27:                               ;   in Loop: Header=BB9_12 Depth=1
	v_readlane_b32 s12, v163, 4
	s_nop 1
	v_mad_u64_u32 v[2:3], s[12:13], v2, s12, v[52:53]
	v_ashrrev_i32_e32 v3, 31, v2
	v_lshl_add_u64 v[2:3], v[2:3], 3, s[84:85]
	global_load_dwordx2 v[2:3], v[2:3], off
	s_waitcnt vmcnt(0)
	v_cvt_pk_f16_f32 v2, v2, v3
	v_pk_mul_f16 v2, v2, v111
	ds_write_b32 v19, v2 offset:128
.LBB9_28:                               ;   in Loop: Header=BB9_12 Depth=1
	s_or_b64 exec, exec, s[16:17]
	s_waitcnt lgkmcnt(0)
	s_barrier
	ds_read2_b64 v[6:9], v25 offset1:4
	ds_read2_b64 v[2:5], v25 offset0:8 offset1:12
	ds_read_b64 v[10:11], v25 offset:128
	s_add_i32 s91, s33, -1
	s_cmp_ge_i32 s90, s91
	s_waitcnt lgkmcnt(0)
	s_barrier
	s_cbranch_scc1 .LBB9_38
; %bb.29:                               ;   in Loop: Header=BB9_12 Depth=1
	v_add_u32_e32 v12, s59, v17
	v_mul_hi_u32 v13, s28, v12
	v_and_b32_e32 v14, 64, v121
	v_add_u32_e32 v13, v12, v13
	v_add_u32_e32 v14, 64, v14
	v_xor_b32_e32 v15, 32, v121
	v_lshrrev_b32_e32 v13, s29, v13
	v_cmp_lt_i32_e32 vcc, v15, v14
	v_mul_lo_u32 v13, v13, s20
	v_readlane_b32 s12, v163, 27
	v_cndmask_b32_e32 v15, v121, v15, vcc
	v_sub_u32_e32 v12, v12, v13
	v_readlane_b32 s13, v163, 28
	v_lshlrev_b32_e32 v76, 2, v15
	v_xor_b32_e32 v15, 16, v121
	v_mad_i64_i32 v[12:13], s[12:13], v12, s12, 0
	v_cmp_lt_i32_e32 vcc, v15, v14
	v_lshl_add_u64 v[12:13], v[12:13], 1, s[82:83]
	v_lshlrev_b32_e32 v22, 1, v18
	v_cndmask_b32_e32 v14, v121, v15, vcc
	v_lshl_add_u64 v[12:13], v[12:13], 0, v[22:23]
	v_lshlrev_b32_e32 v123, 2, v14
	s_lshl_b32 s12, s90, 6
	v_mov_b32_e32 v81, 0
	v_mov_b32_e32 v125, 0xfeffffff
	;; [unrolled: 1-line block ×12, first 2 shown]
	s_ashr_i32 s13, s12, 31
	s_and_saveexec_b64 s[16:17], s[14:15]
	s_cbranch_execz .LBB9_31
.LBB9_30:                               ;   in Loop: Header=BB9_12 Depth=1
	v_lshl_add_u64 v[126:127], s[12:13], 1, v[12:13]
	global_load_dword v22, v[126:127], off
	s_waitcnt vmcnt(0)
	ds_write_b32 v27, v22 offset:11264
.LBB9_31:                               ;   Parent Loop BB9_12 Depth=1
                                        ; =>  This Inner Loop Header: Depth=2
	s_or_b64 exec, exec, s[16:17]
	s_mul_hi_i32 s17, s12, s22
	s_mul_i32 s16, s12, s22
	s_lshl_b64 s[16:17], s[16:17], 2
	s_add_u32 s16, s30, s16
	s_addc_u32 s17, s31, s17
	s_and_saveexec_b64 s[88:89], s[4:5]
	s_cbranch_execz .LBB9_33
; %bb.32:                               ;   in Loop: Header=BB9_31 Depth=2
	v_lshl_add_u64 v[126:127], v[34:35], 2, s[16:17]
	v_lshlrev_b32_e32 v22, 2, v26
	v_lshl_add_u64 v[126:127], v[126:127], 0, v[22:23]
	global_load_dwordx4 v[126:129], v[126:127], off offset:128
	s_waitcnt vmcnt(0)
	ds_write_b128 v67, v[126:129]
.LBB9_33:                               ;   in Loop: Header=BB9_31 Depth=2
	s_or_b64 exec, exec, s[88:89]
	v_lshl_add_u64 v[126:127], v[30:31], 2, s[16:17]
	v_lshlrev_b32_e32 v22, 2, v24
	v_lshl_add_u64 v[128:129], v[32:33], 2, s[16:17]
	v_lshl_add_u64 v[126:127], v[126:127], 0, v[22:23]
	v_lshl_add_u64 v[130:131], v[128:129], 0, v[22:23]
	global_load_dwordx4 v[126:129], v[126:127], off
	s_nop 0
	global_load_dwordx4 v[130:133], v[130:131], off
	v_add_u32_e32 v85, 0x2c00, v86
	s_mul_hi_i32 s17, s12, s18
	s_mul_i32 s16, s12, s18
	s_lshl_b64 s[16:17], s[16:17], 2
	s_add_u32 s16, s94, s16
	s_addc_u32 s17, s2, s17
	s_waitcnt vmcnt(1)
	ds_write_b128 v61, v[126:129]
	s_waitcnt vmcnt(0)
	ds_write_b128 v113, v[130:133]
	s_waitcnt lgkmcnt(0)
	s_barrier
	ds_read2_b64 v[126:129], v63 offset1:4
	ds_read2_b64 v[134:137], v63 offset0:8 offset1:12
	s_waitcnt lgkmcnt(1)
	v_mfma_f32_16x16x16_f16 v[130:133], v[126:127], v[6:7], 0
	ds_read_b64 v[138:139], v63 offset:128
	s_waitcnt lgkmcnt(0)
	s_barrier
	v_mfma_f32_16x16x16_f16 v[126:129], v[128:129], v[8:9], v[130:133]
	v_mfma_f32_16x16x16_f16 v[126:129], v[134:135], v[2:3], v[126:129]
	s_nop 2
	ds_read2_b32 v[130:131], v85 offset1:1
	s_waitcnt lgkmcnt(0)
	v_cvt_f32_f16_e32 v85, v130
	v_mfma_f32_16x16x16_f16 v[126:129], v[136:137], v[4:5], v[126:129]
	v_cvt_f32_f16_sdwa v134, v130 dst_sel:DWORD dst_unused:UNUSED_PAD src0_sel:WORD_1
	v_cvt_f32_f16_e32 v135, v131
	v_cvt_f32_f16_sdwa v136, v131 dst_sel:DWORD dst_unused:UNUSED_PAD src0_sel:WORD_1
	v_mfma_f32_16x16x16_f16 v[130:133], v[138:139], v[10:11], v[126:129]
	s_nop 7
	v_add_f32_e32 v129, v130, v85
	v_add_f32_e32 v128, v131, v134
	;; [unrolled: 1-line block ×8, first 2 shown]
	v_max3_f32 v85, v125, v85, v130
	v_max3_f32 v85, v85, v131, v132
	ds_bpermute_b32 v130, v76, v85
	s_waitcnt lgkmcnt(0)
	v_max_f32_e32 v130, v130, v130
	v_max_f32_e32 v85, v85, v130
	ds_bpermute_b32 v130, v123, v85
	s_and_saveexec_b64 s[88:89], s[4:5]
	s_cbranch_execz .LBB9_35
; %bb.34:                               ;   in Loop: Header=BB9_31 Depth=2
	v_lshl_add_u64 v[132:133], v[36:37], 2, s[16:17]
	v_lshlrev_b32_e32 v134, 2, v26
	v_mov_b32_e32 v135, v23
	v_lshl_add_u64 v[132:133], v[132:133], 0, v[134:135]
	global_load_dwordx4 v[132:135], v[132:133], off offset:128
	s_waitcnt vmcnt(0)
	ds_write_b128 v67, v[132:135]
.LBB9_35:                               ;   in Loop: Header=BB9_31 Depth=2
	s_or_b64 exec, exec, s[88:89]
	s_waitcnt lgkmcnt(0)
	v_max_f32_e32 v130, v130, v130
	v_max_f32_e32 v85, v85, v85
	;; [unrolled: 1-line block ×3, first 2 shown]
	v_lshl_add_u64 v[130:131], v[40:41], 2, s[16:17]
	v_lshl_add_u64 v[132:133], v[38:39], 2, s[16:17]
	;; [unrolled: 1-line block ×4, first 2 shown]
	global_load_dwordx4 v[130:133], v[130:131], off
	s_nop 0
	global_load_dwordx4 v[134:137], v[134:135], off
	v_sub_f32_e32 v129, v129, v85
	v_mul_f32_e32 v138, 0x3fb8aa3b, v129
	v_fma_f32 v139, v129, s67, -v138
	v_rndne_f32_e32 v22, v138
	v_fmac_f32_e32 v139, 0x32a5705f, v129
	v_sub_f32_e32 v138, v138, v22
	v_add_f32_e32 v138, v138, v139
	v_exp_f32_e32 v138, v138
	v_cvt_i32_f32_e32 v22, v22
	v_sub_f32_e32 v128, v128, v85
	v_cmp_ngt_f32_e32 vcc, s68, v129
	v_sub_f32_e32 v127, v127, v85
	v_ldexp_f32 v22, v138, v22
	v_mul_f32_e32 v138, 0x3fb8aa3b, v128
	v_fma_f32 v139, v128, s67, -v138
	v_rndne_f32_e32 v140, v138
	v_fmac_f32_e32 v139, 0x32a5705f, v128
	v_sub_f32_e32 v138, v138, v140
	v_add_f32_e32 v138, v138, v139
	v_exp_f32_e32 v138, v138
	v_cvt_i32_f32_e32 v139, v140
	v_cndmask_b32_e32 v22, 0, v22, vcc
	v_cmp_nlt_f32_e32 vcc, s69, v129
	v_sub_f32_e32 v126, v126, v85
	v_ldexp_f32 v129, v138, v139
	v_mul_f32_e32 v138, 0x3fb8aa3b, v127
	v_fma_f32 v139, v127, s67, -v138
	v_rndne_f32_e32 v140, v138
	v_fmac_f32_e32 v139, 0x32a5705f, v127
	v_sub_f32_e32 v138, v138, v140
	v_add_f32_e32 v138, v138, v139
	v_exp_f32_e32 v138, v138
	v_cvt_i32_f32_e32 v139, v140
	v_cndmask_b32_e32 v22, v122, v22, vcc
	v_cmp_ngt_f32_e32 vcc, s68, v128
	v_sub_f32_e32 v125, v125, v85
	s_add_i32 s90, s90, 1
	v_cndmask_b32_e32 v129, 0, v129, vcc
	v_cmp_nlt_f32_e32 vcc, s69, v128
	v_ldexp_f32 v128, v138, v139
	s_add_i32 s12, s12, 64
	v_cndmask_b32_e32 v140, v122, v129, vcc
	v_mul_f32_e32 v129, 0x3fb8aa3b, v126
	v_fma_f32 v138, v126, s67, -v129
	v_rndne_f32_e32 v139, v129
	v_fmac_f32_e32 v138, 0x32a5705f, v126
	v_sub_f32_e32 v129, v129, v139
	v_add_f32_e32 v129, v129, v138
	v_cvt_i32_f32_e32 v138, v139
	v_mul_f32_e32 v139, 0x3fb8aa3b, v125
	v_fma_f32 v141, v125, s67, -v139
	v_rndne_f32_e32 v142, v139
	v_fmac_f32_e32 v141, 0x32a5705f, v125
	v_sub_f32_e32 v139, v139, v142
	v_add_f32_e32 v139, v139, v141
	v_exp_f32_e32 v139, v139
	v_cvt_i32_f32_e32 v141, v142
	v_cmp_ngt_f32_e32 vcc, s68, v127
	v_exp_f32_e32 v129, v129
	v_cvt_pk_f16_f32 v142, v22, v140
	v_cndmask_b32_e32 v128, 0, v128, vcc
	v_cmp_nlt_f32_e32 vcc, s69, v127
	v_ldexp_f32 v127, v129, v138
	v_add_f32_e32 v22, v22, v140
	v_cndmask_b32_e32 v144, v122, v128, vcc
	v_ldexp_f32 v128, v139, v141
	v_cmp_ngt_f32_e32 vcc, s68, v125
	v_add_f32_e32 v22, v144, v22
	s_cmp_lt_i32 s90, s91
	v_cndmask_b32_e32 v128, 0, v128, vcc
	v_cmp_nlt_f32_e32 vcc, s69, v125
	s_waitcnt vmcnt(1)
	ds_write_b128 v61, v[130:133]
	s_waitcnt vmcnt(0)
	ds_write_b128 v113, v[134:137]
	v_cndmask_b32_e32 v128, v122, v128, vcc
	v_cmp_le_f32_e32 vcc, s26, v125
	s_waitcnt lgkmcnt(0)
	s_barrier
	v_cndmask_b32_e32 v145, 0, v128, vcc
	v_cvt_f16_f32_e32 v125, v145
	v_cmp_ngt_f32_e32 vcc, s68, v126
	v_mul_u32_u24_e32 v125, 0x10001, v125
	v_pk_mul_f16 v129, v83, v125
	v_pk_mul_f16 v138, v82, v125
	ds_read_u16 v82, v88
	ds_read_u16 v130, v88 offset:32
	ds_read_u16 v83, v89
	ds_read_u16 v134, v88 offset:64
	ds_read_u16 v136, v88 offset:96
	;; [unrolled: 1-line block ×4, first 2 shown]
	v_cndmask_b32_e32 v127, 0, v127, vcc
	v_cmp_nlt_f32_e32 vcc, s69, v126
	v_pk_mul_f16 v84, v84, v125
	s_waitcnt lgkmcnt(4)
	v_perm_b32 v83, v83, v82, s57
	ds_read_u16 v82, v87 offset:176
	ds_read_u16 v126, v87
	ds_read_u16 v131, v87 offset:32
	ds_read_u16 v132, v87 offset:208
	;; [unrolled: 1-line block ×6, first 2 shown]
	v_cndmask_b32_e32 v146, v122, v127, vcc
	s_waitcnt lgkmcnt(6)
	v_perm_b32 v82, v82, v126, s57
	v_cvt_f32_f16_e32 v126, v84
	v_cvt_f32_f16_sdwa v127, v84 dst_sel:DWORD dst_unused:UNUSED_PAD src0_sel:WORD_1
	ds_read_u16 v84, v89 offset:32
	v_cvt_f32_f16_e32 v128, v129
	v_cvt_f32_f16_sdwa v129, v129 dst_sel:DWORD dst_unused:UNUSED_PAD src0_sel:WORD_1
	v_cvt_pk_f16_f32 v143, v144, v146
	v_pk_mul_f16 v81, v81, v125
	v_cvt_f32_f16_sdwa v133, v138 dst_sel:DWORD dst_unused:UNUSED_PAD src0_sel:WORD_1
	v_mfma_f32_16x16x16_f16 v[126:129], v[82:83], v[142:143], v[126:129]
	s_waitcnt lgkmcnt(0)
	v_perm_b32 v83, v84, v130, s57
	v_perm_b32 v82, v132, v131, s57
	v_cvt_f32_f16_e32 v130, v81
	v_cvt_f32_f16_sdwa v131, v81 dst_sel:DWORD dst_unused:UNUSED_PAD src0_sel:WORD_1
	v_cvt_f32_f16_e32 v132, v138
	ds_read_u16 v135, v89 offset:64
	ds_read_u16 v150, v89 offset:96
	;; [unrolled: 1-line block ×3, first 2 shown]
	v_pk_mul_f16 v84, v80, v125
	v_pk_mul_f16 v79, v79, v125
	v_mfma_f32_16x16x16_f16 v[80:83], v[82:83], v[142:143], v[130:133]
	s_waitcnt lgkmcnt(2)
	v_perm_b32 v135, v135, v134, s57
	v_perm_b32 v134, v147, v137, s57
	v_pk_mul_f16 v137, v78, v125
	v_cvt_f32_f16_e32 v130, v84
	v_cvt_f32_f16_sdwa v131, v84 dst_sel:DWORD dst_unused:UNUSED_PAD src0_sel:WORD_1
	ds_read_u16 v84, v87 offset:272
	v_cvt_f32_f16_e32 v132, v79
	v_cvt_f32_f16_sdwa v133, v79 dst_sel:DWORD dst_unused:UNUSED_PAD src0_sel:WORD_1
	v_pk_mul_f16 v77, v77, v125
	s_waitcnt lgkmcnt(2)
	v_perm_b32 v79, v150, v136, s57
	v_mfma_f32_16x16x16_f16 v[130:133], v[134:135], v[142:143], v[130:133]
	s_waitcnt lgkmcnt(0)
	v_perm_b32 v78, v84, v148, s57
	v_cvt_f32_f16_e32 v134, v137
	v_cvt_f32_f16_sdwa v135, v137 dst_sel:DWORD dst_unused:UNUSED_PAD src0_sel:WORD_1
	v_cvt_f32_f16_e32 v136, v77
	v_cvt_f32_f16_sdwa v137, v77 dst_sel:DWORD dst_unused:UNUSED_PAD src0_sel:WORD_1
	v_pk_mul_f16 v77, v14, v125
	v_pk_mul_f16 v84, v15, v125
	v_perm_b32 v15, v151, v139, s57
	v_perm_b32 v14, v141, v149, s57
	v_cvt_f32_f16_e32 v138, v77
	v_cvt_f32_f16_sdwa v139, v77 dst_sel:DWORD dst_unused:UNUSED_PAD src0_sel:WORD_1
	v_cvt_f32_f16_e32 v140, v84
	v_cvt_f32_f16_sdwa v141, v84 dst_sel:DWORD dst_unused:UNUSED_PAD src0_sel:WORD_1
	v_mfma_f32_16x16x16_f16 v[134:137], v[78:79], v[142:143], v[134:137]
	v_add_f32_e32 v125, v146, v22
	v_fmac_f32_e32 v125, v124, v145
	v_cvt_pk_f16_f32 v81, v80, v81
	v_mfma_f32_16x16x16_f16 v[138:141], v[14:15], v[142:143], v[138:141]
	v_cvt_pk_f16_f32 v82, v82, v83
	v_cvt_pk_f16_f32 v84, v126, v127
	;; [unrolled: 1-line block ×7, first 2 shown]
	s_nop 0
	v_cvt_pk_f16_f32 v14, v138, v139
	v_cvt_pk_f16_f32 v15, v140, v141
	s_barrier
	s_cbranch_scc0 .LBB9_39
; %bb.36:                               ;   in Loop: Header=BB9_31 Depth=2
	v_mov_b32_e32 v124, v125
	v_mov_b32_e32 v125, v85
	s_ashr_i32 s13, s12, 31
	s_and_saveexec_b64 s[16:17], s[14:15]
	s_cbranch_execnz .LBB9_30
	s_branch .LBB9_31
.LBB9_37:                               ;   in Loop: Header=BB9_12 Depth=1
	s_cbranch_execz .LBB9_11
	s_branch .LBB9_101
.LBB9_38:                               ;   in Loop: Header=BB9_12 Depth=1
	v_mov_b32_e32 v85, 0xfeffffff
	v_mov_b32_e32 v125, 0
	;; [unrolled: 1-line block ×12, first 2 shown]
.LBB9_39:                               ;   in Loop: Header=BB9_12 Depth=1
	s_lshl_b32 s12, s90, 6
	s_ashr_i32 s13, s12, 31
	s_and_saveexec_b64 s[16:17], s[14:15]
	s_cbranch_execz .LBB9_41
; %bb.40:                               ;   in Loop: Header=BB9_12 Depth=1
	v_or_b32_e32 v12, s59, v17
	v_mul_hi_u32 v13, s28, v12
	v_add_u32_e32 v13, v12, v13
	v_lshrrev_b32_e32 v13, s29, v13
	s_lshl_b64 s[88:89], s[12:13], 1
	v_mul_lo_u32 v13, v13, s20
	v_readlane_b32 s90, v163, 27
	s_add_u32 s88, s82, s88
	v_sub_u32_e32 v12, v12, v13
	v_readlane_b32 s91, v163, 28
	s_addc_u32 s89, s83, s89
	v_mad_i64_i32 v[12:13], s[90:91], v12, s90, 0
	v_lshl_add_u64 v[12:13], v[12:13], 1, s[88:89]
	v_lshlrev_b32_e32 v22, 1, v18
	v_lshl_add_u64 v[12:13], v[12:13], 0, v[22:23]
	global_load_dword v12, v[12:13], off
	s_waitcnt vmcnt(0)
	ds_write_b32 v27, v12 offset:11264
.LBB9_41:                               ;   in Loop: Header=BB9_12 Depth=1
	s_or_b64 exec, exec, s[16:17]
	s_mul_hi_i32 s17, s12, s22
	s_mul_i32 s16, s12, s22
	s_lshl_b64 s[16:17], s[16:17], 2
	s_add_u32 s16, s30, s16
	s_addc_u32 s17, s31, s17
	s_and_saveexec_b64 s[88:89], s[4:5]
	s_cbranch_execz .LBB9_43
; %bb.42:                               ;   in Loop: Header=BB9_12 Depth=1
	v_lshl_add_u64 v[12:13], v[34:35], 2, s[16:17]
	v_lshlrev_b32_e32 v22, 2, v26
	v_lshl_add_u64 v[12:13], v[12:13], 0, v[22:23]
	global_load_dwordx4 v[126:129], v[12:13], off offset:128
	s_waitcnt vmcnt(0)
	ds_write_b128 v67, v[126:129]
.LBB9_43:                               ;   in Loop: Header=BB9_12 Depth=1
	s_or_b64 exec, exec, s[88:89]
	v_lshl_add_u64 v[12:13], v[30:31], 2, s[16:17]
	v_lshlrev_b32_e32 v22, 2, v24
	v_lshl_add_u64 v[126:127], v[32:33], 2, s[16:17]
	v_lshl_add_u64 v[12:13], v[12:13], 0, v[22:23]
	;; [unrolled: 1-line block ×3, first 2 shown]
	global_load_dwordx4 v[126:129], v[12:13], off
	s_nop 0
	global_load_dwordx4 v[130:133], v[130:131], off
	v_and_b32_e32 v12, 64, v121
	v_add_u32_e32 v124, 64, v12
	v_xor_b32_e32 v123, 32, v121
	v_add_u32_e32 v76, 0x2c00, v86
	v_cmp_lt_i32_e32 vcc, v123, v124
	s_mul_hi_i32 s13, s12, s18
	s_mul_i32 s12, s12, s18
	s_lshl_b64 s[12:13], s[12:13], 2
	s_add_u32 s12, s94, s12
	s_addc_u32 s13, s2, s13
	s_waitcnt vmcnt(1)
	ds_write_b128 v61, v[126:129]
	s_waitcnt vmcnt(0)
	ds_write_b128 v113, v[130:133]
	s_waitcnt lgkmcnt(0)
	s_barrier
	ds_read2_b64 v[126:129], v63 offset1:4
	ds_read2_b64 v[130:133], v63 offset0:8 offset1:12
	s_waitcnt lgkmcnt(1)
	v_mfma_f32_16x16x16_f16 v[134:137], v[126:127], v[6:7], 0
	ds_read_b64 v[12:13], v63 offset:128
	s_waitcnt lgkmcnt(0)
	s_barrier
	v_mfma_f32_16x16x16_f16 v[6:9], v[128:129], v[8:9], v[134:137]
	ds_read2_b32 v[126:127], v76 offset1:1
	s_waitcnt lgkmcnt(0)
	v_cvt_f32_f16_e32 v76, v126
	v_mfma_f32_16x16x16_f16 v[6:9], v[130:131], v[2:3], v[6:9]
	v_cndmask_b32_e32 v2, v121, v123, vcc
	v_lshlrev_b32_e32 v123, 2, v2
	v_cvt_f32_f16_sdwa v126, v126 dst_sel:DWORD dst_unused:UNUSED_PAD src0_sel:WORD_1
	v_mfma_f32_16x16x16_f16 v[2:5], v[132:133], v[4:5], v[6:9]
	v_cvt_f32_f16_e32 v128, v127
	v_cvt_f32_f16_sdwa v127, v127 dst_sel:DWORD dst_unused:UNUSED_PAD src0_sel:WORD_1
	v_mfma_f32_16x16x16_f16 v[6:9], v[12:13], v[10:11], v[2:5]
	s_nop 7
	v_add_f32_e32 v5, v6, v76
	v_add_f32_e32 v4, v7, v126
	;; [unrolled: 1-line block ×8, first 2 shown]
	v_max3_f32 v6, v85, v6, v7
	v_max3_f32 v6, v6, v8, v9
	ds_bpermute_b32 v7, v123, v6
	v_xor_b32_e32 v8, 16, v121
	v_cmp_lt_i32_e32 vcc, v8, v124
	s_waitcnt lgkmcnt(0)
	v_max_f32_e32 v7, v7, v7
	v_cndmask_b32_e32 v8, v121, v8, vcc
	v_lshlrev_b32_e32 v124, 2, v8
	v_max_f32_e32 v6, v6, v7
	ds_bpermute_b32 v7, v124, v6
	s_and_saveexec_b64 s[16:17], s[4:5]
	s_cbranch_execz .LBB9_45
; %bb.44:                               ;   in Loop: Header=BB9_12 Depth=1
	v_lshl_add_u64 v[8:9], v[36:37], 2, s[12:13]
	v_lshlrev_b32_e32 v10, 2, v26
	v_mov_b32_e32 v11, v23
	v_lshl_add_u64 v[8:9], v[8:9], 0, v[10:11]
	global_load_dwordx4 v[8:11], v[8:9], off offset:128
	s_waitcnt vmcnt(0)
	ds_write_b128 v67, v[8:11]
.LBB9_45:                               ;   in Loop: Header=BB9_12 Depth=1
	s_or_b64 exec, exec, s[16:17]
	s_waitcnt lgkmcnt(0)
	v_max_f32_e32 v7, v7, v7
	v_max_f32_e32 v6, v6, v6
	;; [unrolled: 1-line block ×3, first 2 shown]
	v_sub_f32_e32 v5, v5, v76
	v_mul_f32_e32 v6, 0x3fb8aa3b, v5
	v_fma_f32 v7, v5, s67, -v6
	v_rndne_f32_e32 v8, v6
	v_fmac_f32_e32 v7, 0x32a5705f, v5
	v_sub_f32_e32 v6, v6, v8
	v_add_f32_e32 v6, v6, v7
	v_exp_f32_e32 v6, v6
	v_cvt_i32_f32_e32 v7, v8
	v_lshl_add_u64 v[8:9], v[38:39], 2, s[12:13]
	v_lshl_add_u64 v[10:11], v[8:9], 0, v[22:23]
	v_sub_f32_e32 v4, v4, v76
	v_ldexp_f32 v126, v6, v7
	v_lshl_add_u64 v[6:7], v[40:41], 2, s[12:13]
	v_lshl_add_u64 v[6:7], v[6:7], 0, v[22:23]
	global_load_dwordx4 v[6:9], v[6:7], off
	s_nop 0
	global_load_dwordx4 v[10:13], v[10:11], off
	v_mul_f32_e32 v22, 0x3fb8aa3b, v4
	v_fma_f32 v127, v4, s67, -v22
	v_rndne_f32_e32 v128, v22
	v_fmac_f32_e32 v127, 0x32a5705f, v4
	v_sub_f32_e32 v22, v22, v128
	v_add_f32_e32 v22, v22, v127
	v_exp_f32_e32 v22, v22
	v_cvt_i32_f32_e32 v127, v128
	v_cmp_ngt_f32_e32 vcc, s68, v5
	v_sub_f32_e32 v3, v3, v76
	v_sub_f32_e32 v2, v2, v76
	v_cndmask_b32_e32 v126, 0, v126, vcc
	v_cmp_nlt_f32_e32 vcc, s69, v5
	v_ldexp_f32 v5, v22, v127
	v_mul_f32_e32 v22, 0x3fb8aa3b, v3
	v_fma_f32 v127, v3, s67, -v22
	v_rndne_f32_e32 v128, v22
	v_fmac_f32_e32 v127, 0x32a5705f, v3
	v_sub_f32_e32 v22, v22, v128
	v_add_f32_e32 v22, v22, v127
	v_exp_f32_e32 v22, v22
	v_cvt_i32_f32_e32 v127, v128
	v_cndmask_b32_e32 v126, v122, v126, vcc
	v_cmp_ngt_f32_e32 vcc, s68, v4
	v_sub_f32_e32 v85, v85, v76
	s_cmp_lg_u64 s[80:81], 0
	v_cndmask_b32_e32 v5, 0, v5, vcc
	v_cmp_nlt_f32_e32 vcc, s69, v4
	s_cselect_b64 s[12:13], -1, 0
	s_and_b64 s[16:17], s[6:7], s[12:13]
	v_cndmask_b32_e32 v128, v122, v5, vcc
	v_ldexp_f32 v5, v22, v127
	v_cmp_ngt_f32_e32 vcc, s68, v3
	v_add_f32_e32 v4, v126, v128
	s_waitcnt vmcnt(1)
	ds_write_b128 v61, v[6:9]
	s_waitcnt vmcnt(0)
	ds_write_b128 v113, v[10:13]
	v_cndmask_b32_e32 v5, 0, v5, vcc
	v_cmp_nlt_f32_e32 vcc, s69, v3
	s_waitcnt lgkmcnt(0)
	s_barrier
	v_cndmask_b32_e32 v22, v122, v5, vcc
	v_add_f32_e32 v3, v22, v4
	v_mul_f32_e32 v4, 0x3fb8aa3b, v2
	v_fma_f32 v5, v2, s67, -v4
	v_rndne_f32_e32 v127, v4
	v_fmac_f32_e32 v5, 0x32a5705f, v2
	v_sub_f32_e32 v4, v4, v127
	v_add_f32_e32 v4, v4, v5
	v_cvt_i32_f32_e32 v5, v127
	v_mul_f32_e32 v127, 0x3fb8aa3b, v85
	v_fma_f32 v129, v85, s67, -v127
	v_rndne_f32_e32 v130, v127
	v_fmac_f32_e32 v129, 0x32a5705f, v85
	v_sub_f32_e32 v127, v127, v130
	v_exp_f32_e32 v4, v4
	v_add_f32_e32 v127, v127, v129
	v_exp_f32_e32 v127, v127
	v_cvt_i32_f32_e32 v129, v130
	v_ldexp_f32 v4, v4, v5
	v_cmp_ngt_f32_e32 vcc, s68, v2
	v_ldexp_f32 v5, v127, v129
	s_nop 0
	v_cndmask_b32_e32 v4, 0, v4, vcc
	v_cmp_ngt_f32_e32 vcc, s68, v85
	s_nop 1
	v_cndmask_b32_e32 v5, 0, v5, vcc
	v_cmp_nlt_f32_e32 vcc, s69, v85
	s_nop 1
	v_cndmask_b32_e32 v5, v122, v5, vcc
	v_cmp_le_f32_e32 vcc, s26, v85
	s_nop 1
	v_cndmask_b32_e32 v5, 0, v5, vcc
	v_cvt_f16_f32_e32 v85, v5
	v_cmp_nlt_f32_e32 vcc, s69, v2
	v_mul_u32_u24_e32 v2, 0x10001, v85
	s_nop 0
	v_cndmask_b32_e32 v127, v122, v4, vcc
	v_add_f32_e32 v129, v127, v3
	v_fmac_f32_e32 v129, v125, v5
	v_pk_mul_f16 v3, v84, v2
	v_pk_mul_f16 v5, v83, v2
	;; [unrolled: 1-line block ×10, first 2 shown]
	ds_read_u16 v2, v88
	ds_read_u16 v12, v88 offset:32
	ds_read_u16 v4, v89
	ds_read_u16 v14, v88 offset:64
	ds_read_u16 v131, v87 offset:272
	;; [unrolled: 1-line block ×5, first 2 shown]
	s_waitcnt lgkmcnt(5)
	v_perm_b32 v7, v4, v2, s57
	ds_read_u16 v2, v87 offset:176
	ds_read_u16 v4, v87
	ds_read_u16 v13, v87 offset:32
	ds_read_u16 v15, v87 offset:208
	ds_read_u16 v78, v87 offset:64
	ds_read_u16 v135, v87 offset:240
	ds_read_u16 v136, v87 offset:96
	ds_read_u16 v137, v87 offset:128
	s_waitcnt lgkmcnt(6)
	v_perm_b32 v6, v2, v4, s57
	v_cvt_f32_f16_e32 v2, v3
	v_cvt_f32_f16_sdwa v3, v3 dst_sel:DWORD dst_unused:UNUSED_PAD src0_sel:WORD_1
	v_cvt_f32_f16_e32 v4, v5
	v_cvt_f32_f16_sdwa v5, v5 dst_sel:DWORD dst_unused:UNUSED_PAD src0_sel:WORD_1
	v_cvt_pk_f16_f32 v81, v22, v127
	ds_read_u16 v22, v89 offset:32
	v_cvt_pk_f16_f32 v80, v126, v128
	ds_read_u16 v126, v89 offset:64
	ds_read_u16 v127, v89 offset:96
	ds_read_u16 v128, v89 offset:128
	v_mfma_f32_16x16x16_f16 v[8:11], v[6:7], v[80:81], v[2:5]
	s_waitcnt lgkmcnt(8)
	v_perm_b32 v6, v15, v13, s57
	s_waitcnt lgkmcnt(3)
	v_perm_b32 v7, v22, v12, s57
	s_waitcnt lgkmcnt(0)
	v_cvt_f32_f16_e32 v2, v83
	v_cvt_f32_f16_sdwa v3, v83 dst_sel:DWORD dst_unused:UNUSED_PAD src0_sel:WORD_1
	s_nop 0
	v_cvt_f16_f32_e32 v10, v10
	v_cvt_f16_f32_e32 v11, v11
	v_cvt_f32_f16_e32 v4, v82
	v_cvt_f32_f16_sdwa v5, v82 dst_sel:DWORD dst_unused:UNUSED_PAD src0_sel:WORD_1
	v_perm_b32 v83, v128, v133, s57
	v_perm_b32 v22, v11, v10, s57
	v_mfma_f32_16x16x16_f16 v[10:13], v[6:7], v[80:81], v[2:5]
	v_perm_b32 v7, v126, v14, s57
	v_perm_b32 v6, v135, v78, s57
	s_nop 0
	v_cvt_f32_f16_e32 v2, v84
	v_cvt_f32_f16_sdwa v3, v84 dst_sel:DWORD dst_unused:UNUSED_PAD src0_sel:WORD_1
	s_nop 2
	v_cvt_f16_f32_e32 v12, v12
	v_cvt_f16_f32_e32 v13, v13
	v_cvt_f32_f16_e32 v4, v79
	v_cvt_f32_f16_sdwa v5, v79 dst_sel:DWORD dst_unused:UNUSED_PAD src0_sel:WORD_1
	v_perm_b32 v82, v134, v137, s57
	v_perm_b32 v78, v13, v12, s57
	v_mfma_f32_16x16x16_f16 v[12:15], v[6:7], v[80:81], v[2:5]
	v_perm_b32 v7, v127, v132, s57
	v_perm_b32 v6, v131, v136, s57
	s_nop 0
	v_cvt_f32_f16_e32 v2, v85
	v_cvt_f32_f16_sdwa v3, v85 dst_sel:DWORD dst_unused:UNUSED_PAD src0_sel:WORD_1
	v_cvt_f32_f16_e32 v4, v77
	v_cvt_f32_f16_sdwa v5, v77 dst_sel:DWORD dst_unused:UNUSED_PAD src0_sel:WORD_1
	s_nop 0
	v_cvt_f16_f32_e32 v14, v14
	v_cvt_f16_f32_e32 v15, v15
	v_mfma_f32_16x16x16_f16 v[2:5], v[6:7], v[80:81], v[2:5]
	v_cvt_f32_f16_e32 v6, v130
	v_perm_b32 v14, v15, v14, s57
	v_cvt_f32_f16_sdwa v7, v130 dst_sel:DWORD dst_unused:UNUSED_PAD src0_sel:WORD_1
	v_cvt_f16_f32_e32 v138, v8
	s_nop 3
	v_cvt_f16_f32_e32 v15, v4
	v_cvt_f16_f32_e32 v77, v5
	v_cvt_f32_f16_e32 v4, v125
	v_cvt_f32_f16_sdwa v5, v125 dst_sel:DWORD dst_unused:UNUSED_PAD src0_sel:WORD_1
	v_cvt_f16_f32_e32 v139, v9
	v_perm_b32 v15, v77, v15, s57
	ds_bpermute_b32 v77, v123, v129
	v_mfma_f32_16x16x16_f16 v[4:7], v[82:83], v[80:81], v[4:7]
	v_cvt_f16_f32_e32 v79, v10
	v_cvt_f16_f32_e32 v84, v11
	;; [unrolled: 1-line block ×3, first 2 shown]
	s_waitcnt lgkmcnt(0)
	v_add_f32_e32 v77, v129, v77
	ds_bpermute_b32 v80, v124, v77
	v_cvt_f16_f32_e32 v126, v13
	v_cvt_f16_f32_e32 v125, v2
	;; [unrolled: 1-line block ×7, first 2 shown]
	s_waitcnt lgkmcnt(0)
	v_add_f32_e32 v77, v77, v80
	v_perm_b32 v80, v126, v85, s57
	v_perm_b32 v6, v7, v6, s57
	;; [unrolled: 1-line block ×6, first 2 shown]
	s_barrier
	s_and_saveexec_b64 s[12:13], s[16:17]
	s_cbranch_execz .LBB9_47
; %bb.46:                               ;   in Loop: Header=BB9_12 Depth=1
	v_lshlrev_b32_e32 v7, 2, v66
	global_load_dword v7, v7, s[80:81]
	v_cvt_pk_f16_f32 v79, v8, v9
	v_max_f32_e32 v8, v76, v76
	v_cvt_pk_f16_f32 v10, v10, v11
	v_cvt_pk_f16_f32 v11, v12, v13
	;; [unrolled: 1-line block ×4, first 2 shown]
	s_waitcnt vmcnt(0)
	v_max_f32_e32 v9, v7, v7
	v_max_f32_e32 v8, v8, v9
	v_sub_f32_e32 v9, v76, v8
	v_sub_f32_e32 v7, v7, v8
	v_mul_f32_e32 v12, 0x3fb8aa3b, v9
	v_mul_f32_e32 v13, 0x3fb8aa3b, v7
	v_fma_f32 v76, v9, s67, -v12
	v_rndne_f32_e32 v80, v12
	v_fma_f32 v81, v7, s67, -v13
	v_rndne_f32_e32 v82, v13
	v_fmac_f32_e32 v76, 0x32a5705f, v9
	v_sub_f32_e32 v12, v12, v80
	v_fmac_f32_e32 v81, 0x32a5705f, v7
	v_sub_f32_e32 v13, v13, v82
	v_add_f32_e32 v12, v12, v76
	v_cvt_i32_f32_e32 v80, v80
	v_add_f32_e32 v13, v13, v81
	v_exp_f32_e32 v12, v12
	v_cvt_i32_f32_e32 v82, v82
	v_exp_f32_e32 v13, v13
	v_cmp_ngt_f32_e32 vcc, s68, v9
	v_ldexp_f32 v4, v12, v80
	v_ldexp_f32 v5, v13, v82
	v_cndmask_b32_e32 v4, 0, v4, vcc
	v_cmp_ngt_f32_e32 vcc, s68, v7
	s_nop 1
	v_cndmask_b32_e32 v5, 0, v5, vcc
	v_cmp_nlt_f32_e32 vcc, s69, v9
	s_nop 1
	v_cndmask_b32_e32 v4, v122, v4, vcc
	v_cmp_le_f32_e32 vcc, s26, v9
	s_nop 1
	v_cndmask_b32_e32 v4, 0, v4, vcc
	v_cvt_f16_f32_e32 v12, v4
	v_cmp_nlt_f32_e32 vcc, s69, v7
	s_nop 1
	v_cndmask_b32_e32 v9, v122, v5, vcc
	v_fmac_f32_e32 v9, v77, v4
	v_mul_u32_u24_e32 v4, 0x10001, v12
	v_pk_mul_f16 v79, v79, v4
	v_pk_mul_f16 v22, v22, v4
	;; [unrolled: 1-line block ×10, first 2 shown]
	v_mov_b64_e32 v[76:77], v[8:9]
.LBB9_47:                               ;   in Loop: Header=BB9_12 Depth=1
	s_or_b64 exec, exec, s[12:13]
	s_and_saveexec_b64 s[12:13], s[10:11]
; %bb.48:                               ;   in Loop: Header=BB9_12 Depth=1
	v_add_u32_e32 v2, 0, v92
	ds_write2_b32 v2, v76, v77 offset0:40 offset1:41
; %bb.49:                               ;   in Loop: Header=BB9_12 Depth=1
	s_or_b64 exec, exec, s[12:13]
	s_waitcnt lgkmcnt(0)
	s_barrier
	s_mov_b64 s[12:13], exec
	v_readlane_b32 s16, v163, 15
	v_readlane_b32 s17, v163, 16
	s_and_b64 s[16:17], s[12:13], s[16:17]
	s_xor_b64 s[12:13], s[16:17], s[12:13]
	s_mov_b64 exec, s[16:17]
	s_cbranch_execz .LBB9_51
; %bb.50:                               ;   in Loop: Header=BB9_12 Depth=1
	s_barrier
                                        ; implicit-def: $vgpr123
                                        ; implicit-def: $vgpr124
.LBB9_51:                               ;   in Loop: Header=BB9_12 Depth=1
	s_andn2_saveexec_b64 s[12:13], s[12:13]
	s_cbranch_execz .LBB9_55
; %bb.52:                               ;   in Loop: Header=BB9_12 Depth=1
	v_add_u32_e32 v3, 0, v92
	ds_read_b64 v[4:5], v3 offset:160
	s_waitcnt lgkmcnt(0)
	s_barrier
	ds_bpermute_b32 v2, v123, v4
	v_max_f32_e32 v8, v4, v4
	s_waitcnt lgkmcnt(0)
	v_max_f32_e32 v2, v2, v2
	v_max_f32_e32 v2, v8, v2
	ds_bpermute_b32 v8, v124, v2
	s_waitcnt lgkmcnt(0)
	v_max_f32_e32 v8, v8, v8
	v_max_f32_e32 v2, v2, v8
	v_sub_f32_e32 v4, v4, v2
	v_mul_f32_e32 v8, 0x3fb8aa3b, v4
	v_fma_f32 v9, v4, s67, -v8
	v_rndne_f32_e32 v10, v8
	v_fmac_f32_e32 v9, 0x32a5705f, v4
	v_sub_f32_e32 v8, v8, v10
	v_add_f32_e32 v8, v8, v9
	v_cvt_i32_f32_e32 v10, v10
	v_exp_f32_e32 v8, v8
	v_cmp_ngt_f32_e32 vcc, s68, v4
	v_ldexp_f32 v8, v8, v10
	s_nop 0
	v_cndmask_b32_e32 v8, 0, v8, vcc
	v_cmp_nlt_f32_e32 vcc, s69, v4
	s_nop 1
	v_cndmask_b32_e32 v4, v122, v8, vcc
	v_mul_f32_e32 v8, v5, v4
	ds_bpermute_b32 v8, v123, v8
	s_waitcnt lgkmcnt(0)
	v_fmac_f32_e32 v8, v5, v4
	ds_bpermute_b32 v5, v124, v8
	s_waitcnt lgkmcnt(0)
	v_add_f32_e32 v5, v8, v5
	ds_write_b64 v3, v[4:5] offset:160
	s_and_saveexec_b64 s[16:17], s[10:11]
	s_cbranch_execz .LBB9_54
; %bb.53:                               ;   in Loop: Header=BB9_12 Depth=1
	v_mov_b32_e32 v3, v5
	global_store_dwordx2 v[28:29], v[2:3], off
.LBB9_54:                               ;   in Loop: Header=BB9_12 Depth=1
	s_or_b64 exec, exec, s[16:17]
.LBB9_55:                               ;   in Loop: Header=BB9_12 Depth=1
	s_or_b64 exec, exec, s[12:13]
	ds_write2_b32 v90, v79, v22 offset1:1
	ds_write2_b32 v90, v7, v78 offset0:8 offset1:9
	ds_write2_b32 v90, v80, v14 offset0:16 offset1:17
	;; [unrolled: 1-line block ×4, first 2 shown]
	s_waitcnt lgkmcnt(0)
	s_barrier
	s_and_saveexec_b64 s[88:89], s[6:7]
	s_cbranch_execz .LBB9_100
; %bb.56:                               ;   in Loop: Header=BB9_12 Depth=1
	v_add_u32_e32 v3, s59, v116
	v_or_b32_e32 v2, s71, v54
	v_cmp_gt_i32_e64 s[12:13], s20, v3
	v_cmp_gt_i32_e32 vcc, s3, v2
	s_and_b64 s[16:17], s[12:13], vcc
	v_mov_b32_e32 v2, 0x47
	s_and_saveexec_b64 s[12:13], s[16:17]
	s_cbranch_execz .LBB9_58
; %bb.57:                               ;   in Loop: Header=BB9_12 Depth=1
	v_mad_u64_u32 v[2:3], s[16:17], v3, s21, v[54:55]
	v_add_u32_e32 v10, v110, v95
	v_add_u32_e32 v3, 0, v95
	ds_read2st64_b32 v[4:5], v10 offset1:11
	v_add_u32_e32 v3, 0xa0, v3
	ds_read2st64_b32 v[6:7], v3 offset1:11
	ds_read2st64_b32 v[8:9], v3 offset0:22 offset1:33
	ds_read2st64_b32 v[10:11], v10 offset0:22 offset1:33
	v_mad_u64_u32 v[2:3], s[16:17], v2, 40, v[20:21]
	s_waitcnt lgkmcnt(3)
	v_cvt_f32_f16_e32 v12, v4
	v_cvt_f32_f16_sdwa v13, v4 dst_sel:DWORD dst_unused:UNUSED_PAD src0_sel:WORD_1
	v_cvt_f32_f16_e32 v4, v5
	v_cvt_f32_f16_sdwa v5, v5 dst_sel:DWORD dst_unused:UNUSED_PAD src0_sel:WORD_1
	s_waitcnt lgkmcnt(0)
	v_cvt_f32_f16_e32 v14, v10
	v_cvt_f32_f16_sdwa v15, v10 dst_sel:DWORD dst_unused:UNUSED_PAD src0_sel:WORD_1
	v_cvt_f32_f16_e32 v10, v11
	v_cvt_f32_f16_sdwa v11, v11 dst_sel:DWORD dst_unused:UNUSED_PAD src0_sel:WORD_1
	v_pk_fma_f32 v[12:13], v[6:7], v[12:13], 0 op_sel_hi:[0,1,0]
	v_mov_b32_e32 v6, v7
	v_pk_fma_f32 v[4:5], v[6:7], v[4:5], v[12:13] op_sel_hi:[0,1,1]
	v_ashrrev_i32_e32 v3, 31, v2
	v_pk_fma_f32 v[4:5], v[8:9], v[14:15], v[4:5] op_sel_hi:[0,1,1]
	v_mov_b32_e32 v6, v9
	v_lshl_add_u64 v[2:3], v[2:3], 3, s[78:79]
	v_pk_fma_f32 v[4:5], v[6:7], v[10:11], v[4:5] op_sel_hi:[0,1,1]
	global_store_dwordx2 v[2:3], v[4:5], off
	v_mov_b32_e32 v2, 0
.LBB9_58:                               ;   in Loop: Header=BB9_12 Depth=1
	s_or_b64 exec, exec, s[12:13]
	s_movk_i32 s12, 0x47
	v_cmp_gt_i32_e64 s[12:13], s12, v2
	s_mov_b64 s[16:17], -1
	s_and_saveexec_b64 s[90:91], s[12:13]
; %bb.59:                               ;   in Loop: Header=BB9_12 Depth=1
	v_cmp_eq_u32_e64 s[12:13], 0, v2
	s_orn2_b64 s[16:17], s[12:13], exec
; %bb.60:                               ;   in Loop: Header=BB9_12 Depth=1
	s_or_b64 exec, exec, s[90:91]
	s_and_saveexec_b64 s[90:91], s[16:17]
	s_cbranch_execz .LBB9_93
; %bb.61:                               ;   in Loop: Header=BB9_12 Depth=1
	v_add_u32_e32 v3, s59, v117
	v_or_b32_e32 v2, s71, v56
	v_cmp_gt_i32_e64 s[12:13], s20, v3
	v_cmp_gt_i32_e64 s[16:17], s3, v2
	s_and_b64 s[16:17], s[12:13], s[16:17]
	v_mov_b32_e32 v2, 0x47
	s_and_saveexec_b64 s[12:13], s[16:17]
	s_cbranch_execz .LBB9_63
; %bb.62:                               ;   in Loop: Header=BB9_12 Depth=1
	v_mad_u64_u32 v[2:3], s[16:17], v3, s21, v[56:57]
	v_add_u32_e32 v10, v110, v96
	v_add_u32_e32 v3, 0, v96
	ds_read2st64_b32 v[4:5], v10 offset1:11
	v_add_u32_e32 v3, 0xa0, v3
	ds_read2st64_b32 v[6:7], v3 offset1:11
	ds_read2st64_b32 v[8:9], v3 offset0:22 offset1:33
	ds_read2st64_b32 v[10:11], v10 offset0:22 offset1:33
	v_mad_u64_u32 v[2:3], s[16:17], v2, 40, v[20:21]
	s_waitcnt lgkmcnt(3)
	v_cvt_f32_f16_e32 v12, v4
	v_cvt_f32_f16_sdwa v13, v4 dst_sel:DWORD dst_unused:UNUSED_PAD src0_sel:WORD_1
	v_cvt_f32_f16_e32 v4, v5
	v_cvt_f32_f16_sdwa v5, v5 dst_sel:DWORD dst_unused:UNUSED_PAD src0_sel:WORD_1
	s_waitcnt lgkmcnt(0)
	v_cvt_f32_f16_e32 v14, v10
	v_cvt_f32_f16_sdwa v15, v10 dst_sel:DWORD dst_unused:UNUSED_PAD src0_sel:WORD_1
	v_cvt_f32_f16_e32 v10, v11
	v_cvt_f32_f16_sdwa v11, v11 dst_sel:DWORD dst_unused:UNUSED_PAD src0_sel:WORD_1
	v_pk_fma_f32 v[12:13], v[6:7], v[12:13], 0 op_sel_hi:[0,1,0]
	v_mov_b32_e32 v6, v7
	v_pk_fma_f32 v[4:5], v[6:7], v[4:5], v[12:13] op_sel_hi:[0,1,1]
	v_ashrrev_i32_e32 v3, 31, v2
	v_pk_fma_f32 v[4:5], v[8:9], v[14:15], v[4:5] op_sel_hi:[0,1,1]
	v_mov_b32_e32 v6, v9
	v_lshl_add_u64 v[2:3], v[2:3], 3, s[78:79]
	v_pk_fma_f32 v[4:5], v[6:7], v[10:11], v[4:5] op_sel_hi:[0,1,1]
	global_store_dwordx2 v[2:3], v[4:5], off
	v_mov_b32_e32 v2, 0
.LBB9_63:                               ;   in Loop: Header=BB9_12 Depth=1
	s_or_b64 exec, exec, s[12:13]
	s_movk_i32 s12, 0x47
	v_cmp_gt_i32_e64 s[12:13], s12, v2
	s_mov_b64 s[16:17], -1
	s_and_saveexec_b64 s[92:93], s[12:13]
; %bb.64:                               ;   in Loop: Header=BB9_12 Depth=1
	v_cmp_eq_u32_e64 s[12:13], 0, v2
	s_orn2_b64 s[16:17], s[12:13], exec
; %bb.65:                               ;   in Loop: Header=BB9_12 Depth=1
	s_or_b64 exec, exec, s[92:93]
	s_and_b64 exec, exec, s[16:17]
	s_cbranch_execz .LBB9_93
; %bb.66:                               ;   in Loop: Header=BB9_12 Depth=1
	v_add_u32_e32 v3, s59, v97
	v_cmp_gt_i32_e64 s[12:13], s20, v3
	s_and_b64 s[16:17], s[12:13], vcc
	v_mov_b32_e32 v2, 0x47
	s_and_saveexec_b64 s[12:13], s[16:17]
	s_cbranch_execz .LBB9_68
; %bb.67:                               ;   in Loop: Header=BB9_12 Depth=1
	v_mad_u64_u32 v[2:3], s[16:17], v3, s21, v[54:55]
	v_add_u32_e32 v10, v110, v98
	v_add_u32_e32 v3, 0, v98
	ds_read2st64_b32 v[4:5], v10 offset1:11
	v_add_u32_e32 v3, 0xa0, v3
	ds_read2st64_b32 v[6:7], v3 offset1:11
	ds_read2st64_b32 v[8:9], v3 offset0:22 offset1:33
	ds_read2st64_b32 v[10:11], v10 offset0:22 offset1:33
	v_mad_u64_u32 v[2:3], s[16:17], v2, 40, v[20:21]
	s_waitcnt lgkmcnt(3)
	v_cvt_f32_f16_e32 v12, v4
	v_cvt_f32_f16_sdwa v13, v4 dst_sel:DWORD dst_unused:UNUSED_PAD src0_sel:WORD_1
	v_cvt_f32_f16_e32 v4, v5
	v_cvt_f32_f16_sdwa v5, v5 dst_sel:DWORD dst_unused:UNUSED_PAD src0_sel:WORD_1
	s_waitcnt lgkmcnt(0)
	v_cvt_f32_f16_e32 v14, v10
	v_cvt_f32_f16_sdwa v15, v10 dst_sel:DWORD dst_unused:UNUSED_PAD src0_sel:WORD_1
	v_cvt_f32_f16_e32 v10, v11
	v_cvt_f32_f16_sdwa v11, v11 dst_sel:DWORD dst_unused:UNUSED_PAD src0_sel:WORD_1
	v_pk_fma_f32 v[12:13], v[6:7], v[12:13], 0 op_sel_hi:[0,1,0]
	v_mov_b32_e32 v6, v7
	v_pk_fma_f32 v[4:5], v[6:7], v[4:5], v[12:13] op_sel_hi:[0,1,1]
	v_ashrrev_i32_e32 v3, 31, v2
	v_pk_fma_f32 v[4:5], v[8:9], v[14:15], v[4:5] op_sel_hi:[0,1,1]
	v_mov_b32_e32 v6, v9
	v_lshl_add_u64 v[2:3], v[2:3], 3, s[78:79]
	v_pk_fma_f32 v[4:5], v[6:7], v[10:11], v[4:5] op_sel_hi:[0,1,1]
	global_store_dwordx2 v[2:3], v[4:5], off
	v_mov_b32_e32 v2, 0
.LBB9_68:                               ;   in Loop: Header=BB9_12 Depth=1
	s_or_b64 exec, exec, s[12:13]
	s_movk_i32 s12, 0x47
	v_cmp_gt_i32_e64 s[12:13], s12, v2
	s_mov_b64 s[16:17], -1
	s_and_saveexec_b64 s[92:93], s[12:13]
; %bb.69:                               ;   in Loop: Header=BB9_12 Depth=1
	v_cmp_eq_u32_e64 s[12:13], 0, v2
	s_orn2_b64 s[16:17], s[12:13], exec
; %bb.70:                               ;   in Loop: Header=BB9_12 Depth=1
	s_or_b64 exec, exec, s[92:93]
	s_and_b64 exec, exec, s[16:17]
	s_cbranch_execz .LBB9_93
; %bb.71:                               ;   in Loop: Header=BB9_12 Depth=1
	v_add_u32_e32 v3, s59, v118
	v_or_b32_e32 v2, s71, v58
	v_cmp_gt_i32_e64 s[12:13], s20, v3
	v_cmp_gt_i32_e64 s[16:17], s3, v2
	s_and_b64 s[16:17], s[12:13], s[16:17]
	v_mov_b32_e32 v2, 0x47
	s_and_saveexec_b64 s[12:13], s[16:17]
	s_cbranch_execz .LBB9_73
; %bb.72:                               ;   in Loop: Header=BB9_12 Depth=1
	v_mad_u64_u32 v[2:3], s[16:17], v3, s21, v[58:59]
	v_add_u32_e32 v10, v110, v99
	v_add_u32_e32 v3, 0, v99
	ds_read2st64_b32 v[4:5], v10 offset1:11
	v_add_u32_e32 v3, 0xa0, v3
	ds_read2st64_b32 v[6:7], v3 offset1:11
	ds_read2st64_b32 v[8:9], v3 offset0:22 offset1:33
	ds_read2st64_b32 v[10:11], v10 offset0:22 offset1:33
	v_mad_u64_u32 v[2:3], s[16:17], v2, 40, v[20:21]
	s_waitcnt lgkmcnt(3)
	v_cvt_f32_f16_e32 v12, v4
	v_cvt_f32_f16_sdwa v13, v4 dst_sel:DWORD dst_unused:UNUSED_PAD src0_sel:WORD_1
	v_cvt_f32_f16_e32 v4, v5
	v_cvt_f32_f16_sdwa v5, v5 dst_sel:DWORD dst_unused:UNUSED_PAD src0_sel:WORD_1
	s_waitcnt lgkmcnt(0)
	v_cvt_f32_f16_e32 v14, v10
	v_cvt_f32_f16_sdwa v15, v10 dst_sel:DWORD dst_unused:UNUSED_PAD src0_sel:WORD_1
	v_cvt_f32_f16_e32 v10, v11
	v_cvt_f32_f16_sdwa v11, v11 dst_sel:DWORD dst_unused:UNUSED_PAD src0_sel:WORD_1
	v_pk_fma_f32 v[12:13], v[6:7], v[12:13], 0 op_sel_hi:[0,1,0]
	v_mov_b32_e32 v6, v7
	v_pk_fma_f32 v[4:5], v[6:7], v[4:5], v[12:13] op_sel_hi:[0,1,1]
	v_ashrrev_i32_e32 v3, 31, v2
	v_pk_fma_f32 v[4:5], v[8:9], v[14:15], v[4:5] op_sel_hi:[0,1,1]
	v_mov_b32_e32 v6, v9
	v_lshl_add_u64 v[2:3], v[2:3], 3, s[78:79]
	v_pk_fma_f32 v[4:5], v[6:7], v[10:11], v[4:5] op_sel_hi:[0,1,1]
	global_store_dwordx2 v[2:3], v[4:5], off
	v_mov_b32_e32 v2, 0
.LBB9_73:                               ;   in Loop: Header=BB9_12 Depth=1
	s_or_b64 exec, exec, s[12:13]
	s_movk_i32 s12, 0x47
	v_cmp_gt_i32_e64 s[12:13], s12, v2
	s_mov_b64 s[16:17], -1
	s_and_saveexec_b64 s[92:93], s[12:13]
; %bb.74:                               ;   in Loop: Header=BB9_12 Depth=1
	v_cmp_eq_u32_e64 s[12:13], 0, v2
	s_orn2_b64 s[16:17], s[12:13], exec
; %bb.75:                               ;   in Loop: Header=BB9_12 Depth=1
	s_or_b64 exec, exec, s[92:93]
	s_and_b64 exec, exec, s[16:17]
	s_cbranch_execz .LBB9_93
; %bb.76:                               ;   in Loop: Header=BB9_12 Depth=1
	v_add_u32_e32 v3, s59, v100
	v_cmp_gt_i32_e64 s[12:13], s20, v3
	s_and_b64 s[16:17], s[12:13], vcc
	v_mov_b32_e32 v2, 0x47
	s_and_saveexec_b64 s[12:13], s[16:17]
	s_cbranch_execz .LBB9_78
; %bb.77:                               ;   in Loop: Header=BB9_12 Depth=1
	v_mad_u64_u32 v[2:3], s[16:17], v3, s21, v[54:55]
	v_add_u32_e32 v10, v110, v101
	v_add_u32_e32 v3, 0, v101
	ds_read2st64_b32 v[4:5], v10 offset1:11
	v_add_u32_e32 v3, 0xa0, v3
	ds_read2st64_b32 v[6:7], v3 offset1:11
	ds_read2st64_b32 v[8:9], v3 offset0:22 offset1:33
	ds_read2st64_b32 v[10:11], v10 offset0:22 offset1:33
	v_mad_u64_u32 v[2:3], s[16:17], v2, 40, v[20:21]
	s_waitcnt lgkmcnt(3)
	v_cvt_f32_f16_e32 v12, v4
	v_cvt_f32_f16_sdwa v13, v4 dst_sel:DWORD dst_unused:UNUSED_PAD src0_sel:WORD_1
	v_cvt_f32_f16_e32 v4, v5
	v_cvt_f32_f16_sdwa v5, v5 dst_sel:DWORD dst_unused:UNUSED_PAD src0_sel:WORD_1
	s_waitcnt lgkmcnt(0)
	v_cvt_f32_f16_e32 v14, v10
	v_cvt_f32_f16_sdwa v15, v10 dst_sel:DWORD dst_unused:UNUSED_PAD src0_sel:WORD_1
	v_cvt_f32_f16_e32 v10, v11
	v_cvt_f32_f16_sdwa v11, v11 dst_sel:DWORD dst_unused:UNUSED_PAD src0_sel:WORD_1
	v_pk_fma_f32 v[12:13], v[6:7], v[12:13], 0 op_sel_hi:[0,1,0]
	v_mov_b32_e32 v6, v7
	v_pk_fma_f32 v[4:5], v[6:7], v[4:5], v[12:13] op_sel_hi:[0,1,1]
	v_ashrrev_i32_e32 v3, 31, v2
	v_pk_fma_f32 v[4:5], v[8:9], v[14:15], v[4:5] op_sel_hi:[0,1,1]
	v_mov_b32_e32 v6, v9
	v_lshl_add_u64 v[2:3], v[2:3], 3, s[78:79]
	v_pk_fma_f32 v[4:5], v[6:7], v[10:11], v[4:5] op_sel_hi:[0,1,1]
	global_store_dwordx2 v[2:3], v[4:5], off
	v_mov_b32_e32 v2, 0
.LBB9_78:                               ;   in Loop: Header=BB9_12 Depth=1
	s_or_b64 exec, exec, s[12:13]
	s_movk_i32 s12, 0x47
	v_cmp_gt_i32_e64 s[12:13], s12, v2
	s_mov_b64 s[16:17], -1
	s_and_saveexec_b64 s[92:93], s[12:13]
; %bb.79:                               ;   in Loop: Header=BB9_12 Depth=1
	v_cmp_eq_u32_e64 s[12:13], 0, v2
	s_orn2_b64 s[16:17], s[12:13], exec
; %bb.80:                               ;   in Loop: Header=BB9_12 Depth=1
	s_or_b64 exec, exec, s[92:93]
	s_and_b64 exec, exec, s[16:17]
	s_cbranch_execz .LBB9_93
; %bb.81:                               ;   in Loop: Header=BB9_12 Depth=1
	v_add_u32_e32 v3, s59, v119
	v_or_b32_e32 v2, s71, v60
	v_cmp_gt_i32_e64 s[12:13], s20, v3
	v_cmp_gt_i32_e64 s[16:17], s3, v2
	s_and_b64 s[16:17], s[12:13], s[16:17]
	v_mov_b32_e32 v2, 0x47
	s_and_saveexec_b64 s[12:13], s[16:17]
	s_cbranch_execz .LBB9_83
; %bb.82:                               ;   in Loop: Header=BB9_12 Depth=1
	v_mad_u64_u32 v[2:3], s[16:17], v3, s21, v[60:61]
	v_add_u32_e32 v10, v110, v102
	v_add_u32_e32 v3, 0, v102
	ds_read2st64_b32 v[4:5], v10 offset1:11
	v_add_u32_e32 v3, 0xa0, v3
	ds_read2st64_b32 v[6:7], v3 offset1:11
	ds_read2st64_b32 v[8:9], v3 offset0:22 offset1:33
	ds_read2st64_b32 v[10:11], v10 offset0:22 offset1:33
	v_mad_u64_u32 v[2:3], s[16:17], v2, 40, v[20:21]
	s_waitcnt lgkmcnt(3)
	v_cvt_f32_f16_e32 v12, v4
	v_cvt_f32_f16_sdwa v13, v4 dst_sel:DWORD dst_unused:UNUSED_PAD src0_sel:WORD_1
	v_cvt_f32_f16_e32 v4, v5
	v_cvt_f32_f16_sdwa v5, v5 dst_sel:DWORD dst_unused:UNUSED_PAD src0_sel:WORD_1
	s_waitcnt lgkmcnt(0)
	v_cvt_f32_f16_e32 v14, v10
	v_cvt_f32_f16_sdwa v15, v10 dst_sel:DWORD dst_unused:UNUSED_PAD src0_sel:WORD_1
	v_cvt_f32_f16_e32 v10, v11
	v_cvt_f32_f16_sdwa v11, v11 dst_sel:DWORD dst_unused:UNUSED_PAD src0_sel:WORD_1
	v_pk_fma_f32 v[12:13], v[6:7], v[12:13], 0 op_sel_hi:[0,1,0]
	v_mov_b32_e32 v6, v7
	v_pk_fma_f32 v[4:5], v[6:7], v[4:5], v[12:13] op_sel_hi:[0,1,1]
	v_ashrrev_i32_e32 v3, 31, v2
	v_pk_fma_f32 v[4:5], v[8:9], v[14:15], v[4:5] op_sel_hi:[0,1,1]
	v_mov_b32_e32 v6, v9
	v_lshl_add_u64 v[2:3], v[2:3], 3, s[78:79]
	v_pk_fma_f32 v[4:5], v[6:7], v[10:11], v[4:5] op_sel_hi:[0,1,1]
	global_store_dwordx2 v[2:3], v[4:5], off
	v_mov_b32_e32 v2, 0
.LBB9_83:                               ;   in Loop: Header=BB9_12 Depth=1
	s_or_b64 exec, exec, s[12:13]
	s_movk_i32 s12, 0x47
	v_cmp_gt_i32_e64 s[12:13], s12, v2
	s_mov_b64 s[16:17], -1
	s_and_saveexec_b64 s[92:93], s[12:13]
; %bb.84:                               ;   in Loop: Header=BB9_12 Depth=1
	v_cmp_eq_u32_e64 s[12:13], 0, v2
	s_orn2_b64 s[16:17], s[12:13], exec
; %bb.85:                               ;   in Loop: Header=BB9_12 Depth=1
	s_or_b64 exec, exec, s[92:93]
	s_and_b64 exec, exec, s[16:17]
	s_cbranch_execz .LBB9_93
; %bb.86:                               ;   in Loop: Header=BB9_12 Depth=1
	v_add_u32_e32 v3, s59, v103
	v_cmp_gt_i32_e64 s[12:13], s20, v3
	s_and_b64 s[16:17], s[12:13], vcc
	v_mov_b32_e32 v2, 0x47
	s_and_saveexec_b64 s[12:13], s[16:17]
	s_cbranch_execz .LBB9_88
; %bb.87:                               ;   in Loop: Header=BB9_12 Depth=1
	v_mad_u64_u32 v[2:3], s[16:17], v3, s21, v[54:55]
	v_add_u32_e32 v10, v110, v104
	v_add_u32_e32 v3, 0, v104
	ds_read2st64_b32 v[4:5], v10 offset1:11
	v_add_u32_e32 v3, 0xa0, v3
	ds_read2st64_b32 v[6:7], v3 offset1:11
	ds_read2st64_b32 v[8:9], v3 offset0:22 offset1:33
	ds_read2st64_b32 v[10:11], v10 offset0:22 offset1:33
	v_mad_u64_u32 v[2:3], s[16:17], v2, 40, v[20:21]
	s_waitcnt lgkmcnt(3)
	v_cvt_f32_f16_e32 v12, v4
	v_cvt_f32_f16_sdwa v13, v4 dst_sel:DWORD dst_unused:UNUSED_PAD src0_sel:WORD_1
	v_cvt_f32_f16_e32 v4, v5
	v_cvt_f32_f16_sdwa v5, v5 dst_sel:DWORD dst_unused:UNUSED_PAD src0_sel:WORD_1
	s_waitcnt lgkmcnt(0)
	v_cvt_f32_f16_e32 v14, v10
	v_cvt_f32_f16_sdwa v15, v10 dst_sel:DWORD dst_unused:UNUSED_PAD src0_sel:WORD_1
	v_cvt_f32_f16_e32 v10, v11
	v_cvt_f32_f16_sdwa v11, v11 dst_sel:DWORD dst_unused:UNUSED_PAD src0_sel:WORD_1
	v_pk_fma_f32 v[12:13], v[6:7], v[12:13], 0 op_sel_hi:[0,1,0]
	v_mov_b32_e32 v6, v7
	v_pk_fma_f32 v[4:5], v[6:7], v[4:5], v[12:13] op_sel_hi:[0,1,1]
	v_ashrrev_i32_e32 v3, 31, v2
	v_pk_fma_f32 v[4:5], v[8:9], v[14:15], v[4:5] op_sel_hi:[0,1,1]
	v_mov_b32_e32 v6, v9
	v_lshl_add_u64 v[2:3], v[2:3], 3, s[78:79]
	v_pk_fma_f32 v[4:5], v[6:7], v[10:11], v[4:5] op_sel_hi:[0,1,1]
	global_store_dwordx2 v[2:3], v[4:5], off
	v_mov_b32_e32 v2, 0
.LBB9_88:                               ;   in Loop: Header=BB9_12 Depth=1
	s_or_b64 exec, exec, s[12:13]
	s_movk_i32 s12, 0x47
	v_cmp_gt_i32_e32 vcc, s12, v2
	s_mov_b64 s[12:13], -1
	s_and_saveexec_b64 s[16:17], vcc
; %bb.89:                               ;   in Loop: Header=BB9_12 Depth=1
	v_cmp_eq_u32_e32 vcc, 0, v2
	s_orn2_b64 s[12:13], vcc, exec
; %bb.90:                               ;   in Loop: Header=BB9_12 Depth=1
	s_or_b64 exec, exec, s[16:17]
	s_and_b64 exec, exec, s[12:13]
	s_cbranch_execz .LBB9_93
; %bb.91:                               ;   in Loop: Header=BB9_12 Depth=1
	v_add_u32_e32 v2, s59, v120
	v_or_b32_e32 v3, s71, v62
	v_cmp_gt_i32_e32 vcc, s20, v2
	v_cmp_gt_i32_e64 s[12:13], s3, v3
	s_and_b64 s[12:13], vcc, s[12:13]
	s_and_b64 exec, exec, s[12:13]
	s_cbranch_execz .LBB9_93
; %bb.92:                               ;   in Loop: Header=BB9_12 Depth=1
	v_mad_u64_u32 v[2:3], s[12:13], v2, s21, v[62:63]
	v_add_u32_e32 v10, v110, v105
	v_add_u32_e32 v3, 0, v105
	ds_read2st64_b32 v[4:5], v10 offset1:11
	v_add_u32_e32 v3, 0xa0, v3
	ds_read2st64_b32 v[6:7], v3 offset1:11
	ds_read2st64_b32 v[8:9], v3 offset0:22 offset1:33
	ds_read2st64_b32 v[10:11], v10 offset0:22 offset1:33
	v_mad_u64_u32 v[2:3], s[12:13], v2, 40, v[20:21]
	s_waitcnt lgkmcnt(3)
	v_cvt_f32_f16_e32 v12, v4
	v_cvt_f32_f16_sdwa v13, v4 dst_sel:DWORD dst_unused:UNUSED_PAD src0_sel:WORD_1
	v_cvt_f32_f16_e32 v4, v5
	v_cvt_f32_f16_sdwa v5, v5 dst_sel:DWORD dst_unused:UNUSED_PAD src0_sel:WORD_1
	s_waitcnt lgkmcnt(0)
	v_cvt_f32_f16_e32 v14, v10
	v_cvt_f32_f16_sdwa v15, v10 dst_sel:DWORD dst_unused:UNUSED_PAD src0_sel:WORD_1
	v_cvt_f32_f16_e32 v10, v11
	v_cvt_f32_f16_sdwa v11, v11 dst_sel:DWORD dst_unused:UNUSED_PAD src0_sel:WORD_1
	v_pk_fma_f32 v[12:13], v[6:7], v[12:13], 0 op_sel_hi:[0,1,0]
	v_mov_b32_e32 v6, v7
	v_pk_fma_f32 v[4:5], v[6:7], v[4:5], v[12:13] op_sel_hi:[0,1,1]
	v_ashrrev_i32_e32 v3, 31, v2
	v_pk_fma_f32 v[4:5], v[8:9], v[14:15], v[4:5] op_sel_hi:[0,1,1]
	v_mov_b32_e32 v6, v9
	v_lshl_add_u64 v[2:3], v[2:3], 3, s[78:79]
	v_pk_fma_f32 v[4:5], v[6:7], v[10:11], v[4:5] op_sel_hi:[0,1,1]
	global_store_dwordx2 v[2:3], v[4:5], off
.LBB9_93:                               ;   in Loop: Header=BB9_12 Depth=1
	s_or_b64 exec, exec, s[90:91]
	v_or_b32_e32 v2, s71, v50
	v_add_u32_e32 v3, s59, v106
	v_cmp_gt_i32_e32 vcc, s3, v2
	v_cmp_gt_i32_e64 s[12:13], s20, v3
	s_and_b64 s[16:17], s[12:13], vcc
	v_mov_b32_e32 v2, 0x47
	s_and_saveexec_b64 s[12:13], s[16:17]
	s_cbranch_execz .LBB9_95
; %bb.94:                               ;   in Loop: Header=BB9_12 Depth=1
	v_mad_u64_u32 v[2:3], s[16:17], v3, s21, v[50:51]
	v_mul_lo_u32 v12, v2, 40
	v_add_u32_e32 v2, v93, v107
	v_add_u32_e32 v8, 0x80, v2
	;; [unrolled: 1-line block ×3, first 2 shown]
	ds_read2st64_b32 v[2:3], v8 offset1:11
	v_add_u32_e32 v6, 0xa0, v4
	ds_read2st64_b32 v[4:5], v6 offset1:11
	ds_read2st64_b32 v[6:7], v6 offset0:22 offset1:33
	ds_read2st64_b32 v[8:9], v8 offset0:22 offset1:33
	v_ashrrev_i32_e32 v13, 31, v12
	v_or_b32_e32 v12, v12, v16
	s_waitcnt lgkmcnt(3)
	v_cvt_f32_f16_e32 v10, v2
	v_cvt_f32_f16_sdwa v11, v2 dst_sel:DWORD dst_unused:UNUSED_PAD src0_sel:WORD_1
	v_cvt_f32_f16_e32 v2, v3
	v_cvt_f32_f16_sdwa v3, v3 dst_sel:DWORD dst_unused:UNUSED_PAD src0_sel:WORD_1
	s_waitcnt lgkmcnt(0)
	v_cvt_f32_f16_e32 v14, v8
	v_cvt_f32_f16_sdwa v15, v8 dst_sel:DWORD dst_unused:UNUSED_PAD src0_sel:WORD_1
	v_cvt_f32_f16_e32 v8, v9
	v_cvt_f32_f16_sdwa v9, v9 dst_sel:DWORD dst_unused:UNUSED_PAD src0_sel:WORD_1
	v_pk_fma_f32 v[10:11], v[4:5], v[10:11], 0 op_sel_hi:[0,1,0]
	v_mov_b32_e32 v4, v5
	v_pk_fma_f32 v[2:3], v[4:5], v[2:3], v[10:11] op_sel_hi:[0,1,1]
	v_pk_fma_f32 v[2:3], v[6:7], v[14:15], v[2:3] op_sel_hi:[0,1,1]
	v_mov_b32_e32 v4, v7
	v_lshl_add_u64 v[12:13], v[12:13], 3, s[78:79]
	v_pk_fma_f32 v[2:3], v[4:5], v[8:9], v[2:3] op_sel_hi:[0,1,1]
	global_store_dwordx2 v[12:13], v[2:3], off offset:256
	v_mov_b32_e32 v2, 0
.LBB9_95:                               ;   in Loop: Header=BB9_12 Depth=1
	s_or_b64 exec, exec, s[12:13]
	s_movk_i32 s12, 0x47
	v_cmp_gt_i32_e64 s[12:13], s12, v2
	s_mov_b64 s[16:17], -1
	s_and_saveexec_b64 s[90:91], s[12:13]
; %bb.96:                               ;   in Loop: Header=BB9_12 Depth=1
	v_cmp_eq_u32_e64 s[12:13], 0, v2
	s_orn2_b64 s[16:17], s[12:13], exec
; %bb.97:                               ;   in Loop: Header=BB9_12 Depth=1
	s_or_b64 exec, exec, s[90:91]
	s_and_b64 exec, exec, s[16:17]
	s_cbranch_execz .LBB9_100
; %bb.98:                               ;   in Loop: Header=BB9_12 Depth=1
	v_add_u32_e32 v2, s59, v108
	v_cmp_gt_i32_e64 s[12:13], s20, v2
	s_and_b64 s[12:13], s[12:13], vcc
	s_and_b64 exec, exec, s[12:13]
	s_cbranch_execz .LBB9_100
; %bb.99:                               ;   in Loop: Header=BB9_12 Depth=1
	v_mad_u64_u32 v[2:3], s[12:13], v2, s21, v[50:51]
	v_mul_lo_u32 v12, v2, 40
	v_add_u32_e32 v2, v93, v109
	v_add_u32_e32 v8, 0x80, v2
	;; [unrolled: 1-line block ×3, first 2 shown]
	ds_read2st64_b32 v[2:3], v8 offset1:11
	v_add_u32_e32 v6, 0xa0, v4
	ds_read2st64_b32 v[4:5], v6 offset1:11
	ds_read2st64_b32 v[6:7], v6 offset0:22 offset1:33
	ds_read2st64_b32 v[8:9], v8 offset0:22 offset1:33
	v_ashrrev_i32_e32 v13, 31, v12
	v_or_b32_e32 v12, v12, v16
	s_waitcnt lgkmcnt(3)
	v_cvt_f32_f16_e32 v10, v2
	v_cvt_f32_f16_sdwa v11, v2 dst_sel:DWORD dst_unused:UNUSED_PAD src0_sel:WORD_1
	v_cvt_f32_f16_e32 v2, v3
	v_cvt_f32_f16_sdwa v3, v3 dst_sel:DWORD dst_unused:UNUSED_PAD src0_sel:WORD_1
	s_waitcnt lgkmcnt(0)
	v_cvt_f32_f16_e32 v14, v8
	v_cvt_f32_f16_sdwa v15, v8 dst_sel:DWORD dst_unused:UNUSED_PAD src0_sel:WORD_1
	v_cvt_f32_f16_e32 v8, v9
	v_cvt_f32_f16_sdwa v9, v9 dst_sel:DWORD dst_unused:UNUSED_PAD src0_sel:WORD_1
	v_pk_fma_f32 v[10:11], v[4:5], v[10:11], 0 op_sel_hi:[0,1,0]
	v_mov_b32_e32 v4, v5
	v_pk_fma_f32 v[2:3], v[4:5], v[2:3], v[10:11] op_sel_hi:[0,1,1]
	v_pk_fma_f32 v[2:3], v[6:7], v[14:15], v[2:3] op_sel_hi:[0,1,1]
	v_mov_b32_e32 v4, v7
	v_lshl_add_u64 v[12:13], v[12:13], 3, s[78:79]
	v_pk_fma_f32 v[2:3], v[4:5], v[8:9], v[2:3] op_sel_hi:[0,1,1]
	global_store_dwordx2 v[12:13], v[2:3], off offset:256
.LBB9_100:                              ;   in Loop: Header=BB9_12 Depth=1
	s_or_b64 exec, exec, s[88:89]
	s_barrier
	s_branch .LBB9_11
.LBB9_101:                              ;   in Loop: Header=BB9_12 Depth=1
	s_lshl_b32 s88, s9, 2
	v_add_u32_e32 v2, s88, v114
	v_cmp_le_i32_e64 s[12:13], s3, v65
	v_cmp_le_i32_e64 s[16:17], s20, v2
	v_cmp_gt_i32_e32 vcc, s3, v65
	s_or_b64 s[12:13], s[16:17], s[12:13]
	s_and_saveexec_b64 s[16:17], s[12:13]
	s_xor_b64 s[12:13], exec, s[16:17]
; %bb.102:                              ;   in Loop: Header=BB9_12 Depth=1
	v_add_u32_e32 v2, v110, v115
	ds_write_b32 v2, v23
                                        ; implicit-def: $vgpr2
; %bb.103:                              ;   in Loop: Header=BB9_12 Depth=1
	s_andn2_saveexec_b64 s[12:13], s[12:13]
	s_cbranch_execz .LBB9_105
; %bb.104:                              ;   in Loop: Header=BB9_12 Depth=1
	v_readlane_b32 s9, v163, 4
	s_nop 1
	v_mad_u64_u32 v[2:3], s[16:17], v2, s9, v[64:65]
	v_ashrrev_i32_e32 v3, 31, v2
	v_lshl_add_u64 v[2:3], v[2:3], 3, s[84:85]
	global_load_dwordx2 v[2:3], v[2:3], off
	s_waitcnt vmcnt(0)
	v_cvt_pk_f16_f32 v2, v2, v3
	v_pk_mul_f16 v2, v2, v111
	v_add_u32_e32 v3, v110, v115
	ds_write_b32 v3, v2
.LBB9_105:                              ;   in Loop: Header=BB9_12 Depth=1
	s_or_b64 exec, exec, s[12:13]
	v_add_u32_e32 v2, s88, v94
	v_cmp_le_i32_e64 s[12:13], s20, v2
	s_xor_b64 s[16:17], vcc, -1
	s_or_b64 s[12:13], s[12:13], s[16:17]
	s_and_saveexec_b64 s[16:17], s[12:13]
	s_xor_b64 s[12:13], exec, s[16:17]
; %bb.106:                              ;   in Loop: Header=BB9_12 Depth=1
	v_add_u32_e32 v2, v110, v115
	ds_write_b32 v2, v23 offset:1408
                                        ; implicit-def: $vgpr2
; %bb.107:                              ;   in Loop: Header=BB9_12 Depth=1
	s_andn2_saveexec_b64 s[12:13], s[12:13]
	s_cbranch_execz .LBB9_109
; %bb.108:                              ;   in Loop: Header=BB9_12 Depth=1
	v_readlane_b32 s9, v163, 4
	s_nop 1
	v_mad_u64_u32 v[2:3], s[16:17], v2, s9, v[64:65]
	v_ashrrev_i32_e32 v3, 31, v2
	v_lshl_add_u64 v[2:3], v[2:3], 3, s[84:85]
	global_load_dwordx2 v[2:3], v[2:3], off
	s_waitcnt vmcnt(0)
	v_cvt_pk_f16_f32 v2, v2, v3
	v_pk_mul_f16 v2, v2, v111
	v_add_u32_e32 v3, v110, v115
	ds_write_b32 v3, v2 offset:1408
.LBB9_109:                              ;   in Loop: Header=BB9_12 Depth=1
	s_or_b64 exec, exec, s[12:13]
	s_mov_b64 s[16:17], exec
	v_readlane_b32 s12, v163, 13
	v_readlane_b32 s13, v163, 14
	s_and_b64 s[12:13], s[16:17], s[12:13]
	s_mov_b64 exec, s[12:13]
	s_cbranch_execz .LBB9_114
; %bb.110:                              ;   in Loop: Header=BB9_12 Depth=1
	v_or_b32_e32 v2, s88, v91
	v_or_b32_e32 v3, s71, v50
	v_cmp_le_i32_e32 vcc, s20, v2
	v_cmp_le_i32_e64 s[12:13], s3, v3
	s_or_b64 s[12:13], vcc, s[12:13]
	s_and_saveexec_b64 s[90:91], s[12:13]
	s_xor_b64 s[12:13], exec, s[90:91]
; %bb.111:                              ;   in Loop: Header=BB9_12 Depth=1
	ds_write_b32 v19, v23 offset:128
                                        ; implicit-def: $vgpr2
; %bb.112:                              ;   in Loop: Header=BB9_12 Depth=1
	s_andn2_saveexec_b64 s[12:13], s[12:13]
	s_cbranch_execz .LBB9_114
; %bb.113:                              ;   in Loop: Header=BB9_12 Depth=1
	v_readlane_b32 s9, v163, 4
	s_nop 1
	v_mad_u64_u32 v[2:3], s[12:13], v2, s9, v[52:53]
	v_ashrrev_i32_e32 v3, 31, v2
	v_lshl_add_u64 v[2:3], v[2:3], 3, s[84:85]
	global_load_dwordx2 v[2:3], v[2:3], off
	s_waitcnt vmcnt(0)
	v_cvt_pk_f16_f32 v2, v2, v3
	v_pk_mul_f16 v2, v2, v111
	ds_write_b32 v19, v2 offset:128
.LBB9_114:                              ;   in Loop: Header=BB9_12 Depth=1
	s_or_b64 exec, exec, s[16:17]
	s_waitcnt lgkmcnt(0)
	s_barrier
	ds_read2_b64 v[6:9], v25 offset1:4
	ds_read2_b64 v[2:5], v25 offset0:8 offset1:12
	ds_read_b64 v[10:11], v25 offset:128
	s_cmp_lt_i32 s33, 2
	s_waitcnt lgkmcnt(0)
	s_barrier
	s_cbranch_scc1 .LBB9_123
; %bb.115:                              ;   in Loop: Header=BB9_12 Depth=1
	v_add_u32_e32 v12, s88, v17
	v_mul_hi_u32 v13, s28, v12
	v_add_u32_e32 v13, v12, v13
	v_lshrrev_b32_e32 v13, s29, v13
	v_mul_lo_u32 v13, v13, s20
	v_sub_u32_e32 v14, v12, v13
	v_and_b32_e32 v12, 64, v121
	v_add_u32_e32 v12, 64, v12
	v_xor_b32_e32 v13, 32, v121
	v_cmp_lt_i32_e32 vcc, v13, v12
	v_readlane_b32 s12, v163, 29
	v_readlane_b32 s13, v163, 30
	v_cndmask_b32_e32 v13, v121, v13, vcc
	v_lshlrev_b32_e32 v22, 2, v13
	v_xor_b32_e32 v13, 16, v121
	v_cmp_lt_i32_e32 vcc, v13, v12
	s_add_i32 s9, s33, -1
	v_mov_b32_e32 v129, 0
	v_cndmask_b32_e32 v12, v121, v13, vcc
	v_lshlrev_b32_e32 v133, 2, v12
	v_mov_b64_e32 v[12:13], s[86:87]
	v_mad_i64_i32 v[12:13], s[12:13], s12, v14, v[12:13]
	s_add_u32 s12, s96, s97
	s_addc_u32 s13, s64, s8
	s_add_u32 s0, s95, s0
	s_addc_u32 s1, s66, s1
	v_lshl_add_u64 v[12:13], v[42:43], 0, v[12:13]
	v_lshl_add_u64 v[14:15], v[44:45], 0, s[12:13]
	;; [unrolled: 1-line block ×7, first 2 shown]
	v_mov_b32_e32 v135, 0xfeffffff
	v_mov_b32_e32 v134, 0
	s_mov_b32 s0, s9
	v_mov_b32_e32 v130, 0
	v_mov_b32_e32 v132, 0
	v_mov_b32_e32 v131, 0
	v_mov_b32_e32 v127, 0
	v_mov_b32_e32 v126, 0
	v_mov_b32_e32 v125, 0
	v_mov_b32_e32 v124, 0
	v_mov_b32_e32 v123, 0
	v_mov_b32_e32 v65, 0
	s_and_saveexec_b64 s[12:13], s[14:15]
	s_cbranch_execz .LBB9_117
.LBB9_116:                              ;   in Loop: Header=BB9_12 Depth=1
	global_load_dword v128, v[12:13], off
	s_waitcnt vmcnt(0)
	ds_write_b32 v27, v128 offset:11264
.LBB9_117:                              ;   Parent Loop BB9_12 Depth=1
                                        ; =>  This Inner Loop Header: Depth=2
	s_or_b64 exec, exec, s[12:13]
	s_and_saveexec_b64 s[12:13], s[4:5]
	s_cbranch_execz .LBB9_119
; %bb.118:                              ;   in Loop: Header=BB9_117 Depth=2
	global_load_dwordx4 v[136:139], v[84:85], off
	s_waitcnt vmcnt(0)
	ds_write_b128 v67, v[136:139]
.LBB9_119:                              ;   in Loop: Header=BB9_117 Depth=2
	s_or_b64 exec, exec, s[12:13]
	v_lshl_add_u64 v[136:137], v[80:81], 0, v[46:47]
	v_lshl_add_u64 v[140:141], v[82:83], 0, v[46:47]
	global_load_dwordx4 v[136:139], v[136:137], off
	s_nop 0
	global_load_dwordx4 v[140:143], v[140:141], off
	v_add_u32_e32 v128, 0x2c00, v86
	s_waitcnt vmcnt(1)
	ds_write_b128 v61, v[136:139]
	s_waitcnt vmcnt(0)
	ds_write_b128 v113, v[140:143]
	s_waitcnt lgkmcnt(0)
	s_barrier
	ds_read2_b64 v[136:139], v63 offset1:4
	ds_read2_b64 v[144:147], v63 offset0:8 offset1:12
	ds_read_b64 v[148:149], v63 offset:128
	s_waitcnt lgkmcnt(0)
	v_mfma_f32_16x16x16_f16 v[140:143], v[136:137], v[6:7], 0
	s_barrier
	v_mfma_f32_16x16x16_f16 v[136:139], v[138:139], v[8:9], v[140:143]
	v_mfma_f32_16x16x16_f16 v[136:139], v[144:145], v[2:3], v[136:139]
	s_nop 4
	ds_read2_b32 v[140:141], v128 offset1:1
	s_waitcnt lgkmcnt(0)
	v_cvt_f32_f16_e32 v128, v140
	v_mfma_f32_16x16x16_f16 v[136:139], v[146:147], v[4:5], v[136:139]
	v_cvt_f32_f16_sdwa v144, v140 dst_sel:DWORD dst_unused:UNUSED_PAD src0_sel:WORD_1
	v_cvt_f32_f16_e32 v145, v141
	v_cvt_f32_f16_sdwa v146, v141 dst_sel:DWORD dst_unused:UNUSED_PAD src0_sel:WORD_1
	v_mfma_f32_16x16x16_f16 v[140:143], v[148:149], v[10:11], v[136:139]
	s_nop 7
	v_add_f32_e32 v139, v140, v128
	v_add_f32_e32 v138, v141, v144
	;; [unrolled: 1-line block ×7, first 2 shown]
	v_max3_f32 v128, v135, v128, v140
	v_add_f32_e32 v140, 0x40051340, v136
	v_max3_f32 v128, v128, v141, v140
	ds_bpermute_b32 v140, v22, v128
	s_waitcnt lgkmcnt(0)
	v_max_f32_e32 v140, v140, v140
	v_max_f32_e32 v128, v128, v140
	ds_bpermute_b32 v140, v133, v128
	s_and_saveexec_b64 s[12:13], s[4:5]
	s_cbranch_execz .LBB9_121
; %bb.120:                              ;   in Loop: Header=BB9_117 Depth=2
	global_load_dwordx4 v[142:145], v[14:15], off
	s_waitcnt vmcnt(0)
	ds_write_b128 v67, v[142:145]
.LBB9_121:                              ;   in Loop: Header=BB9_117 Depth=2
	s_or_b64 exec, exec, s[12:13]
	s_waitcnt lgkmcnt(0)
	v_max_f32_e32 v140, v140, v140
	v_max_f32_e32 v128, v128, v128
	;; [unrolled: 1-line block ×3, first 2 shown]
	v_lshl_add_u64 v[140:141], v[76:77], 0, v[46:47]
	global_load_dwordx4 v[140:143], v[140:141], off
	v_lshl_add_u64 v[144:145], v[78:79], 0, v[46:47]
	global_load_dwordx4 v[144:147], v[144:145], off
	v_sub_f32_e32 v139, v139, v128
	v_mul_f32_e32 v148, 0x3fb8aa3b, v139
	v_fma_f32 v149, v139, s67, -v148
	v_rndne_f32_e32 v150, v148
	v_fmac_f32_e32 v149, 0x32a5705f, v139
	v_sub_f32_e32 v148, v148, v150
	v_add_f32_e32 v148, v148, v149
	v_exp_f32_e32 v148, v148
	v_cvt_i32_f32_e32 v149, v150
	v_sub_f32_e32 v138, v138, v128
	v_cmp_ngt_f32_e32 vcc, s68, v139
	v_sub_f32_e32 v137, v137, v128
	v_ldexp_f32 v148, v148, v149
	v_mul_f32_e32 v149, 0x3fb8aa3b, v138
	v_fma_f32 v150, v138, s67, -v149
	v_rndne_f32_e32 v151, v149
	v_fmac_f32_e32 v150, 0x32a5705f, v138
	v_sub_f32_e32 v149, v149, v151
	v_add_f32_e32 v149, v149, v150
	v_exp_f32_e32 v149, v149
	v_cvt_i32_f32_e32 v150, v151
	v_cndmask_b32_e32 v148, 0, v148, vcc
	v_cmp_nlt_f32_e32 vcc, s69, v139
	v_sub_f32_e32 v136, v136, v128
	v_ldexp_f32 v139, v149, v150
	v_mul_f32_e32 v149, 0x3fb8aa3b, v137
	v_fma_f32 v150, v137, s67, -v149
	v_rndne_f32_e32 v151, v149
	v_fmac_f32_e32 v150, 0x32a5705f, v137
	v_sub_f32_e32 v149, v149, v151
	v_add_f32_e32 v149, v149, v150
	v_exp_f32_e32 v149, v149
	v_cvt_i32_f32_e32 v150, v151
	v_cndmask_b32_e32 v148, v122, v148, vcc
	v_cmp_ngt_f32_e32 vcc, s68, v138
	v_sub_f32_e32 v135, v135, v128
	s_add_i32 s0, s0, -1
	v_cndmask_b32_e32 v139, 0, v139, vcc
	v_cmp_nlt_f32_e32 vcc, s69, v138
	v_ldexp_f32 v138, v149, v150
	v_lshl_add_u64 v[12:13], v[12:13], 0, s[72:73]
	v_cndmask_b32_e32 v151, v122, v139, vcc
	v_mul_f32_e32 v139, 0x3fb8aa3b, v136
	v_fma_f32 v149, v136, s67, -v139
	v_rndne_f32_e32 v150, v139
	v_fmac_f32_e32 v149, 0x32a5705f, v136
	v_sub_f32_e32 v139, v139, v150
	v_add_f32_e32 v139, v139, v149
	v_cvt_i32_f32_e32 v149, v150
	v_mul_f32_e32 v150, 0x3fb8aa3b, v135
	v_fma_f32 v152, v135, s67, -v150
	v_rndne_f32_e32 v153, v150
	v_fmac_f32_e32 v152, 0x32a5705f, v135
	v_sub_f32_e32 v150, v150, v153
	v_add_f32_e32 v150, v150, v152
	v_exp_f32_e32 v150, v150
	v_cvt_i32_f32_e32 v152, v153
	v_cmp_ngt_f32_e32 vcc, s68, v137
	v_exp_f32_e32 v139, v139
	v_lshl_add_u64 v[14:15], v[14:15], 0, s[74:75]
	v_cndmask_b32_e32 v138, 0, v138, vcc
	v_cmp_nlt_f32_e32 vcc, s69, v137
	v_ldexp_f32 v137, v139, v149
	v_lshl_add_u64 v[76:77], v[76:77], 0, s[74:75]
	v_cndmask_b32_e32 v154, v122, v138, vcc
	v_ldexp_f32 v138, v150, v152
	v_cmp_ngt_f32_e32 vcc, s68, v135
	v_cvt_pk_f16_f32 v152, v148, v151
	v_lshl_add_u64 v[78:79], v[78:79], 0, s[74:75]
	v_cndmask_b32_e32 v138, 0, v138, vcc
	v_cmp_nlt_f32_e32 vcc, s69, v135
	v_lshl_add_u64 v[80:81], v[80:81], 0, s[76:77]
	v_lshl_add_u64 v[82:83], v[82:83], 0, s[76:77]
	v_cndmask_b32_e32 v138, v122, v138, vcc
	v_cmp_le_f32_e32 vcc, s26, v135
	s_waitcnt vmcnt(1)
	ds_write_b128 v61, v[140:143]
	s_waitcnt vmcnt(0)
	ds_write_b128 v113, v[144:147]
	v_cndmask_b32_e32 v155, 0, v138, vcc
	v_cvt_f16_f32_e32 v135, v155
	v_cmp_ngt_f32_e32 vcc, s68, v136
	s_waitcnt lgkmcnt(0)
	s_barrier
	v_mul_u32_u24_e32 v135, 0x10001, v135
	v_pk_mul_f16 v139, v131, v135
	v_pk_mul_f16 v149, v130, v135
	ds_read_u16 v130, v88
	ds_read_u16 v140, v88 offset:32
	ds_read_u16 v131, v89
	ds_read_u16 v144, v88 offset:64
	ds_read_u16 v150, v88 offset:96
	;; [unrolled: 1-line block ×4, first 2 shown]
	v_cndmask_b32_e32 v137, 0, v137, vcc
	v_cmp_nlt_f32_e32 vcc, s69, v136
	v_pk_mul_f16 v132, v132, v135
	s_waitcnt lgkmcnt(4)
	v_perm_b32 v131, v131, v130, s57
	ds_read_u16 v130, v87 offset:176
	ds_read_u16 v136, v87
	ds_read_u16 v141, v87 offset:32
	ds_read_u16 v142, v87 offset:208
	;; [unrolled: 1-line block ×6, first 2 shown]
	v_cndmask_b32_e32 v156, v122, v137, vcc
	s_waitcnt lgkmcnt(6)
	v_perm_b32 v130, v130, v136, s57
	v_cvt_f32_f16_e32 v136, v132
	v_cvt_f32_f16_sdwa v137, v132 dst_sel:DWORD dst_unused:UNUSED_PAD src0_sel:WORD_1
	ds_read_u16 v132, v89 offset:32
	v_cvt_f32_f16_e32 v138, v139
	v_cvt_f32_f16_sdwa v139, v139 dst_sel:DWORD dst_unused:UNUSED_PAD src0_sel:WORD_1
	ds_read_u16 v147, v89 offset:64
	ds_read_u16 v161, v89 offset:96
	;; [unrolled: 1-line block ×3, first 2 shown]
	v_pk_mul_f16 v129, v129, v135
	v_cvt_pk_f16_f32 v153, v154, v156
	v_cvt_f32_f16_sdwa v143, v149 dst_sel:DWORD dst_unused:UNUSED_PAD src0_sel:WORD_1
	v_pk_mul_f16 v125, v125, v135
	v_mfma_f32_16x16x16_f16 v[136:139], v[130:131], v[152:153], v[136:139]
	s_waitcnt lgkmcnt(3)
	v_perm_b32 v131, v132, v140, s57
	v_perm_b32 v130, v142, v141, s57
	v_cvt_f32_f16_e32 v140, v129
	v_cvt_f32_f16_sdwa v141, v129 dst_sel:DWORD dst_unused:UNUSED_PAD src0_sel:WORD_1
	v_pk_mul_f16 v129, v127, v135
	v_pk_mul_f16 v132, v126, v135
	s_waitcnt lgkmcnt(2)
	v_perm_b32 v127, v147, v144, s57
	v_perm_b32 v126, v146, v145, s57
	v_cvt_f32_f16_e32 v144, v129
	v_cvt_f32_f16_sdwa v145, v129 dst_sel:DWORD dst_unused:UNUSED_PAD src0_sel:WORD_1
	ds_read_u16 v129, v87 offset:272
	v_cvt_f32_f16_e32 v142, v149
	v_cvt_f32_f16_e32 v146, v132
	v_cvt_f32_f16_sdwa v147, v132 dst_sel:DWORD dst_unused:UNUSED_PAD src0_sel:WORD_1
	v_mfma_f32_16x16x16_f16 v[140:143], v[130:131], v[152:153], v[140:143]
	v_pk_mul_f16 v132, v124, v135
	s_waitcnt lgkmcnt(2)
	v_perm_b32 v131, v161, v150, s57
	s_waitcnt lgkmcnt(0)
	v_perm_b32 v130, v129, v159, s57
	v_mfma_f32_16x16x16_f16 v[144:147], v[126:127], v[152:153], v[144:147]
	v_cvt_f32_f16_e32 v124, v125
	v_cvt_f32_f16_sdwa v125, v125 dst_sel:DWORD dst_unused:UNUSED_PAD src0_sel:WORD_1
	v_cvt_f32_f16_e32 v126, v132
	v_cvt_f32_f16_sdwa v127, v132 dst_sel:DWORD dst_unused:UNUSED_PAD src0_sel:WORD_1
	v_add_f32_e32 v129, v148, v151
	v_pk_mul_f16 v123, v123, v135
	v_pk_mul_f16 v65, v65, v135
	v_mfma_f32_16x16x16_f16 v[148:151], v[130:131], v[152:153], v[124:127]
	v_perm_b32 v131, v162, v157, s57
	v_perm_b32 v130, v158, v160, s57
	v_cvt_pk_f16_f32 v132, v136, v137
	v_cvt_f32_f16_e32 v124, v123
	v_cvt_f32_f16_sdwa v125, v123 dst_sel:DWORD dst_unused:UNUSED_PAD src0_sel:WORD_1
	v_cvt_f32_f16_e32 v126, v65
	v_cvt_f32_f16_sdwa v127, v65 dst_sel:DWORD dst_unused:UNUSED_PAD src0_sel:WORD_1
	v_add_f32_e32 v65, v154, v129
	v_add_f32_e32 v135, v156, v65
	v_fmac_f32_e32 v135, v134, v155
	v_mfma_f32_16x16x16_f16 v[152:155], v[130:131], v[152:153], v[124:127]
	v_cvt_pk_f16_f32 v129, v140, v141
	v_cvt_pk_f16_f32 v130, v142, v143
	v_cvt_pk_f16_f32 v131, v138, v139
	v_cvt_pk_f16_f32 v127, v144, v145
	v_cvt_pk_f16_f32 v126, v146, v147
	v_cvt_pk_f16_f32 v125, v148, v149
	v_cvt_pk_f16_f32 v124, v150, v151
	s_nop 0
	v_cvt_pk_f16_f32 v123, v152, v153
	v_cvt_pk_f16_f32 v65, v154, v155
	s_cmp_lg_u32 s0, 0
	v_lshl_add_u64 v[84:85], v[84:85], 0, s[76:77]
	s_barrier
	s_cbranch_scc0 .LBB9_124
; %bb.122:                              ;   in Loop: Header=BB9_117 Depth=2
	v_mov_b32_e32 v134, v135
	v_mov_b32_e32 v135, v128
	s_and_saveexec_b64 s[12:13], s[14:15]
	s_cbranch_execnz .LBB9_116
	s_branch .LBB9_117
.LBB9_123:                              ;   in Loop: Header=BB9_12 Depth=1
	v_mov_b32_e32 v128, 0xfeffffff
	v_mov_b32_e32 v135, 0
	s_mov_b64 s[12:13], 0
	v_mov_b32_e32 v65, 0
	v_mov_b32_e32 v123, 0
	;; [unrolled: 1-line block ×10, first 2 shown]
	s_and_saveexec_b64 s[16:17], s[14:15]
	s_cbranch_execnz .LBB9_125
	s_branch .LBB9_126
.LBB9_124:                              ;   in Loop: Header=BB9_12 Depth=1
	s_lshl_b32 s64, s9, 6
	s_mov_b64 s[12:13], s[64:65]
	s_and_saveexec_b64 s[16:17], s[14:15]
	s_cbranch_execz .LBB9_126
.LBB9_125:                              ;   in Loop: Header=BB9_12 Depth=1
	v_or_b32_e32 v12, s88, v17
	v_mul_hi_u32 v13, s28, v12
	v_add_u32_e32 v13, v12, v13
	v_lshrrev_b32_e32 v13, s29, v13
	s_lshl_b64 s[0:1], s[12:13], 1
	v_mul_lo_u32 v13, v13, s20
	v_readlane_b32 s8, v163, 27
	s_add_u32 s0, s82, s0
	v_sub_u32_e32 v12, v12, v13
	v_readlane_b32 s9, v163, 28
	s_addc_u32 s1, s83, s1
	v_mad_i64_i32 v[12:13], s[8:9], v12, s8, 0
	v_lshl_add_u64 v[12:13], v[12:13], 1, s[0:1]
	v_lshlrev_b32_e32 v22, 1, v18
	v_lshl_add_u64 v[12:13], v[12:13], 0, v[22:23]
	global_load_dword v12, v[12:13], off
	s_waitcnt vmcnt(0)
	ds_write_b32 v27, v12 offset:11264
.LBB9_126:                              ;   in Loop: Header=BB9_12 Depth=1
	s_or_b64 exec, exec, s[16:17]
	s_mul_i32 s0, s12, s23
	s_mul_hi_u32 s1, s12, s22
	s_add_i32 s1, s1, s0
	s_mul_i32 s0, s12, s22
	s_lshl_b64 s[0:1], s[0:1], 2
	s_add_u32 s16, s30, s0
	s_addc_u32 s17, s31, s1
	s_and_saveexec_b64 s[82:83], s[4:5]
	s_cbranch_execz .LBB9_128
; %bb.127:                              ;   in Loop: Header=BB9_12 Depth=1
	v_lshl_add_u64 v[12:13], v[34:35], 2, s[16:17]
	v_lshlrev_b32_e32 v22, 2, v26
	v_lshl_add_u64 v[12:13], v[12:13], 0, v[22:23]
	global_load_dwordx4 v[12:15], v[12:13], off offset:128
	s_waitcnt vmcnt(0)
	ds_write_b128 v67, v[12:15]
.LBB9_128:                              ;   in Loop: Header=BB9_12 Depth=1
	s_or_b64 exec, exec, s[82:83]
	v_lshl_add_u64 v[12:13], v[30:31], 2, s[16:17]
	v_lshlrev_b32_e32 v22, 2, v24
	v_lshl_add_u64 v[14:15], v[32:33], 2, s[16:17]
	v_lshl_add_u64 v[12:13], v[12:13], 0, v[22:23]
	;; [unrolled: 1-line block ×3, first 2 shown]
	global_load_dwordx4 v[12:15], v[12:13], off
	s_nop 0
	global_load_dwordx4 v[76:79], v[76:77], off
	v_xor_b32_e32 v133, 32, v121
	v_xor_b32_e32 v134, 16, v121
	s_mul_i32 s0, s12, s19
	s_mul_hi_u32 s1, s12, s18
	s_add_i32 s1, s1, s0
	s_mul_i32 s0, s12, s18
	s_lshl_b64 s[0:1], s[0:1], 2
	s_add_u32 s12, s94, s0
	s_addc_u32 s13, s2, s1
	s_waitcnt vmcnt(1)
	ds_write_b128 v61, v[12:15]
	s_waitcnt vmcnt(0)
	ds_write_b128 v113, v[76:79]
	s_waitcnt lgkmcnt(0)
	s_barrier
	ds_read2_b64 v[12:15], v63 offset1:4
	ds_read2_b64 v[78:81], v63 offset0:8 offset1:12
	s_waitcnt lgkmcnt(1)
	v_mfma_f32_16x16x16_f16 v[82:85], v[12:13], v[6:7], 0
	ds_read_b64 v[12:13], v63 offset:128
	v_and_b32_e32 v77, 64, v121
	v_add_u32_e32 v77, 64, v77
	v_mfma_f32_16x16x16_f16 v[6:9], v[14:15], v[8:9], v[82:85]
	v_add_u32_e32 v76, 0x2c00, v86
	v_cmp_lt_i32_e32 vcc, v133, v77
	s_waitcnt lgkmcnt(0)
	v_mfma_f32_16x16x16_f16 v[6:9], v[78:79], v[2:3], v[6:9]
	s_barrier
	ds_read2_b32 v[14:15], v76 offset1:1
	v_cndmask_b32_e32 v2, v121, v133, vcc
	v_lshlrev_b32_e32 v78, 2, v2
	v_mfma_f32_16x16x16_f16 v[2:5], v[80:81], v[4:5], v[6:9]
	v_cmp_lt_i32_e32 vcc, v134, v77
	s_waitcnt lgkmcnt(0)
	v_cvt_f32_f16_e32 v76, v14
	v_cvt_f32_f16_sdwa v14, v14 dst_sel:DWORD dst_unused:UNUSED_PAD src0_sel:WORD_1
	v_mfma_f32_16x16x16_f16 v[6:9], v[12:13], v[10:11], v[2:5]
	v_cvt_f32_f16_e32 v79, v15
	v_cvt_f32_f16_sdwa v15, v15 dst_sel:DWORD dst_unused:UNUSED_PAD src0_sel:WORD_1
	s_nop 5
	v_add_f32_e32 v5, v6, v76
	v_add_f32_e32 v4, v7, v14
	;; [unrolled: 1-line block ×8, first 2 shown]
	v_max3_f32 v6, v128, v6, v7
	v_max3_f32 v6, v6, v8, v9
	ds_bpermute_b32 v7, v78, v6
	v_cndmask_b32_e32 v8, v121, v134, vcc
	v_lshlrev_b32_e32 v79, 2, v8
	s_waitcnt lgkmcnt(0)
	v_max_f32_e32 v7, v7, v7
	v_max_f32_e32 v6, v6, v7
	ds_bpermute_b32 v7, v79, v6
	s_and_saveexec_b64 s[16:17], s[4:5]
	s_cbranch_execz .LBB9_130
; %bb.129:                              ;   in Loop: Header=BB9_12 Depth=1
	v_lshl_add_u64 v[8:9], v[36:37], 2, s[12:13]
	v_lshlrev_b32_e32 v10, 2, v26
	v_mov_b32_e32 v11, v23
	v_lshl_add_u64 v[8:9], v[8:9], 0, v[10:11]
	global_load_dwordx4 v[8:11], v[8:9], off offset:128
	s_waitcnt vmcnt(0)
	ds_write_b128 v67, v[8:11]
.LBB9_130:                              ;   in Loop: Header=BB9_12 Depth=1
	s_or_b64 exec, exec, s[16:17]
	s_waitcnt lgkmcnt(0)
	v_max_f32_e32 v7, v7, v7
	v_max_f32_e32 v6, v6, v6
	;; [unrolled: 1-line block ×3, first 2 shown]
	v_sub_f32_e32 v5, v5, v76
	v_mul_f32_e32 v6, 0x3fb8aa3b, v5
	v_fma_f32 v7, v5, s67, -v6
	v_rndne_f32_e32 v8, v6
	v_fmac_f32_e32 v7, 0x32a5705f, v5
	v_sub_f32_e32 v6, v6, v8
	v_add_f32_e32 v6, v6, v7
	v_exp_f32_e32 v6, v6
	v_cvt_i32_f32_e32 v7, v8
	v_lshl_add_u64 v[8:9], v[38:39], 2, s[12:13]
	v_lshl_add_u64 v[10:11], v[8:9], 0, v[22:23]
	v_sub_f32_e32 v4, v4, v76
	v_ldexp_f32 v14, v6, v7
	v_lshl_add_u64 v[6:7], v[40:41], 2, s[12:13]
	v_lshl_add_u64 v[6:7], v[6:7], 0, v[22:23]
	global_load_dwordx4 v[6:9], v[6:7], off
	s_nop 0
	global_load_dwordx4 v[10:13], v[10:11], off
	v_mul_f32_e32 v15, 0x3fb8aa3b, v4
	v_fma_f32 v22, v4, s67, -v15
	v_rndne_f32_e32 v77, v15
	v_fmac_f32_e32 v22, 0x32a5705f, v4
	v_sub_f32_e32 v15, v15, v77
	v_add_f32_e32 v15, v15, v22
	v_exp_f32_e32 v15, v15
	v_cvt_i32_f32_e32 v22, v77
	v_cmp_ngt_f32_e32 vcc, s68, v5
	v_sub_f32_e32 v3, v3, v76
	v_sub_f32_e32 v2, v2, v76
	v_cndmask_b32_e32 v14, 0, v14, vcc
	v_cmp_nlt_f32_e32 vcc, s69, v5
	v_ldexp_f32 v5, v15, v22
	v_mul_f32_e32 v15, 0x3fb8aa3b, v3
	v_fma_f32 v22, v3, s67, -v15
	v_rndne_f32_e32 v77, v15
	v_fmac_f32_e32 v22, 0x32a5705f, v3
	v_sub_f32_e32 v15, v15, v77
	v_add_f32_e32 v15, v15, v22
	v_exp_f32_e32 v15, v15
	v_cvt_i32_f32_e32 v22, v77
	v_cndmask_b32_e32 v14, v122, v14, vcc
	v_cmp_ngt_f32_e32 vcc, s68, v4
	s_cmp_lg_u64 s[80:81], 0
	s_cselect_b64 s[0:1], -1, 0
	v_cndmask_b32_e32 v5, 0, v5, vcc
	v_cmp_nlt_f32_e32 vcc, s69, v4
	s_and_b64 s[0:1], s[6:7], s[0:1]
	s_waitcnt vmcnt(1)
	ds_write_b128 v61, v[6:9]
	s_waitcnt vmcnt(0)
	ds_write_b128 v113, v[10:13]
	v_cndmask_b32_e32 v77, v122, v5, vcc
	v_ldexp_f32 v5, v15, v22
	v_cmp_ngt_f32_e32 vcc, s68, v3
	v_add_f32_e32 v4, v14, v77
	s_waitcnt lgkmcnt(0)
	v_cndmask_b32_e32 v5, 0, v5, vcc
	v_cmp_nlt_f32_e32 vcc, s69, v3
	s_barrier
	s_nop 0
	v_cndmask_b32_e32 v15, v122, v5, vcc
	v_add_f32_e32 v3, v15, v4
	v_mul_f32_e32 v4, 0x3fb8aa3b, v2
	v_fma_f32 v5, v2, s67, -v4
	v_rndne_f32_e32 v22, v4
	v_fmac_f32_e32 v5, 0x32a5705f, v2
	v_sub_f32_e32 v4, v4, v22
	v_add_f32_e32 v4, v4, v5
	v_cvt_i32_f32_e32 v5, v22
	v_sub_f32_e32 v22, v128, v76
	v_mul_f32_e32 v80, 0x3fb8aa3b, v22
	v_fma_f32 v81, v22, s67, -v80
	v_rndne_f32_e32 v82, v80
	v_fmac_f32_e32 v81, 0x32a5705f, v22
	v_sub_f32_e32 v80, v80, v82
	v_exp_f32_e32 v4, v4
	v_add_f32_e32 v80, v80, v81
	v_exp_f32_e32 v80, v80
	v_cvt_i32_f32_e32 v81, v82
	v_ldexp_f32 v4, v4, v5
	v_cmp_ngt_f32_e32 vcc, s68, v2
	v_ldexp_f32 v5, v80, v81
	s_nop 0
	v_cndmask_b32_e32 v4, 0, v4, vcc
	v_cmp_ngt_f32_e32 vcc, s68, v22
	s_nop 1
	v_cndmask_b32_e32 v5, 0, v5, vcc
	v_cmp_nlt_f32_e32 vcc, s69, v22
	s_nop 1
	v_cndmask_b32_e32 v5, v122, v5, vcc
	v_cmp_le_f32_e32 vcc, s26, v22
	s_nop 1
	v_cndmask_b32_e32 v5, 0, v5, vcc
	v_cvt_f16_f32_e32 v22, v5
	v_cmp_nlt_f32_e32 vcc, s69, v2
	v_mul_u32_u24_e32 v2, 0x10001, v22
	s_nop 0
	v_cndmask_b32_e32 v80, v122, v4, vcc
	v_add_f32_e32 v84, v80, v3
	v_fmac_f32_e32 v84, v135, v5
	v_pk_mul_f16 v3, v132, v2
	v_pk_mul_f16 v5, v131, v2
	;; [unrolled: 1-line block ×10, first 2 shown]
	ds_read_u16 v2, v88
	ds_read_u16 v12, v88 offset:32
	ds_read_u16 v4, v89
	ds_read_u16 v65, v88 offset:64
	ds_read_u16 v127, v87 offset:272
	ds_read_u16 v128, v88 offset:96
	ds_read_u16 v129, v88 offset:128
	ds_read_u16 v130, v87 offset:304
	s_waitcnt lgkmcnt(5)
	v_perm_b32 v7, v4, v2, s57
	ds_read_u16 v2, v87 offset:176
	ds_read_u16 v4, v87
	ds_read_u16 v13, v87 offset:32
	ds_read_u16 v131, v87 offset:208
	;; [unrolled: 1-line block ×6, first 2 shown]
	s_waitcnt lgkmcnt(6)
	v_perm_b32 v6, v2, v4, s57
	v_cvt_f32_f16_e32 v2, v3
	v_cvt_f32_f16_sdwa v3, v3 dst_sel:DWORD dst_unused:UNUSED_PAD src0_sel:WORD_1
	v_cvt_f32_f16_e32 v4, v5
	v_cvt_f32_f16_sdwa v5, v5 dst_sel:DWORD dst_unused:UNUSED_PAD src0_sel:WORD_1
	v_cvt_pk_f16_f32 v81, v15, v80
	v_cvt_pk_f16_f32 v80, v14, v77
	ds_read_u16 v14, v89 offset:32
	ds_read_u16 v15, v89 offset:64
	;; [unrolled: 1-line block ×4, first 2 shown]
	v_mfma_f32_16x16x16_f16 v[8:11], v[6:7], v[80:81], v[2:5]
	s_waitcnt lgkmcnt(8)
	v_perm_b32 v6, v131, v13, s57
	s_waitcnt lgkmcnt(0)
	v_perm_b32 v7, v14, v12, s57
	v_cvt_f32_f16_e32 v2, v22
	v_cvt_f32_f16_sdwa v3, v22 dst_sel:DWORD dst_unused:UNUSED_PAD src0_sel:WORD_1
	s_nop 1
	v_cvt_f16_f32_e32 v10, v10
	v_cvt_f16_f32_e32 v11, v11
	v_cvt_f32_f16_e32 v4, v82
	v_cvt_f32_f16_sdwa v5, v82 dst_sel:DWORD dst_unused:UNUSED_PAD src0_sel:WORD_1
	v_perm_b32 v82, v130, v135, s57
	v_perm_b32 v22, v11, v10, s57
	v_mfma_f32_16x16x16_f16 v[10:13], v[6:7], v[80:81], v[2:5]
	v_perm_b32 v7, v15, v65, s57
	v_perm_b32 v6, v133, v132, s57
	s_nop 0
	v_cvt_f32_f16_e32 v2, v83
	v_cvt_f32_f16_sdwa v3, v83 dst_sel:DWORD dst_unused:UNUSED_PAD src0_sel:WORD_1
	s_nop 2
	v_cvt_f16_f32_e32 v12, v12
	v_cvt_f16_f32_e32 v13, v13
	v_cvt_f32_f16_e32 v4, v85
	v_cvt_f32_f16_sdwa v5, v85 dst_sel:DWORD dst_unused:UNUSED_PAD src0_sel:WORD_1
	v_perm_b32 v83, v136, v129, s57
	v_perm_b32 v65, v13, v12, s57
	v_mfma_f32_16x16x16_f16 v[12:15], v[6:7], v[80:81], v[2:5]
	v_perm_b32 v7, v77, v128, s57
	v_perm_b32 v6, v127, v134, s57
	s_nop 0
	v_cvt_f32_f16_e32 v2, v125
	v_cvt_f32_f16_sdwa v3, v125 dst_sel:DWORD dst_unused:UNUSED_PAD src0_sel:WORD_1
	v_cvt_f32_f16_e32 v4, v124
	v_cvt_f32_f16_sdwa v5, v124 dst_sel:DWORD dst_unused:UNUSED_PAD src0_sel:WORD_1
	s_nop 0
	v_cvt_f16_f32_e32 v14, v14
	v_cvt_f16_f32_e32 v15, v15
	v_mfma_f32_16x16x16_f16 v[2:5], v[6:7], v[80:81], v[2:5]
	v_cvt_f32_f16_e32 v6, v126
	v_perm_b32 v14, v15, v14, s57
	v_cvt_f32_f16_sdwa v7, v126 dst_sel:DWORD dst_unused:UNUSED_PAD src0_sel:WORD_1
	v_cvt_f16_f32_e32 v131, v8
	s_nop 3
	v_cvt_f16_f32_e32 v15, v4
	v_cvt_f16_f32_e32 v77, v5
	v_cvt_f32_f16_e32 v4, v123
	v_cvt_f32_f16_sdwa v5, v123 dst_sel:DWORD dst_unused:UNUSED_PAD src0_sel:WORD_1
	v_cvt_f16_f32_e32 v137, v9
	v_perm_b32 v15, v77, v15, s57
	ds_bpermute_b32 v77, v78, v84
	v_mfma_f32_16x16x16_f16 v[4:7], v[82:83], v[80:81], v[4:7]
	v_cvt_f16_f32_e32 v85, v10
	v_cvt_f16_f32_e32 v132, v11
	v_cvt_f16_f32_e32 v124, v12
	s_waitcnt lgkmcnt(0)
	v_add_f32_e32 v77, v84, v77
	ds_bpermute_b32 v80, v79, v77
	v_cvt_f16_f32_e32 v125, v13
	v_cvt_f16_f32_e32 v123, v2
	;; [unrolled: 1-line block ×7, first 2 shown]
	s_waitcnt lgkmcnt(0)
	v_add_f32_e32 v77, v77, v80
	v_perm_b32 v80, v137, v131, s57
	v_perm_b32 v6, v7, v6, s57
	;; [unrolled: 1-line block ×6, first 2 shown]
	s_barrier
	s_and_saveexec_b64 s[12:13], s[0:1]
	s_cbranch_execz .LBB9_132
; %bb.131:                              ;   in Loop: Header=BB9_12 Depth=1
	v_lshlrev_b32_e32 v7, 2, v66
	global_load_dword v7, v7, s[80:81]
	v_cvt_pk_f16_f32 v80, v8, v9
	v_max_f32_e32 v8, v76, v76
	v_cvt_pk_f16_f32 v10, v10, v11
	v_cvt_pk_f16_f32 v11, v12, v13
	;; [unrolled: 1-line block ×4, first 2 shown]
	s_waitcnt vmcnt(0)
	v_max_f32_e32 v9, v7, v7
	v_max_f32_e32 v8, v8, v9
	v_sub_f32_e32 v9, v76, v8
	v_sub_f32_e32 v7, v7, v8
	v_mul_f32_e32 v12, 0x3fb8aa3b, v9
	v_mul_f32_e32 v13, 0x3fb8aa3b, v7
	v_fma_f32 v76, v9, s67, -v12
	v_rndne_f32_e32 v81, v12
	v_fma_f32 v82, v7, s67, -v13
	v_rndne_f32_e32 v83, v13
	v_fmac_f32_e32 v76, 0x32a5705f, v9
	v_sub_f32_e32 v12, v12, v81
	v_fmac_f32_e32 v82, 0x32a5705f, v7
	v_sub_f32_e32 v13, v13, v83
	v_add_f32_e32 v12, v12, v76
	v_cvt_i32_f32_e32 v81, v81
	v_add_f32_e32 v13, v13, v82
	v_exp_f32_e32 v12, v12
	v_cvt_i32_f32_e32 v83, v83
	v_exp_f32_e32 v13, v13
	v_cmp_ngt_f32_e32 vcc, s68, v9
	v_ldexp_f32 v4, v12, v81
	v_ldexp_f32 v5, v13, v83
	v_cndmask_b32_e32 v4, 0, v4, vcc
	v_cmp_ngt_f32_e32 vcc, s68, v7
	s_nop 1
	v_cndmask_b32_e32 v5, 0, v5, vcc
	v_cmp_nlt_f32_e32 vcc, s69, v9
	s_nop 1
	v_cndmask_b32_e32 v4, v122, v4, vcc
	v_cmp_le_f32_e32 vcc, s26, v9
	s_nop 1
	v_cndmask_b32_e32 v4, 0, v4, vcc
	v_cvt_f16_f32_e32 v12, v4
	v_cmp_nlt_f32_e32 vcc, s69, v7
	s_nop 1
	v_cndmask_b32_e32 v9, v122, v5, vcc
	v_fmac_f32_e32 v9, v77, v4
	v_mul_u32_u24_e32 v4, 0x10001, v12
	v_pk_mul_f16 v80, v80, v4
	v_pk_mul_f16 v22, v22, v4
	;; [unrolled: 1-line block ×10, first 2 shown]
	v_mov_b64_e32 v[76:77], v[8:9]
.LBB9_132:                              ;   in Loop: Header=BB9_12 Depth=1
	s_or_b64 exec, exec, s[12:13]
	s_and_saveexec_b64 s[12:13], s[10:11]
; %bb.133:                              ;   in Loop: Header=BB9_12 Depth=1
	v_add_u32_e32 v2, 0, v92
	ds_write2_b32 v2, v76, v77 offset0:40 offset1:41
; %bb.134:                              ;   in Loop: Header=BB9_12 Depth=1
	s_or_b64 exec, exec, s[12:13]
	s_waitcnt lgkmcnt(0)
	s_barrier
	s_mov_b64 s[0:1], exec
	v_readlane_b32 s8, v163, 15
	v_readlane_b32 s9, v163, 16
	s_and_b64 s[8:9], s[0:1], s[8:9]
	s_xor_b64 s[12:13], s[8:9], s[0:1]
	s_mov_b64 exec, s[8:9]
	s_cbranch_execz .LBB9_136
; %bb.135:                              ;   in Loop: Header=BB9_12 Depth=1
	s_barrier
                                        ; implicit-def: $vgpr78
                                        ; implicit-def: $vgpr79
.LBB9_136:                              ;   in Loop: Header=BB9_12 Depth=1
	s_andn2_saveexec_b64 s[12:13], s[12:13]
	s_cbranch_execz .LBB9_138
; %bb.137:                              ;   in Loop: Header=BB9_12 Depth=1
	v_add_u32_e32 v4, 0, v92
	ds_read_b64 v[2:3], v4 offset:160
	s_waitcnt lgkmcnt(0)
	s_barrier
	ds_bpermute_b32 v5, v78, v2
	v_max_f32_e32 v8, v2, v2
	s_waitcnt lgkmcnt(0)
	v_max_f32_e32 v5, v5, v5
	v_max_f32_e32 v5, v8, v5
	ds_bpermute_b32 v8, v79, v5
	s_waitcnt lgkmcnt(0)
	v_max_f32_e32 v8, v8, v8
	v_max_f32_e32 v5, v5, v8
	v_sub_f32_e32 v2, v2, v5
	v_mul_f32_e32 v5, 0x3fb8aa3b, v2
	v_fma_f32 v8, v2, s67, -v5
	v_rndne_f32_e32 v9, v5
	v_fmac_f32_e32 v8, 0x32a5705f, v2
	v_sub_f32_e32 v5, v5, v9
	v_add_f32_e32 v5, v5, v8
	v_cvt_i32_f32_e32 v9, v9
	v_exp_f32_e32 v5, v5
	v_cmp_ngt_f32_e32 vcc, s68, v2
	v_ldexp_f32 v5, v5, v9
	s_nop 0
	v_cndmask_b32_e32 v5, 0, v5, vcc
	v_cmp_nlt_f32_e32 vcc, s69, v2
	s_nop 1
	v_cndmask_b32_e32 v2, v122, v5, vcc
	v_mul_f32_e32 v5, v3, v2
	ds_bpermute_b32 v5, v78, v5
	s_waitcnt lgkmcnt(0)
	v_fmac_f32_e32 v5, v3, v2
	ds_bpermute_b32 v3, v79, v5
	s_waitcnt lgkmcnt(0)
	v_add_f32_e32 v3, v5, v3
	ds_write_b64 v4, v[2:3] offset:160
.LBB9_138:                              ;   in Loop: Header=BB9_12 Depth=1
	s_or_b64 exec, exec, s[12:13]
	ds_write2_b32 v90, v80, v22 offset1:1
	ds_write2_b32 v90, v7, v65 offset0:8 offset1:9
	ds_write2_b32 v90, v81, v14 offset0:16 offset1:17
	;; [unrolled: 1-line block ×4, first 2 shown]
	s_waitcnt lgkmcnt(0)
	s_barrier
	s_and_saveexec_b64 s[80:81], s[6:7]
	s_cbranch_execz .LBB9_10
; %bb.139:                              ;   in Loop: Header=BB9_12 Depth=1
	v_add_u32_e32 v3, s88, v116
	v_or_b32_e32 v2, s71, v54
	v_cmp_gt_i32_e32 vcc, s20, v3
	v_cmp_gt_i32_e64 s[12:13], s3, v2
	s_and_b64 s[0:1], vcc, s[12:13]
	v_mov_b32_e32 v2, 0x47
	s_and_saveexec_b64 s[16:17], s[0:1]
	s_cbranch_execz .LBB9_141
; %bb.140:                              ;   in Loop: Header=BB9_12 Depth=1
	v_add_u32_e32 v12, v110, v95
	v_add_u32_e32 v14, 0, v95
	ds_read2st64_b32 v[4:5], v12 offset1:11
	ds_read2_b32 v[6:7], v14 offset0:40 offset1:41
	v_mad_u64_u32 v[2:3], s[0:1], v3, s21, v[54:55]
	v_add_u32_e32 v3, 0xa0, v14
	s_waitcnt lgkmcnt(1)
	v_cvt_f32_f16_e32 v8, v4
	v_cvt_f32_f16_sdwa v9, v4 dst_sel:DWORD dst_unused:UNUSED_PAD src0_sel:WORD_1
	ds_read2st64_b32 v[10:11], v3 offset0:11 offset1:22
	ds_read2st64_b32 v[12:13], v12 offset0:22 offset1:33
	ds_read_b32 v4, v14 offset:8608
	v_cvt_f32_f16_e32 v14, v5
	v_cvt_f32_f16_sdwa v15, v5 dst_sel:DWORD dst_unused:UNUSED_PAD src0_sel:WORD_1
	s_waitcnt lgkmcnt(3)
	v_pk_fma_f32 v[8:9], v[6:7], v[8:9], 0 op_sel_hi:[0,1,0]
	s_waitcnt lgkmcnt(1)
	v_cvt_f32_f16_e32 v76, v12
	v_cvt_f32_f16_sdwa v77, v12 dst_sel:DWORD dst_unused:UNUSED_PAD src0_sel:WORD_1
	v_cvt_f32_f16_e32 v12, v13
	v_cvt_f32_f16_sdwa v13, v13 dst_sel:DWORD dst_unused:UNUSED_PAD src0_sel:WORD_1
	v_pk_fma_f32 v[8:9], v[10:11], v[14:15], v[8:9] op_sel_hi:[0,1,1]
	v_mov_b32_e32 v6, v11
	v_pk_fma_f32 v[8:9], v[6:7], v[76:77], v[8:9] op_sel_hi:[0,1,1]
	s_waitcnt lgkmcnt(0)
	v_pk_fma_f32 v[4:5], v[4:5], v[12:13], v[8:9] op_sel_hi:[0,1,1]
	v_div_scale_f32 v6, s[0:1], v7, v7, v5
	v_rcp_f32_e32 v8, v6
	v_mad_u64_u32 v[2:3], s[0:1], v2, 40, v[20:21]
	v_ashrrev_i32_e32 v3, 31, v2
	v_fma_f32 v9, -v6, v8, 1.0
	v_fmac_f32_e32 v8, v9, v8
	v_div_scale_f32 v9, vcc, v5, v7, v5
	v_mul_f32_e32 v10, v9, v8
	v_fma_f32 v11, -v6, v10, v9
	v_fmac_f32_e32 v10, v11, v8
	v_fma_f32 v6, -v6, v10, v9
	v_div_scale_f32 v9, s[0:1], v7, v7, v4
	v_rcp_f32_e32 v11, v9
	v_div_fmas_f32 v6, v6, v8, v10
	v_div_fixup_f32 v5, v6, v7, v5
	v_lshl_add_u64 v[2:3], v[2:3], 3, s[78:79]
	v_fma_f32 v6, -v9, v11, 1.0
	v_fmac_f32_e32 v11, v6, v11
	v_div_scale_f32 v6, vcc, v4, v7, v4
	v_mul_f32_e32 v8, v6, v11
	v_fma_f32 v10, -v9, v8, v6
	v_fmac_f32_e32 v8, v10, v11
	v_fma_f32 v6, -v9, v8, v6
	v_div_fmas_f32 v6, v6, v11, v8
	v_div_fixup_f32 v4, v6, v7, v4
	global_store_dwordx2 v[2:3], v[4:5], off
	v_mov_b32_e32 v2, 0
.LBB9_141:                              ;   in Loop: Header=BB9_12 Depth=1
	s_or_b64 exec, exec, s[16:17]
	s_movk_i32 s0, 0x47
	v_cmp_gt_i32_e32 vcc, s0, v2
	s_mov_b64 s[16:17], -1
	s_and_saveexec_b64 s[82:83], vcc
; %bb.142:                              ;   in Loop: Header=BB9_12 Depth=1
	v_cmp_eq_u32_e32 vcc, 0, v2
	s_orn2_b64 s[16:17], vcc, exec
; %bb.143:                              ;   in Loop: Header=BB9_12 Depth=1
	s_or_b64 exec, exec, s[82:83]
	s_and_saveexec_b64 s[82:83], s[16:17]
	s_cbranch_execz .LBB9_176
; %bb.144:                              ;   in Loop: Header=BB9_12 Depth=1
	v_add_u32_e32 v3, s88, v117
	v_or_b32_e32 v2, s71, v56
	v_cmp_gt_i32_e32 vcc, s20, v3
	v_cmp_gt_i32_e64 s[16:17], s3, v2
	s_and_b64 s[0:1], vcc, s[16:17]
	v_mov_b32_e32 v2, 0x47
	s_and_saveexec_b64 s[16:17], s[0:1]
	s_cbranch_execz .LBB9_146
; %bb.145:                              ;   in Loop: Header=BB9_12 Depth=1
	v_add_u32_e32 v12, v110, v96
	v_add_u32_e32 v14, 0, v96
	ds_read2st64_b32 v[4:5], v12 offset1:11
	ds_read2_b32 v[6:7], v14 offset0:40 offset1:41
	v_mad_u64_u32 v[2:3], s[0:1], v3, s21, v[56:57]
	v_add_u32_e32 v3, 0xa0, v14
	s_waitcnt lgkmcnt(1)
	v_cvt_f32_f16_e32 v8, v4
	v_cvt_f32_f16_sdwa v9, v4 dst_sel:DWORD dst_unused:UNUSED_PAD src0_sel:WORD_1
	ds_read2st64_b32 v[10:11], v3 offset0:11 offset1:22
	ds_read2st64_b32 v[12:13], v12 offset0:22 offset1:33
	ds_read_b32 v4, v14 offset:8608
	v_cvt_f32_f16_e32 v14, v5
	v_cvt_f32_f16_sdwa v15, v5 dst_sel:DWORD dst_unused:UNUSED_PAD src0_sel:WORD_1
	s_waitcnt lgkmcnt(3)
	v_pk_fma_f32 v[8:9], v[6:7], v[8:9], 0 op_sel_hi:[0,1,0]
	s_waitcnt lgkmcnt(1)
	v_cvt_f32_f16_e32 v76, v12
	v_cvt_f32_f16_sdwa v77, v12 dst_sel:DWORD dst_unused:UNUSED_PAD src0_sel:WORD_1
	v_cvt_f32_f16_e32 v12, v13
	v_cvt_f32_f16_sdwa v13, v13 dst_sel:DWORD dst_unused:UNUSED_PAD src0_sel:WORD_1
	v_pk_fma_f32 v[8:9], v[10:11], v[14:15], v[8:9] op_sel_hi:[0,1,1]
	v_mov_b32_e32 v6, v11
	v_pk_fma_f32 v[8:9], v[6:7], v[76:77], v[8:9] op_sel_hi:[0,1,1]
	s_waitcnt lgkmcnt(0)
	v_pk_fma_f32 v[4:5], v[4:5], v[12:13], v[8:9] op_sel_hi:[0,1,1]
	v_div_scale_f32 v6, s[0:1], v7, v7, v5
	v_rcp_f32_e32 v8, v6
	v_mad_u64_u32 v[2:3], s[0:1], v2, 40, v[20:21]
	v_ashrrev_i32_e32 v3, 31, v2
	v_fma_f32 v9, -v6, v8, 1.0
	v_fmac_f32_e32 v8, v9, v8
	v_div_scale_f32 v9, vcc, v5, v7, v5
	v_mul_f32_e32 v10, v9, v8
	v_fma_f32 v11, -v6, v10, v9
	v_fmac_f32_e32 v10, v11, v8
	v_fma_f32 v6, -v6, v10, v9
	v_div_scale_f32 v9, s[0:1], v7, v7, v4
	v_rcp_f32_e32 v11, v9
	v_div_fmas_f32 v6, v6, v8, v10
	v_div_fixup_f32 v5, v6, v7, v5
	v_lshl_add_u64 v[2:3], v[2:3], 3, s[78:79]
	v_fma_f32 v6, -v9, v11, 1.0
	v_fmac_f32_e32 v11, v6, v11
	v_div_scale_f32 v6, vcc, v4, v7, v4
	v_mul_f32_e32 v8, v6, v11
	v_fma_f32 v10, -v9, v8, v6
	v_fmac_f32_e32 v8, v10, v11
	v_fma_f32 v6, -v9, v8, v6
	v_div_fmas_f32 v6, v6, v11, v8
	v_div_fixup_f32 v4, v6, v7, v4
	global_store_dwordx2 v[2:3], v[4:5], off
	v_mov_b32_e32 v2, 0
.LBB9_146:                              ;   in Loop: Header=BB9_12 Depth=1
	s_or_b64 exec, exec, s[16:17]
	s_movk_i32 s0, 0x47
	v_cmp_gt_i32_e32 vcc, s0, v2
	s_mov_b64 s[16:17], -1
	s_and_saveexec_b64 s[84:85], vcc
; %bb.147:                              ;   in Loop: Header=BB9_12 Depth=1
	v_cmp_eq_u32_e32 vcc, 0, v2
	s_orn2_b64 s[16:17], vcc, exec
; %bb.148:                              ;   in Loop: Header=BB9_12 Depth=1
	s_or_b64 exec, exec, s[84:85]
	s_and_b64 exec, exec, s[16:17]
	s_cbranch_execz .LBB9_176
; %bb.149:                              ;   in Loop: Header=BB9_12 Depth=1
	v_add_u32_e32 v3, s88, v97
	v_cmp_gt_i32_e32 vcc, s20, v3
	s_and_b64 s[0:1], vcc, s[12:13]
	v_mov_b32_e32 v2, 0x47
	s_and_saveexec_b64 s[16:17], s[0:1]
	s_cbranch_execz .LBB9_151
; %bb.150:                              ;   in Loop: Header=BB9_12 Depth=1
	v_add_u32_e32 v12, v110, v98
	v_add_u32_e32 v14, 0, v98
	ds_read2st64_b32 v[4:5], v12 offset1:11
	ds_read2_b32 v[6:7], v14 offset0:40 offset1:41
	v_mad_u64_u32 v[2:3], s[0:1], v3, s21, v[54:55]
	v_add_u32_e32 v3, 0xa0, v14
	s_waitcnt lgkmcnt(1)
	v_cvt_f32_f16_e32 v8, v4
	v_cvt_f32_f16_sdwa v9, v4 dst_sel:DWORD dst_unused:UNUSED_PAD src0_sel:WORD_1
	ds_read2st64_b32 v[10:11], v3 offset0:11 offset1:22
	ds_read2st64_b32 v[12:13], v12 offset0:22 offset1:33
	ds_read_b32 v4, v14 offset:8608
	v_cvt_f32_f16_e32 v14, v5
	v_cvt_f32_f16_sdwa v15, v5 dst_sel:DWORD dst_unused:UNUSED_PAD src0_sel:WORD_1
	s_waitcnt lgkmcnt(3)
	v_pk_fma_f32 v[8:9], v[6:7], v[8:9], 0 op_sel_hi:[0,1,0]
	s_waitcnt lgkmcnt(1)
	v_cvt_f32_f16_e32 v76, v12
	v_cvt_f32_f16_sdwa v77, v12 dst_sel:DWORD dst_unused:UNUSED_PAD src0_sel:WORD_1
	v_cvt_f32_f16_e32 v12, v13
	v_cvt_f32_f16_sdwa v13, v13 dst_sel:DWORD dst_unused:UNUSED_PAD src0_sel:WORD_1
	v_pk_fma_f32 v[8:9], v[10:11], v[14:15], v[8:9] op_sel_hi:[0,1,1]
	v_mov_b32_e32 v6, v11
	v_pk_fma_f32 v[8:9], v[6:7], v[76:77], v[8:9] op_sel_hi:[0,1,1]
	s_waitcnt lgkmcnt(0)
	v_pk_fma_f32 v[4:5], v[4:5], v[12:13], v[8:9] op_sel_hi:[0,1,1]
	v_div_scale_f32 v6, s[0:1], v7, v7, v5
	v_rcp_f32_e32 v8, v6
	v_mad_u64_u32 v[2:3], s[0:1], v2, 40, v[20:21]
	v_ashrrev_i32_e32 v3, 31, v2
	v_fma_f32 v9, -v6, v8, 1.0
	v_fmac_f32_e32 v8, v9, v8
	v_div_scale_f32 v9, vcc, v5, v7, v5
	v_mul_f32_e32 v10, v9, v8
	v_fma_f32 v11, -v6, v10, v9
	v_fmac_f32_e32 v10, v11, v8
	v_fma_f32 v6, -v6, v10, v9
	v_div_scale_f32 v9, s[0:1], v7, v7, v4
	v_rcp_f32_e32 v11, v9
	v_div_fmas_f32 v6, v6, v8, v10
	v_div_fixup_f32 v5, v6, v7, v5
	v_lshl_add_u64 v[2:3], v[2:3], 3, s[78:79]
	v_fma_f32 v6, -v9, v11, 1.0
	v_fmac_f32_e32 v11, v6, v11
	v_div_scale_f32 v6, vcc, v4, v7, v4
	v_mul_f32_e32 v8, v6, v11
	v_fma_f32 v10, -v9, v8, v6
	v_fmac_f32_e32 v8, v10, v11
	v_fma_f32 v6, -v9, v8, v6
	v_div_fmas_f32 v6, v6, v11, v8
	v_div_fixup_f32 v4, v6, v7, v4
	global_store_dwordx2 v[2:3], v[4:5], off
	v_mov_b32_e32 v2, 0
.LBB9_151:                              ;   in Loop: Header=BB9_12 Depth=1
	s_or_b64 exec, exec, s[16:17]
	s_movk_i32 s0, 0x47
	v_cmp_gt_i32_e32 vcc, s0, v2
	s_mov_b64 s[16:17], -1
	s_and_saveexec_b64 s[84:85], vcc
; %bb.152:                              ;   in Loop: Header=BB9_12 Depth=1
	v_cmp_eq_u32_e32 vcc, 0, v2
	s_orn2_b64 s[16:17], vcc, exec
; %bb.153:                              ;   in Loop: Header=BB9_12 Depth=1
	s_or_b64 exec, exec, s[84:85]
	s_and_b64 exec, exec, s[16:17]
	s_cbranch_execz .LBB9_176
; %bb.154:                              ;   in Loop: Header=BB9_12 Depth=1
	v_add_u32_e32 v3, s88, v118
	v_or_b32_e32 v2, s71, v58
	v_cmp_gt_i32_e32 vcc, s20, v3
	v_cmp_gt_i32_e64 s[16:17], s3, v2
	s_and_b64 s[0:1], vcc, s[16:17]
	v_mov_b32_e32 v2, 0x47
	s_and_saveexec_b64 s[16:17], s[0:1]
	s_cbranch_execz .LBB9_156
; %bb.155:                              ;   in Loop: Header=BB9_12 Depth=1
	v_add_u32_e32 v12, v110, v99
	v_add_u32_e32 v14, 0, v99
	ds_read2st64_b32 v[4:5], v12 offset1:11
	ds_read2_b32 v[6:7], v14 offset0:40 offset1:41
	v_mad_u64_u32 v[2:3], s[0:1], v3, s21, v[58:59]
	v_add_u32_e32 v3, 0xa0, v14
	s_waitcnt lgkmcnt(1)
	v_cvt_f32_f16_e32 v8, v4
	v_cvt_f32_f16_sdwa v9, v4 dst_sel:DWORD dst_unused:UNUSED_PAD src0_sel:WORD_1
	ds_read2st64_b32 v[10:11], v3 offset0:11 offset1:22
	ds_read2st64_b32 v[12:13], v12 offset0:22 offset1:33
	ds_read_b32 v4, v14 offset:8608
	v_cvt_f32_f16_e32 v14, v5
	v_cvt_f32_f16_sdwa v15, v5 dst_sel:DWORD dst_unused:UNUSED_PAD src0_sel:WORD_1
	s_waitcnt lgkmcnt(3)
	v_pk_fma_f32 v[8:9], v[6:7], v[8:9], 0 op_sel_hi:[0,1,0]
	s_waitcnt lgkmcnt(1)
	v_cvt_f32_f16_e32 v76, v12
	v_cvt_f32_f16_sdwa v77, v12 dst_sel:DWORD dst_unused:UNUSED_PAD src0_sel:WORD_1
	v_cvt_f32_f16_e32 v12, v13
	v_cvt_f32_f16_sdwa v13, v13 dst_sel:DWORD dst_unused:UNUSED_PAD src0_sel:WORD_1
	v_pk_fma_f32 v[8:9], v[10:11], v[14:15], v[8:9] op_sel_hi:[0,1,1]
	v_mov_b32_e32 v6, v11
	v_pk_fma_f32 v[8:9], v[6:7], v[76:77], v[8:9] op_sel_hi:[0,1,1]
	s_waitcnt lgkmcnt(0)
	v_pk_fma_f32 v[4:5], v[4:5], v[12:13], v[8:9] op_sel_hi:[0,1,1]
	v_div_scale_f32 v6, s[0:1], v7, v7, v5
	v_rcp_f32_e32 v8, v6
	v_mad_u64_u32 v[2:3], s[0:1], v2, 40, v[20:21]
	v_ashrrev_i32_e32 v3, 31, v2
	v_fma_f32 v9, -v6, v8, 1.0
	v_fmac_f32_e32 v8, v9, v8
	v_div_scale_f32 v9, vcc, v5, v7, v5
	v_mul_f32_e32 v10, v9, v8
	v_fma_f32 v11, -v6, v10, v9
	v_fmac_f32_e32 v10, v11, v8
	v_fma_f32 v6, -v6, v10, v9
	v_div_scale_f32 v9, s[0:1], v7, v7, v4
	v_rcp_f32_e32 v11, v9
	v_div_fmas_f32 v6, v6, v8, v10
	v_div_fixup_f32 v5, v6, v7, v5
	v_lshl_add_u64 v[2:3], v[2:3], 3, s[78:79]
	v_fma_f32 v6, -v9, v11, 1.0
	v_fmac_f32_e32 v11, v6, v11
	v_div_scale_f32 v6, vcc, v4, v7, v4
	v_mul_f32_e32 v8, v6, v11
	v_fma_f32 v10, -v9, v8, v6
	v_fmac_f32_e32 v8, v10, v11
	v_fma_f32 v6, -v9, v8, v6
	v_div_fmas_f32 v6, v6, v11, v8
	v_div_fixup_f32 v4, v6, v7, v4
	global_store_dwordx2 v[2:3], v[4:5], off
	v_mov_b32_e32 v2, 0
.LBB9_156:                              ;   in Loop: Header=BB9_12 Depth=1
	s_or_b64 exec, exec, s[16:17]
	s_movk_i32 s0, 0x47
	v_cmp_gt_i32_e32 vcc, s0, v2
	s_mov_b64 s[16:17], -1
	s_and_saveexec_b64 s[84:85], vcc
; %bb.157:                              ;   in Loop: Header=BB9_12 Depth=1
	v_cmp_eq_u32_e32 vcc, 0, v2
	s_orn2_b64 s[16:17], vcc, exec
; %bb.158:                              ;   in Loop: Header=BB9_12 Depth=1
	s_or_b64 exec, exec, s[84:85]
	s_and_b64 exec, exec, s[16:17]
	s_cbranch_execz .LBB9_176
; %bb.159:                              ;   in Loop: Header=BB9_12 Depth=1
	v_add_u32_e32 v3, s88, v100
	v_cmp_gt_i32_e32 vcc, s20, v3
	s_and_b64 s[0:1], vcc, s[12:13]
	v_mov_b32_e32 v2, 0x47
	s_and_saveexec_b64 s[16:17], s[0:1]
	s_cbranch_execz .LBB9_161
; %bb.160:                              ;   in Loop: Header=BB9_12 Depth=1
	v_add_u32_e32 v12, v110, v101
	v_add_u32_e32 v14, 0, v101
	ds_read2st64_b32 v[4:5], v12 offset1:11
	ds_read2_b32 v[6:7], v14 offset0:40 offset1:41
	v_mad_u64_u32 v[2:3], s[0:1], v3, s21, v[54:55]
	v_add_u32_e32 v3, 0xa0, v14
	s_waitcnt lgkmcnt(1)
	v_cvt_f32_f16_e32 v8, v4
	v_cvt_f32_f16_sdwa v9, v4 dst_sel:DWORD dst_unused:UNUSED_PAD src0_sel:WORD_1
	ds_read2st64_b32 v[10:11], v3 offset0:11 offset1:22
	ds_read2st64_b32 v[12:13], v12 offset0:22 offset1:33
	ds_read_b32 v4, v14 offset:8608
	v_cvt_f32_f16_e32 v14, v5
	v_cvt_f32_f16_sdwa v15, v5 dst_sel:DWORD dst_unused:UNUSED_PAD src0_sel:WORD_1
	s_waitcnt lgkmcnt(3)
	v_pk_fma_f32 v[8:9], v[6:7], v[8:9], 0 op_sel_hi:[0,1,0]
	s_waitcnt lgkmcnt(1)
	v_cvt_f32_f16_e32 v76, v12
	v_cvt_f32_f16_sdwa v77, v12 dst_sel:DWORD dst_unused:UNUSED_PAD src0_sel:WORD_1
	v_cvt_f32_f16_e32 v12, v13
	v_cvt_f32_f16_sdwa v13, v13 dst_sel:DWORD dst_unused:UNUSED_PAD src0_sel:WORD_1
	v_pk_fma_f32 v[8:9], v[10:11], v[14:15], v[8:9] op_sel_hi:[0,1,1]
	v_mov_b32_e32 v6, v11
	v_pk_fma_f32 v[8:9], v[6:7], v[76:77], v[8:9] op_sel_hi:[0,1,1]
	s_waitcnt lgkmcnt(0)
	v_pk_fma_f32 v[4:5], v[4:5], v[12:13], v[8:9] op_sel_hi:[0,1,1]
	v_div_scale_f32 v6, s[0:1], v7, v7, v5
	v_rcp_f32_e32 v8, v6
	v_mad_u64_u32 v[2:3], s[0:1], v2, 40, v[20:21]
	v_ashrrev_i32_e32 v3, 31, v2
	v_fma_f32 v9, -v6, v8, 1.0
	v_fmac_f32_e32 v8, v9, v8
	v_div_scale_f32 v9, vcc, v5, v7, v5
	v_mul_f32_e32 v10, v9, v8
	v_fma_f32 v11, -v6, v10, v9
	v_fmac_f32_e32 v10, v11, v8
	v_fma_f32 v6, -v6, v10, v9
	v_div_scale_f32 v9, s[0:1], v7, v7, v4
	v_rcp_f32_e32 v11, v9
	v_div_fmas_f32 v6, v6, v8, v10
	v_div_fixup_f32 v5, v6, v7, v5
	v_lshl_add_u64 v[2:3], v[2:3], 3, s[78:79]
	v_fma_f32 v6, -v9, v11, 1.0
	v_fmac_f32_e32 v11, v6, v11
	v_div_scale_f32 v6, vcc, v4, v7, v4
	v_mul_f32_e32 v8, v6, v11
	v_fma_f32 v10, -v9, v8, v6
	v_fmac_f32_e32 v8, v10, v11
	v_fma_f32 v6, -v9, v8, v6
	v_div_fmas_f32 v6, v6, v11, v8
	v_div_fixup_f32 v4, v6, v7, v4
	global_store_dwordx2 v[2:3], v[4:5], off
	v_mov_b32_e32 v2, 0
.LBB9_161:                              ;   in Loop: Header=BB9_12 Depth=1
	s_or_b64 exec, exec, s[16:17]
	s_movk_i32 s0, 0x47
	v_cmp_gt_i32_e32 vcc, s0, v2
	s_mov_b64 s[16:17], -1
	s_and_saveexec_b64 s[84:85], vcc
; %bb.162:                              ;   in Loop: Header=BB9_12 Depth=1
	v_cmp_eq_u32_e32 vcc, 0, v2
	s_orn2_b64 s[16:17], vcc, exec
; %bb.163:                              ;   in Loop: Header=BB9_12 Depth=1
	s_or_b64 exec, exec, s[84:85]
	s_and_b64 exec, exec, s[16:17]
	s_cbranch_execz .LBB9_176
; %bb.164:                              ;   in Loop: Header=BB9_12 Depth=1
	v_add_u32_e32 v3, s88, v119
	v_or_b32_e32 v2, s71, v60
	v_cmp_gt_i32_e32 vcc, s20, v3
	v_cmp_gt_i32_e64 s[16:17], s3, v2
	s_and_b64 s[0:1], vcc, s[16:17]
	v_mov_b32_e32 v2, 0x47
	s_and_saveexec_b64 s[16:17], s[0:1]
	s_cbranch_execz .LBB9_166
; %bb.165:                              ;   in Loop: Header=BB9_12 Depth=1
	v_add_u32_e32 v12, v110, v102
	v_add_u32_e32 v14, 0, v102
	ds_read2st64_b32 v[4:5], v12 offset1:11
	ds_read2_b32 v[6:7], v14 offset0:40 offset1:41
	v_mad_u64_u32 v[2:3], s[0:1], v3, s21, v[60:61]
	v_add_u32_e32 v3, 0xa0, v14
	s_waitcnt lgkmcnt(1)
	v_cvt_f32_f16_e32 v8, v4
	v_cvt_f32_f16_sdwa v9, v4 dst_sel:DWORD dst_unused:UNUSED_PAD src0_sel:WORD_1
	ds_read2st64_b32 v[10:11], v3 offset0:11 offset1:22
	ds_read2st64_b32 v[12:13], v12 offset0:22 offset1:33
	ds_read_b32 v4, v14 offset:8608
	v_cvt_f32_f16_e32 v14, v5
	v_cvt_f32_f16_sdwa v15, v5 dst_sel:DWORD dst_unused:UNUSED_PAD src0_sel:WORD_1
	s_waitcnt lgkmcnt(3)
	v_pk_fma_f32 v[8:9], v[6:7], v[8:9], 0 op_sel_hi:[0,1,0]
	s_waitcnt lgkmcnt(1)
	v_cvt_f32_f16_e32 v76, v12
	v_cvt_f32_f16_sdwa v77, v12 dst_sel:DWORD dst_unused:UNUSED_PAD src0_sel:WORD_1
	v_cvt_f32_f16_e32 v12, v13
	v_cvt_f32_f16_sdwa v13, v13 dst_sel:DWORD dst_unused:UNUSED_PAD src0_sel:WORD_1
	v_pk_fma_f32 v[8:9], v[10:11], v[14:15], v[8:9] op_sel_hi:[0,1,1]
	v_mov_b32_e32 v6, v11
	v_pk_fma_f32 v[8:9], v[6:7], v[76:77], v[8:9] op_sel_hi:[0,1,1]
	s_waitcnt lgkmcnt(0)
	v_pk_fma_f32 v[4:5], v[4:5], v[12:13], v[8:9] op_sel_hi:[0,1,1]
	v_div_scale_f32 v6, s[0:1], v7, v7, v5
	v_rcp_f32_e32 v8, v6
	v_mad_u64_u32 v[2:3], s[0:1], v2, 40, v[20:21]
	v_ashrrev_i32_e32 v3, 31, v2
	v_fma_f32 v9, -v6, v8, 1.0
	v_fmac_f32_e32 v8, v9, v8
	v_div_scale_f32 v9, vcc, v5, v7, v5
	v_mul_f32_e32 v10, v9, v8
	v_fma_f32 v11, -v6, v10, v9
	v_fmac_f32_e32 v10, v11, v8
	v_fma_f32 v6, -v6, v10, v9
	v_div_scale_f32 v9, s[0:1], v7, v7, v4
	v_rcp_f32_e32 v11, v9
	v_div_fmas_f32 v6, v6, v8, v10
	v_div_fixup_f32 v5, v6, v7, v5
	v_lshl_add_u64 v[2:3], v[2:3], 3, s[78:79]
	v_fma_f32 v6, -v9, v11, 1.0
	v_fmac_f32_e32 v11, v6, v11
	v_div_scale_f32 v6, vcc, v4, v7, v4
	v_mul_f32_e32 v8, v6, v11
	v_fma_f32 v10, -v9, v8, v6
	v_fmac_f32_e32 v8, v10, v11
	v_fma_f32 v6, -v9, v8, v6
	v_div_fmas_f32 v6, v6, v11, v8
	v_div_fixup_f32 v4, v6, v7, v4
	global_store_dwordx2 v[2:3], v[4:5], off
	v_mov_b32_e32 v2, 0
.LBB9_166:                              ;   in Loop: Header=BB9_12 Depth=1
	s_or_b64 exec, exec, s[16:17]
	s_movk_i32 s0, 0x47
	v_cmp_gt_i32_e32 vcc, s0, v2
	s_mov_b64 s[16:17], -1
	s_and_saveexec_b64 s[84:85], vcc
; %bb.167:                              ;   in Loop: Header=BB9_12 Depth=1
	v_cmp_eq_u32_e32 vcc, 0, v2
	s_orn2_b64 s[16:17], vcc, exec
; %bb.168:                              ;   in Loop: Header=BB9_12 Depth=1
	s_or_b64 exec, exec, s[84:85]
	s_and_b64 exec, exec, s[16:17]
	s_cbranch_execz .LBB9_176
; %bb.169:                              ;   in Loop: Header=BB9_12 Depth=1
	v_add_u32_e32 v3, s88, v103
	v_cmp_gt_i32_e32 vcc, s20, v3
	s_and_b64 s[0:1], vcc, s[12:13]
	v_mov_b32_e32 v2, 0x47
	s_and_saveexec_b64 s[12:13], s[0:1]
	s_cbranch_execz .LBB9_171
; %bb.170:                              ;   in Loop: Header=BB9_12 Depth=1
	v_add_u32_e32 v12, v110, v104
	v_add_u32_e32 v14, 0, v104
	ds_read2st64_b32 v[4:5], v12 offset1:11
	ds_read2_b32 v[6:7], v14 offset0:40 offset1:41
	v_mad_u64_u32 v[2:3], s[0:1], v3, s21, v[54:55]
	v_add_u32_e32 v3, 0xa0, v14
	s_waitcnt lgkmcnt(1)
	v_cvt_f32_f16_e32 v8, v4
	v_cvt_f32_f16_sdwa v9, v4 dst_sel:DWORD dst_unused:UNUSED_PAD src0_sel:WORD_1
	ds_read2st64_b32 v[10:11], v3 offset0:11 offset1:22
	ds_read2st64_b32 v[12:13], v12 offset0:22 offset1:33
	ds_read_b32 v4, v14 offset:8608
	v_cvt_f32_f16_e32 v14, v5
	v_cvt_f32_f16_sdwa v15, v5 dst_sel:DWORD dst_unused:UNUSED_PAD src0_sel:WORD_1
	s_waitcnt lgkmcnt(3)
	v_pk_fma_f32 v[8:9], v[6:7], v[8:9], 0 op_sel_hi:[0,1,0]
	s_waitcnt lgkmcnt(1)
	v_cvt_f32_f16_e32 v76, v12
	v_cvt_f32_f16_sdwa v77, v12 dst_sel:DWORD dst_unused:UNUSED_PAD src0_sel:WORD_1
	v_cvt_f32_f16_e32 v12, v13
	v_cvt_f32_f16_sdwa v13, v13 dst_sel:DWORD dst_unused:UNUSED_PAD src0_sel:WORD_1
	v_pk_fma_f32 v[8:9], v[10:11], v[14:15], v[8:9] op_sel_hi:[0,1,1]
	v_mov_b32_e32 v6, v11
	v_pk_fma_f32 v[8:9], v[6:7], v[76:77], v[8:9] op_sel_hi:[0,1,1]
	s_waitcnt lgkmcnt(0)
	v_pk_fma_f32 v[4:5], v[4:5], v[12:13], v[8:9] op_sel_hi:[0,1,1]
	v_div_scale_f32 v6, s[0:1], v7, v7, v5
	v_rcp_f32_e32 v8, v6
	v_mad_u64_u32 v[2:3], s[0:1], v2, 40, v[20:21]
	v_ashrrev_i32_e32 v3, 31, v2
	v_fma_f32 v9, -v6, v8, 1.0
	v_fmac_f32_e32 v8, v9, v8
	v_div_scale_f32 v9, vcc, v5, v7, v5
	v_mul_f32_e32 v10, v9, v8
	v_fma_f32 v11, -v6, v10, v9
	v_fmac_f32_e32 v10, v11, v8
	v_fma_f32 v6, -v6, v10, v9
	v_div_scale_f32 v9, s[0:1], v7, v7, v4
	v_rcp_f32_e32 v11, v9
	v_div_fmas_f32 v6, v6, v8, v10
	v_div_fixup_f32 v5, v6, v7, v5
	v_lshl_add_u64 v[2:3], v[2:3], 3, s[78:79]
	v_fma_f32 v6, -v9, v11, 1.0
	v_fmac_f32_e32 v11, v6, v11
	v_div_scale_f32 v6, vcc, v4, v7, v4
	v_mul_f32_e32 v8, v6, v11
	v_fma_f32 v10, -v9, v8, v6
	v_fmac_f32_e32 v8, v10, v11
	v_fma_f32 v6, -v9, v8, v6
	v_div_fmas_f32 v6, v6, v11, v8
	v_div_fixup_f32 v4, v6, v7, v4
	global_store_dwordx2 v[2:3], v[4:5], off
	v_mov_b32_e32 v2, 0
.LBB9_171:                              ;   in Loop: Header=BB9_12 Depth=1
	s_or_b64 exec, exec, s[12:13]
	s_movk_i32 s0, 0x47
	v_cmp_gt_i32_e32 vcc, s0, v2
	s_mov_b64 s[12:13], -1
	s_and_saveexec_b64 s[16:17], vcc
; %bb.172:                              ;   in Loop: Header=BB9_12 Depth=1
	v_cmp_eq_u32_e32 vcc, 0, v2
	s_orn2_b64 s[12:13], vcc, exec
; %bb.173:                              ;   in Loop: Header=BB9_12 Depth=1
	s_or_b64 exec, exec, s[16:17]
	s_and_b64 exec, exec, s[12:13]
	s_cbranch_execz .LBB9_176
; %bb.174:                              ;   in Loop: Header=BB9_12 Depth=1
	v_add_u32_e32 v2, s88, v120
	v_or_b32_e32 v3, s71, v62
	v_cmp_gt_i32_e32 vcc, s20, v2
	v_cmp_gt_i32_e64 s[12:13], s3, v3
	s_and_b64 s[0:1], vcc, s[12:13]
	s_and_b64 exec, exec, s[0:1]
	s_cbranch_execz .LBB9_176
; %bb.175:                              ;   in Loop: Header=BB9_12 Depth=1
	v_add_u32_e32 v12, v110, v105
	v_add_u32_e32 v14, 0, v105
	ds_read2st64_b32 v[4:5], v12 offset1:11
	ds_read2_b32 v[6:7], v14 offset0:40 offset1:41
	v_mad_u64_u32 v[2:3], s[0:1], v2, s21, v[62:63]
	v_add_u32_e32 v3, 0xa0, v14
	s_waitcnt lgkmcnt(1)
	v_cvt_f32_f16_e32 v8, v4
	v_cvt_f32_f16_sdwa v9, v4 dst_sel:DWORD dst_unused:UNUSED_PAD src0_sel:WORD_1
	ds_read2st64_b32 v[10:11], v3 offset0:11 offset1:22
	ds_read2st64_b32 v[12:13], v12 offset0:22 offset1:33
	ds_read_b32 v4, v14 offset:8608
	v_cvt_f32_f16_e32 v14, v5
	v_cvt_f32_f16_sdwa v15, v5 dst_sel:DWORD dst_unused:UNUSED_PAD src0_sel:WORD_1
	s_waitcnt lgkmcnt(3)
	v_pk_fma_f32 v[8:9], v[6:7], v[8:9], 0 op_sel_hi:[0,1,0]
	s_waitcnt lgkmcnt(1)
	v_cvt_f32_f16_e32 v76, v12
	v_cvt_f32_f16_sdwa v77, v12 dst_sel:DWORD dst_unused:UNUSED_PAD src0_sel:WORD_1
	v_cvt_f32_f16_e32 v12, v13
	v_cvt_f32_f16_sdwa v13, v13 dst_sel:DWORD dst_unused:UNUSED_PAD src0_sel:WORD_1
	v_pk_fma_f32 v[8:9], v[10:11], v[14:15], v[8:9] op_sel_hi:[0,1,1]
	v_mov_b32_e32 v6, v11
	v_pk_fma_f32 v[8:9], v[6:7], v[76:77], v[8:9] op_sel_hi:[0,1,1]
	s_waitcnt lgkmcnt(0)
	v_pk_fma_f32 v[4:5], v[4:5], v[12:13], v[8:9] op_sel_hi:[0,1,1]
	v_div_scale_f32 v6, s[0:1], v7, v7, v5
	v_rcp_f32_e32 v8, v6
	v_mad_u64_u32 v[2:3], s[0:1], v2, 40, v[20:21]
	v_ashrrev_i32_e32 v3, 31, v2
	v_fma_f32 v9, -v6, v8, 1.0
	v_fmac_f32_e32 v8, v9, v8
	v_div_scale_f32 v9, vcc, v5, v7, v5
	v_mul_f32_e32 v10, v9, v8
	v_fma_f32 v11, -v6, v10, v9
	v_fmac_f32_e32 v10, v11, v8
	v_fma_f32 v6, -v6, v10, v9
	v_div_scale_f32 v9, s[0:1], v7, v7, v4
	v_rcp_f32_e32 v11, v9
	v_div_fmas_f32 v6, v6, v8, v10
	v_div_fixup_f32 v5, v6, v7, v5
	v_lshl_add_u64 v[2:3], v[2:3], 3, s[78:79]
	v_fma_f32 v6, -v9, v11, 1.0
	v_fmac_f32_e32 v11, v6, v11
	v_div_scale_f32 v6, vcc, v4, v7, v4
	v_mul_f32_e32 v8, v6, v11
	v_fma_f32 v10, -v9, v8, v6
	v_fmac_f32_e32 v8, v10, v11
	v_fma_f32 v6, -v9, v8, v6
	v_div_fmas_f32 v6, v6, v11, v8
	v_div_fixup_f32 v4, v6, v7, v4
	global_store_dwordx2 v[2:3], v[4:5], off
.LBB9_176:                              ;   in Loop: Header=BB9_12 Depth=1
	s_or_b64 exec, exec, s[82:83]
	v_or_b32_e32 v2, s71, v50
	v_add_u32_e32 v3, s88, v106
	v_cmp_gt_i32_e64 s[12:13], s3, v2
	v_cmp_gt_i32_e32 vcc, s20, v3
	s_and_b64 s[0:1], vcc, s[12:13]
	v_mov_b32_e32 v2, 0x47
	s_and_saveexec_b64 s[16:17], s[0:1]
	s_cbranch_execz .LBB9_178
; %bb.177:                              ;   in Loop: Header=BB9_12 Depth=1
	v_add_u32_e32 v2, v93, v107
	v_add_u32_e32 v10, 0x80, v2
	ds_read2st64_b32 v[6:7], v10 offset1:11
	v_add_u32_e32 v12, 0, v107
	v_mad_u64_u32 v[2:3], s[0:1], v3, s21, v[50:51]
	v_add_u32_e32 v8, 0xa0, v12
	ds_read2_b32 v[4:5], v12 offset0:40 offset1:41
	v_mul_lo_u32 v22, v2, 40
	s_waitcnt lgkmcnt(1)
	v_cvt_f32_f16_e32 v2, v6
	v_cvt_f32_f16_sdwa v3, v6 dst_sel:DWORD dst_unused:UNUSED_PAD src0_sel:WORD_1
	ds_read2st64_b32 v[8:9], v8 offset0:11 offset1:22
	ds_read2st64_b32 v[10:11], v10 offset0:22 offset1:33
	ds_read_b32 v6, v12 offset:8608
	v_cvt_f32_f16_e32 v12, v7
	v_cvt_f32_f16_sdwa v13, v7 dst_sel:DWORD dst_unused:UNUSED_PAD src0_sel:WORD_1
	s_waitcnt lgkmcnt(3)
	v_pk_fma_f32 v[2:3], v[4:5], v[2:3], 0 op_sel_hi:[0,1,0]
	s_waitcnt lgkmcnt(1)
	v_cvt_f32_f16_e32 v14, v10
	v_cvt_f32_f16_sdwa v15, v10 dst_sel:DWORD dst_unused:UNUSED_PAD src0_sel:WORD_1
	v_cvt_f32_f16_e32 v10, v11
	v_cvt_f32_f16_sdwa v11, v11 dst_sel:DWORD dst_unused:UNUSED_PAD src0_sel:WORD_1
	v_pk_fma_f32 v[2:3], v[8:9], v[12:13], v[2:3] op_sel_hi:[0,1,1]
	v_mov_b32_e32 v4, v9
	v_pk_fma_f32 v[2:3], v[4:5], v[14:15], v[2:3] op_sel_hi:[0,1,1]
	s_waitcnt lgkmcnt(0)
	v_pk_fma_f32 v[2:3], v[6:7], v[10:11], v[2:3] op_sel_hi:[0,1,1]
	v_div_scale_f32 v4, s[0:1], v5, v5, v3
	v_rcp_f32_e32 v8, v4
	v_ashrrev_i32_e32 v7, 31, v22
	v_or_b32_e32 v6, v22, v16
	v_lshl_add_u64 v[6:7], v[6:7], 3, s[78:79]
	v_fma_f32 v9, -v4, v8, 1.0
	v_fmac_f32_e32 v8, v9, v8
	v_div_scale_f32 v9, vcc, v3, v5, v3
	v_mul_f32_e32 v10, v9, v8
	v_fma_f32 v11, -v4, v10, v9
	v_fmac_f32_e32 v10, v11, v8
	v_fma_f32 v4, -v4, v10, v9
	v_div_scale_f32 v9, s[0:1], v5, v5, v2
	v_rcp_f32_e32 v11, v9
	v_div_fmas_f32 v4, v4, v8, v10
	v_div_fixup_f32 v3, v4, v5, v3
	v_fma_f32 v4, -v9, v11, 1.0
	v_fmac_f32_e32 v11, v4, v11
	v_div_scale_f32 v4, vcc, v2, v5, v2
	v_mul_f32_e32 v8, v4, v11
	v_fma_f32 v10, -v9, v8, v4
	v_fmac_f32_e32 v8, v10, v11
	v_fma_f32 v4, -v9, v8, v4
	v_div_fmas_f32 v4, v4, v11, v8
	v_div_fixup_f32 v2, v4, v5, v2
	global_store_dwordx2 v[6:7], v[2:3], off offset:256
	v_mov_b32_e32 v2, 0
.LBB9_178:                              ;   in Loop: Header=BB9_12 Depth=1
	s_or_b64 exec, exec, s[16:17]
	s_movk_i32 s0, 0x47
	v_cmp_gt_i32_e32 vcc, s0, v2
	s_mov_b64 s[16:17], -1
	s_and_saveexec_b64 s[82:83], vcc
; %bb.179:                              ;   in Loop: Header=BB9_12 Depth=1
	v_cmp_eq_u32_e32 vcc, 0, v2
	s_orn2_b64 s[16:17], vcc, exec
; %bb.180:                              ;   in Loop: Header=BB9_12 Depth=1
	s_or_b64 exec, exec, s[82:83]
	s_and_b64 exec, exec, s[16:17]
	s_cbranch_execz .LBB9_10
; %bb.181:                              ;   in Loop: Header=BB9_12 Depth=1
	v_add_u32_e32 v2, s88, v108
	v_cmp_gt_i32_e32 vcc, s20, v2
	s_and_b64 s[0:1], vcc, s[12:13]
	s_and_b64 exec, exec, s[0:1]
	s_cbranch_execz .LBB9_10
; %bb.182:                              ;   in Loop: Header=BB9_12 Depth=1
	v_add_u32_e32 v3, v93, v109
	v_add_u32_e32 v10, 0x80, v3
	ds_read2st64_b32 v[6:7], v10 offset1:11
	v_add_u32_e32 v12, 0, v109
	v_mad_u64_u32 v[2:3], s[0:1], v2, s21, v[50:51]
	v_add_u32_e32 v8, 0xa0, v12
	ds_read2_b32 v[4:5], v12 offset0:40 offset1:41
	v_mul_lo_u32 v22, v2, 40
	s_waitcnt lgkmcnt(1)
	v_cvt_f32_f16_e32 v2, v6
	v_cvt_f32_f16_sdwa v3, v6 dst_sel:DWORD dst_unused:UNUSED_PAD src0_sel:WORD_1
	ds_read2st64_b32 v[8:9], v8 offset0:11 offset1:22
	ds_read2st64_b32 v[10:11], v10 offset0:22 offset1:33
	ds_read_b32 v6, v12 offset:8608
	v_cvt_f32_f16_e32 v12, v7
	v_cvt_f32_f16_sdwa v13, v7 dst_sel:DWORD dst_unused:UNUSED_PAD src0_sel:WORD_1
	s_waitcnt lgkmcnt(3)
	v_pk_fma_f32 v[2:3], v[4:5], v[2:3], 0 op_sel_hi:[0,1,0]
	s_waitcnt lgkmcnt(1)
	v_cvt_f32_f16_e32 v14, v10
	v_cvt_f32_f16_sdwa v15, v10 dst_sel:DWORD dst_unused:UNUSED_PAD src0_sel:WORD_1
	v_cvt_f32_f16_e32 v10, v11
	v_cvt_f32_f16_sdwa v11, v11 dst_sel:DWORD dst_unused:UNUSED_PAD src0_sel:WORD_1
	v_pk_fma_f32 v[2:3], v[8:9], v[12:13], v[2:3] op_sel_hi:[0,1,1]
	v_mov_b32_e32 v4, v9
	v_pk_fma_f32 v[2:3], v[4:5], v[14:15], v[2:3] op_sel_hi:[0,1,1]
	s_waitcnt lgkmcnt(0)
	v_pk_fma_f32 v[2:3], v[6:7], v[10:11], v[2:3] op_sel_hi:[0,1,1]
	v_div_scale_f32 v4, s[0:1], v5, v5, v3
	v_rcp_f32_e32 v8, v4
	v_ashrrev_i32_e32 v7, 31, v22
	v_or_b32_e32 v6, v22, v16
	v_lshl_add_u64 v[6:7], v[6:7], 3, s[78:79]
	v_fma_f32 v9, -v4, v8, 1.0
	v_fmac_f32_e32 v8, v9, v8
	v_div_scale_f32 v9, vcc, v3, v5, v3
	v_mul_f32_e32 v10, v9, v8
	v_fma_f32 v11, -v4, v10, v9
	v_fmac_f32_e32 v10, v11, v8
	v_fma_f32 v4, -v4, v10, v9
	v_div_scale_f32 v9, s[0:1], v5, v5, v2
	v_rcp_f32_e32 v11, v9
	v_div_fmas_f32 v4, v4, v8, v10
	v_div_fixup_f32 v3, v4, v5, v3
	v_fma_f32 v4, -v9, v11, 1.0
	v_fmac_f32_e32 v11, v4, v11
	v_div_scale_f32 v4, vcc, v2, v5, v2
	v_mul_f32_e32 v8, v4, v11
	v_fma_f32 v10, -v9, v8, v4
	v_fmac_f32_e32 v8, v10, v11
	v_fma_f32 v4, -v9, v8, v4
	v_div_fmas_f32 v4, v4, v11, v8
	v_div_fixup_f32 v2, v4, v5, v2
	global_store_dwordx2 v[6:7], v[2:3], off offset:256
	s_branch .LBB9_10
.LBB9_183:
	v_readlane_b32 s57, v163, 17
	v_readlane_b32 s60, v163, 8
	;; [unrolled: 1-line block ×7, first 2 shown]
	s_andn2_b64 vcc, exec, s[12:13]
	s_cbranch_vccnz .LBB9_8
.LBB9_184:
	v_readlane_b32 s7, v163, 3
	s_abs_i32 s0, s7
	v_cvt_f32_u32_e32 v2, s0
	s_sub_i32 s4, 0, s0
	s_abs_i32 s2, s58
	s_xor_b32 s1, s58, s7
	v_rcp_iflag_f32_e32 v2, v2
	s_ashr_i32 s1, s1, 31
	v_readlane_b32 s9, v163, 2
	v_readlane_b32 s10, v163, 1
	v_mul_f32_e32 v2, 0x4f7ffffe, v2
	v_cvt_u32_f32_e32 v2, v2
	v_mov_b32_e32 v8, s33
	v_readfirstlane_b32 s5, v2
	s_mul_i32 s4, s4, s5
	s_mul_hi_u32 s4, s5, s4
	s_add_i32 s5, s5, s4
	s_mul_hi_u32 s4, s2, s5
	s_mul_i32 s5, s4, s0
	s_sub_i32 s2, s2, s5
	s_add_i32 s6, s4, 1
	s_sub_i32 s5, s2, s0
	s_cmp_ge_u32 s2, s0
	s_cselect_b32 s4, s6, s4
	s_cselect_b32 s2, s5, s2
	s_add_i32 s5, s4, 1
	s_cmp_ge_u32 s2, s0
	s_cselect_b32 s0, s5, s4
	s_abs_i32 s4, s9
	v_cvt_f32_u32_e32 v2, s4
	s_xor_b32 s0, s0, s1
	s_sub_i32 s2, s0, s1
	s_sub_i32 s5, 0, s4
	v_rcp_iflag_f32_e32 v2, v2
	s_mul_i32 s0, s2, s7
	s_sub_i32 s0, s58, s0
	s_abs_i32 s6, s0
	v_mul_f32_e32 v2, 0x4f7ffffe, v2
	v_cvt_u32_f32_e32 v2, v2
	s_xor_b32 s1, s0, s9
	s_ashr_i32 s1, s1, 31
	v_readfirstlane_b32 s7, v2
	s_mul_i32 s5, s5, s7
	s_mul_hi_u32 s5, s7, s5
	s_add_i32 s7, s7, s5
	s_mul_hi_u32 s5, s6, s7
	s_mul_i32 s7, s5, s4
	s_sub_i32 s6, s6, s7
	s_add_i32 s8, s5, 1
	s_sub_i32 s7, s6, s4
	s_cmp_ge_u32 s6, s4
	s_cselect_b32 s5, s8, s5
	s_cselect_b32 s6, s7, s6
	s_add_i32 s7, s5, 1
	s_cmp_ge_u32 s6, s4
	s_cselect_b32 s4, s7, s5
	s_abs_i32 s5, s10
	v_cvt_f32_u32_e32 v2, s5
	s_xor_b32 s4, s4, s1
	s_sub_i32 s6, 0, s5
	s_sub_i32 s8, s4, s1
	v_rcp_iflag_f32_e32 v2, v2
	s_mul_i32 s1, s8, s9
	s_sub_i32 s1, s0, s1
	s_abs_i32 s4, s1
	v_mul_f32_e32 v2, 0x4f7ffffe, v2
	v_cvt_u32_f32_e32 v2, v2
	s_xor_b32 s0, s1, s10
	s_ashr_i32 s0, s0, 31
	v_readfirstlane_b32 s7, v2
	s_mul_i32 s6, s6, s7
	s_mul_hi_u32 s6, s7, s6
	s_add_i32 s7, s7, s6
	s_mul_hi_u32 s6, s4, s7
	s_mul_i32 s7, s6, s5
	s_sub_i32 s4, s4, s7
	s_add_i32 s9, s6, 1
	s_sub_i32 s7, s4, s5
	s_cmp_ge_u32 s4, s5
	s_cselect_b32 s6, s9, s6
	s_cselect_b32 s4, s7, s4
	s_add_i32 s7, s6, 1
	s_cmp_ge_u32 s4, s5
	s_cselect_b32 s4, s7, s6
	s_xor_b32 s4, s4, s0
	s_sub_i32 s0, s4, s0
	s_mul_i32 s4, s0, s10
	s_sub_i32 s1, s1, s4
	s_ashr_i32 s4, s1, 31
	v_readlane_b32 s5, v163, 7
	s_abs_i32 s1, s1
	s_xor_b32 s4, s4, s5
	s_mul_hi_u32 s5, s1, s56
	s_mul_i32 s6, s5, s99
	s_sub_i32 s1, s1, s6
	s_add_i32 s6, s5, 1
	s_sub_i32 s7, s1, s99
	s_cmp_ge_u32 s1, s99
	s_cselect_b32 s5, s6, s5
	s_cselect_b32 s1, s7, s1
	s_add_i32 s6, s5, 1
	s_cmp_ge_u32 s1, s99
	s_cselect_b32 s1, s6, s5
	s_abs_i32 s9, s30
	v_cvt_f32_u32_e32 v2, s9
	s_xor_b32 s1, s1, s4
	s_sub_i32 s10, 0, s9
	s_sub_i32 s1, s1, s4
	v_rcp_iflag_f32_e32 v2, v2
	s_cmp_eq_u64 s[46:47], 0
	v_mul_f32_e32 v2, 0x4f7ffffe, v2
	v_cvt_u32_f32_e32 v2, v2
	s_nop 0
	v_readfirstlane_b32 s12, v2
	s_cbranch_scc1 .LBB9_186
; %bb.185:
	v_readlane_b32 s4, v163, 0
	s_mul_i32 s4, s2, s4
	s_add_i32 s4, s1, s4
	s_ashr_i32 s5, s4, 31
	s_lshl_b64 s[4:5], s[4:5], 2
	s_add_u32 s4, s46, s4
	s_addc_u32 s5, s47, s5
	v_mov_b32_e32 v2, 0
	global_load_dword v2, v2, s[4:5]
	s_waitcnt vmcnt(0)
	v_ashrrev_i32_e32 v3, 31, v2
	v_lshrrev_b32_e32 v3, 26, v3
	v_add_u32_e32 v2, v2, v3
	v_ashrrev_i32_e32 v2, 6, v2
	v_min_i32_e32 v8, s33, v2
.LBB9_186:
	s_mul_i32 s4, s8, s3
	s_lshl_b32 s11, s0, 2
	s_add_i32 s0, s11, s4
	s_mul_i32 s4, s2, s35
	s_ashr_i32 s5, s4, 31
	s_add_u32 s4, s36, s4
	s_mul_i32 s0, s0, s34
	v_add_u32_e32 v43, v21, v53
	s_addc_u32 s5, s37, s5
	s_ashr_i32 s7, s0, 31
	v_and_b32_e32 v2, 3, v43
	s_add_u32 s6, s4, s0
	v_or_b32_e32 v3, s11, v2
	s_addc_u32 s7, s5, s7
	s_lshl_b32 s14, s1, 2
	v_cmp_gt_i32_e32 vcc, s3, v3
	v_cmp_le_i32_e64 s[0:1], s3, v3
	v_mad_u64_u32 v[2:3], s[4:5], s15, v2, v[20:21]
	v_lshrrev_b32_e32 v3, 2, v43
	v_add_u32_e32 v3, s14, v3
	v_cmp_le_i32_e64 s[4:5], s20, v3
	s_mul_i32 s10, s10, s12
	s_mov_b32 s13, 0x10001
	v_lshl_add_u32 v30, v20, 2, 0
	s_or_b64 s[0:1], s[4:5], s[0:1]
	s_and_saveexec_b64 s[4:5], s[0:1]
	s_xor_b64 s[0:1], exec, s[4:5]
; %bb.187:
	s_movk_i32 s4, 0xb0
	v_mad_u32_u24 v3, v43, s4, v30
	v_mov_b32_e32 v4, 0
	ds_write_b32 v3, v4
                                        ; implicit-def: $vgpr3
; %bb.188:
	s_or_saveexec_b64 s[0:1], s[0:1]
	s_mul_hi_u32 s4, s12, s10
	v_mul_lo_u32 v1, v1, s13
	s_xor_b64 exec, exec, s[0:1]
	s_cbranch_execz .LBB9_190
; %bb.189:
	v_readlane_b32 s5, v163, 4
	s_nop 1
	v_mad_u64_u32 v[4:5], s[16:17], v3, s5, v[2:3]
	v_ashrrev_i32_e32 v5, 31, v4
	v_lshl_add_u64 v[4:5], v[4:5], 3, s[6:7]
	global_load_dwordx2 v[4:5], v[4:5], off
	s_movk_i32 s5, 0xb0
	s_waitcnt vmcnt(0)
	v_cvt_pk_f16_f32 v3, v4, v5
	v_pk_mul_f16 v3, v3, v1
	v_mad_u32_u24 v4, v43, s5, v30
	ds_write_b32 v4, v3
.LBB9_190:
	s_or_b64 exec, exec, s[0:1]
	v_add_u32_e32 v3, 8, v43
	v_lshrrev_b32_e32 v4, 2, v3
	v_add_u32_e32 v4, s14, v4
	s_add_i32 s12, s12, s4
	v_cmp_le_i32_e64 s[0:1], s20, v4
	s_xor_b64 s[4:5], vcc, -1
	s_abs_i32 s10, s2
	s_or_b64 s[0:1], s[0:1], s[4:5]
	s_and_saveexec_b64 s[4:5], s[0:1]
	s_xor_b64 s[0:1], exec, s[4:5]
; %bb.191:
	s_movk_i32 s4, 0xb0
	v_mad_u32_u24 v2, v3, s4, v30
	v_mov_b32_e32 v3, 0
	ds_write_b32 v2, v3
                                        ; implicit-def: $vgpr2_vgpr3
                                        ; implicit-def: $vgpr4
                                        ; implicit-def: $vgpr3
; %bb.192:
	s_or_saveexec_b64 s[0:1], s[0:1]
	s_mul_hi_u32 s12, s10, s12
	v_and_b32_e32 v31, 0x3ff, v0
	s_xor_b64 exec, exec, s[0:1]
	s_cbranch_execz .LBB9_194
; %bb.193:
	v_readlane_b32 s4, v163, 4
	s_nop 1
	v_mad_u64_u32 v[4:5], s[4:5], v4, s4, v[2:3]
	v_ashrrev_i32_e32 v5, 31, v4
	v_lshl_add_u64 v[4:5], v[4:5], 3, s[6:7]
	global_load_dwordx2 v[4:5], v[4:5], off
	s_movk_i32 s4, 0xb0
	v_mad_u32_u24 v2, v3, s4, v30
	s_waitcnt vmcnt(0)
	v_cvt_pk_f16_f32 v0, v4, v5
	v_pk_mul_f16 v0, v0, v1
	ds_write_b32 v2, v0
.LBB9_194:
	s_or_b64 exec, exec, s[0:1]
	v_lshrrev_b32_e32 v32, 3, v31
	v_lshl_add_u32 v44, v51, 3, v32
	s_ashr_i32 s13, s2, 31
	v_cmp_gt_u32_e32 vcc, 16, v44
	s_and_saveexec_b64 s[4:5], vcc
	s_cbranch_execz .LBB9_199
; %bb.195:
	v_lshrrev_b32_e32 v2, 2, v44
	v_and_b32_e32 v0, 3, v32
	v_or_b32_e32 v2, s14, v2
	v_or_b32_e32 v3, s11, v0
	v_cmp_le_i32_e32 vcc, s20, v2
	v_cmp_le_i32_e64 s[0:1], s3, v3
	s_or_b64 s[0:1], vcc, s[0:1]
	s_and_saveexec_b64 s[16:17], s[0:1]
	s_xor_b64 s[0:1], exec, s[16:17]
	s_cbranch_execz .LBB9_197
; %bb.196:
	v_and_b32_e32 v1, 7, v31
	v_mul_u32_u24_e32 v0, 0xb0, v44
	v_lshlrev_b32_e32 v1, 2, v1
	v_add3_u32 v0, 0, v0, v1
	v_mov_b32_e32 v1, 0
	ds_write_b32 v0, v1 offset:128
                                        ; implicit-def: $vgpr2
                                        ; implicit-def: $vgpr0
                                        ; implicit-def: $vgpr1
.LBB9_197:
	s_andn2_saveexec_b64 s[0:1], s[0:1]
	s_cbranch_execz .LBB9_199
; %bb.198:
	v_readlane_b32 s0, v163, 4
	s_nop 1
	v_mul_lo_u32 v3, v2, s0
	v_and_b32_e32 v2, 7, v31
	v_mad_u64_u32 v[4:5], s[0:1], s15, v0, v[2:3]
	v_add3_u32 v4, v4, v3, 32
	v_ashrrev_i32_e32 v5, 31, v4
	v_lshl_add_u64 v[4:5], v[4:5], 3, s[6:7]
	global_load_dwordx2 v[4:5], v[4:5], off
	v_mul_u32_u24_e32 v0, 0xb0, v44
	v_lshlrev_b32_e32 v2, 2, v2
	v_add3_u32 v0, 0, v0, v2
	s_waitcnt vmcnt(0)
	v_cvt_pk_f16_f32 v3, v4, v5
	v_pk_mul_f16 v1, v3, v1
	ds_write_b32 v0, v1 offset:128
.LBB9_199:
	s_or_b64 exec, exec, s[4:5]
	s_mul_hi_u32 s0, s24, s2
	s_mul_i32 s1, s24, s13
	s_add_i32 s0, s0, s1
	s_mul_i32 s1, s25, s2
	v_readlane_b32 s4, v163, 5
	s_add_i32 s0, s0, s1
	s_mul_i32 s1, s24, s2
	v_readlane_b32 s5, v163, 6
	s_add_u32 s1, s38, s1
	s_mul_i32 s3, s8, s5
	s_addc_u32 s0, s39, s0
	s_ashr_i32 s4, s3, 31
	s_add_u32 s15, s1, s3
	s_mul_i32 s12, s12, s9
	s_addc_u32 s16, s0, s4
	s_sub_i32 s0, s10, s12
	s_sub_i32 s1, s0, s9
	s_cmp_ge_u32 s0, s9
	s_cselect_b32 s0, s1, s0
	s_sub_i32 s1, s0, s9
	s_cmp_ge_u32 s0, s9
	s_cselect_b32 s0, s1, s0
	s_xor_b32 s0, s0, s13
	s_sub_i32 s0, s0, s13
	s_ashr_i32 s1, s0, 31
	s_mul_i32 s1, s54, s1
	s_mul_hi_u32 s3, s54, s0
	s_add_i32 s1, s3, s1
	s_mul_i32 s3, s55, s0
	s_add_i32 s1, s1, s3
	s_mul_i32 s0, s54, s0
	s_add_u32 s6, s42, s0
	s_addc_u32 s7, s43, s1
	s_mul_hi_u32 s0, s52, s2
	s_mul_i32 s1, s52, s13
	s_add_i32 s0, s0, s1
	s_mul_i32 s1, s53, s2
	s_add_i32 s0, s0, s1
	s_mul_i32 s1, s52, s2
	s_add_u32 s1, s40, s1
	s_mul_i32 s8, s8, s27
	s_addc_u32 s0, s41, s0
	s_ashr_i32 s3, s8, 31
	s_add_u32 s2, s1, s8
	v_and_b32_e32 v9, 0xff0, v57
	s_movk_i32 s8, 0xb0
	v_and_b32_e32 v34, 15, v31
	v_and_b32_e32 v1, 0x7e, v32
	v_mad_u32_u24 v0, v9, s8, 0
	v_mul_u32_u24_e32 v45, 0xb0, v34
	v_lshlrev_b32_e32 v33, 2, v1
	v_add3_u32 v10, v0, v45, v33
	s_waitcnt lgkmcnt(0)
	s_barrier
	ds_read2_b64 v[4:7], v10 offset1:4
	ds_read2_b64 v[0:3], v10 offset0:8 offset1:12
	ds_read_b64 v[10:11], v10 offset:128
	v_add_u32_e32 v61, -1, v8
	v_cmp_ge_i32_e32 vcc, s90, v61
	v_mul_lo_u32 v14, s22, v44
	v_mul_lo_u32 v8, s18, v44
	s_addc_u32 s3, s0, s3
	s_and_b64 vcc, exec, vcc
	v_cmp_gt_u32_e64 s[0:1], 4, v43
	v_lshlrev_b32_e32 v56, 2, v31
	v_lshrrev_b32_e32 v58, 1, v31
	v_ashrrev_i32_e32 v15, 31, v14
	v_add_u32_e32 v42, 32, v44
	v_lshl_add_u32 v12, s22, 5, v14
	v_lshrrev_b32_e32 v52, 2, v31
	v_and_or_b32 v54, v31, 12, v9
	v_lshlrev_b32_e32 v35, 1, v32
	v_ashrrev_i32_e32 v9, 31, v8
	v_lshlrev_b32_e32 v23, 1, v34
	s_waitcnt lgkmcnt(0)
	s_barrier
	s_cbranch_vccnz .LBB9_210
; %bb.200:
	v_add_u32_e32 v13, s14, v43
	v_mul_hi_u32 v16, s28, v13
	v_add_u32_e32 v16, v13, v16
	v_lshrrev_b32_e32 v16, s29, v16
	v_mul_lo_u32 v16, v16, s20
	v_sub_u32_e32 v13, v13, v16
	v_mul_u32_u24_e32 v17, 0x90, v43
	v_and_b32_e32 v16, 0x7c, v56
	v_mad_i64_i32 v[18:19], s[4:5], v13, s66, 0
	v_add3_u32 v62, 0, v17, v16
	v_lshl_add_u64 v[18:19], v[18:19], 1, s[6:7]
	v_mov_b32_e32 v17, 0
	v_lshl_add_u64 v[18:19], v[18:19], 0, v[16:17]
	v_and_b32_e32 v16, 28, v56
	v_mul_u32_u24_e32 v13, 0xb0, v44
	v_lshlrev_b32_e32 v22, 2, v16
	v_lshl_add_u32 v26, v51, 5, v58
	v_add3_u32 v63, 0, v13, v22
	v_and_b32_e32 v27, 48, v55
	v_and_b32_e32 v22, 4, v56
	v_mad_u32_u24 v36, v27, s8, 0
	v_mad_u32_u24 v28, v26, s8, 0
	v_lshlrev_b32_e32 v29, 2, v22
	s_movk_i32 s8, 0x80
	v_add3_u32 v66, v28, v29, s8
	v_and_b32_e32 v29, 0xfc, v52
	v_add_u16_e32 v27, v27, v29
	v_lshrrev_b32_e32 v28, 2, v54
	v_lshrrev_b16_e32 v27, 1, v27
	v_mul_u32_u24_e32 v28, 0x90, v28
	v_lshlrev_b32_e32 v27, 2, v27
	v_add3_u32 v37, 0, v28, v27
	v_mbcnt_hi_u32_b32 v27, -1, v59
	v_and_b32_e32 v28, 64, v27
	v_add_u32_e32 v28, 64, v28
	v_xor_b32_e32 v29, 32, v27
	v_cmp_lt_i32_e32 vcc, v29, v28
	v_cmp_gt_u32_e64 s[4:5], 64, v26
	v_mul_lo_u32 v24, s22, v26
	v_cndmask_b32_e32 v29, v27, v29, vcc
	v_lshlrev_b32_e32 v67, 2, v29
	v_xor_b32_e32 v29, 16, v27
	v_cmp_lt_i32_e32 vcc, v29, v28
	v_or_b32_e32 v28, 3, v35
	v_mul_u32_u24_e32 v38, 0xb0, v28
	v_or_b32_e32 v28, 2, v35
	v_mul_u32_u24_e32 v39, 0xb0, v28
	v_and_b32_e32 v28, 0xfc, v35
	v_cndmask_b32_e32 v27, v27, v29, vcc
	v_mul_lo_u32 v26, s18, v26
	v_mul_u32_u24_e32 v40, 0xb0, v28
	v_mul_lo_u32 v28, s18, v42
	v_add_u32_e32 v64, 0x1600, v63
	v_ashrrev_i32_e32 v13, 31, v12
	v_add3_u32 v65, v36, v45, v33
	v_ashrrev_i32_e32 v25, 31, v24
	v_lshlrev_b32_e32 v68, 2, v27
	v_ashrrev_i32_e32 v27, 31, v26
	v_ashrrev_i32_e32 v29, 31, v28
	v_add3_u32 v69, v36, v40, v23
	v_add3_u32 v70, v36, v39, v23
	;; [unrolled: 1-line block ×3, first 2 shown]
	s_lshl_b32 s8, s90, 6
	v_mov_b32_e32 v60, 0xfeffffff
	v_lshlrev_b32_e32 v16, 2, v16
	v_add_u32_e32 v72, 0x2c00, v37
	s_mov_b32 s17, 0x3fb8aa3b
	s_mov_b32 s19, 0xc2ce8ed0
	;; [unrolled: 1-line block ×5, first 2 shown]
	v_mov_b32_e32 v73, 0x7f800000
	v_mov_b32_e32 v74, v17
	;; [unrolled: 1-line block ×12, first 2 shown]
	s_ashr_i32 s9, s8, 31
	s_and_saveexec_b64 s[10:11], s[0:1]
	s_cbranch_execz .LBB9_202
.LBB9_201:
	v_lshl_add_u64 v[76:77], s[8:9], 1, v[18:19]
	global_load_dword v50, v[76:77], off
	s_waitcnt vmcnt(0)
	ds_write_b32 v62, v50 offset:11264
.LBB9_202:                              ; =>This Inner Loop Header: Depth=1
	s_or_b64 exec, exec, s[10:11]
	s_mul_hi_i32 s11, s8, s22
	s_mul_i32 s10, s8, s22
	s_lshl_b64 s[10:11], s[10:11], 2
	s_add_u32 s10, s15, s10
	s_addc_u32 s11, s16, s11
	s_and_saveexec_b64 s[12:13], s[4:5]
	s_cbranch_execz .LBB9_204
; %bb.203:                              ;   in Loop: Header=BB9_202 Depth=1
	v_lshl_add_u64 v[76:77], v[24:25], 2, s[10:11]
	v_lshlrev_b32_e32 v78, 2, v22
	v_mov_b32_e32 v79, v17
	v_lshl_add_u64 v[76:77], v[76:77], 0, v[78:79]
	global_load_dwordx4 v[76:79], v[76:77], off offset:128
	s_waitcnt vmcnt(0)
	ds_write_b128 v66, v[76:79]
.LBB9_204:                              ;   in Loop: Header=BB9_202 Depth=1
	s_or_b64 exec, exec, s[12:13]
	v_lshl_add_u64 v[76:77], v[14:15], 2, s[10:11]
	v_lshl_add_u64 v[84:85], v[76:77], 0, v[16:17]
	;; [unrolled: 1-line block ×4, first 2 shown]
	global_load_dwordx4 v[76:79], v[84:85], off
	global_load_dwordx4 v[80:83], v[86:87], off
	s_mul_hi_i32 s11, s8, s18
	s_mul_i32 s10, s8, s18
	s_lshl_b64 s[10:11], s[10:11], 2
	s_add_u32 s10, s2, s10
	s_addc_u32 s11, s3, s11
	s_waitcnt vmcnt(1)
	ds_write_b128 v63, v[76:79]
	s_waitcnt vmcnt(0)
	ds_write_b128 v64, v[80:83]
	s_waitcnt lgkmcnt(0)
	s_barrier
	ds_read2_b64 v[76:79], v65 offset1:4
	ds_read2_b64 v[84:87], v65 offset0:8 offset1:12
	ds_read_b64 v[88:89], v65 offset:128
	s_waitcnt lgkmcnt(0)
	v_mfma_f32_16x16x16_f16 v[80:83], v[76:77], v[4:5], 0
	s_barrier
	v_mfma_f32_16x16x16_f16 v[76:79], v[78:79], v[6:7], v[80:83]
	v_mfma_f32_16x16x16_f16 v[76:79], v[84:85], v[0:1], v[76:79]
	s_nop 4
	ds_read2_b32 v[80:81], v72 offset1:1
	s_waitcnt lgkmcnt(0)
	v_cvt_f32_f16_e32 v50, v80
	v_mfma_f32_16x16x16_f16 v[76:79], v[86:87], v[2:3], v[76:79]
	v_cvt_f32_f16_sdwa v75, v80 dst_sel:DWORD dst_unused:UNUSED_PAD src0_sel:WORD_1
	v_cvt_f32_f16_e32 v82, v81
	v_cvt_f32_f16_sdwa v83, v81 dst_sel:DWORD dst_unused:UNUSED_PAD src0_sel:WORD_1
	v_mfma_f32_16x16x16_f16 v[78:81], v[88:89], v[10:11], v[76:79]
	s_nop 7
	v_add_f32_e32 v78, v78, v50
	v_add_f32_e32 v77, v79, v75
	;; [unrolled: 1-line block ×8, first 2 shown]
	v_max3_f32 v50, v60, v50, v79
	v_max3_f32 v50, v50, v80, v81
	ds_bpermute_b32 v79, v67, v50
	s_waitcnt lgkmcnt(0)
	v_max_f32_e32 v79, v79, v79
	v_max_f32_e32 v50, v50, v79
	ds_bpermute_b32 v79, v68, v50
	s_and_saveexec_b64 s[12:13], s[4:5]
	s_cbranch_execz .LBB9_206
; %bb.205:                              ;   in Loop: Header=BB9_202 Depth=1
	v_lshl_add_u64 v[80:81], v[26:27], 2, s[10:11]
	v_lshlrev_b32_e32 v82, 2, v22
	v_mov_b32_e32 v83, v17
	v_lshl_add_u64 v[80:81], v[80:81], 0, v[82:83]
	global_load_dwordx4 v[80:83], v[80:81], off offset:128
	s_waitcnt vmcnt(0)
	ds_write_b128 v66, v[80:83]
.LBB9_206:                              ;   in Loop: Header=BB9_202 Depth=1
	s_or_b64 exec, exec, s[12:13]
	s_waitcnt lgkmcnt(0)
	v_max_f32_e32 v79, v79, v79
	v_max_f32_e32 v50, v50, v50
	;; [unrolled: 1-line block ×3, first 2 shown]
	v_sub_f32_e32 v90, v78, v50
	v_lshl_add_u64 v[78:79], v[8:9], 2, s[10:11]
	v_lshl_add_u64 v[86:87], v[78:79], 0, v[16:17]
	;; [unrolled: 1-line block ×4, first 2 shown]
	global_load_dwordx4 v[78:81], v[86:87], off
	global_load_dwordx4 v[82:85], v[88:89], off
	v_mul_f32_e32 v91, 0x3fb8aa3b, v90
	v_fma_f32 v92, v90, s17, -v91
	v_rndne_f32_e32 v86, v91
	v_fmac_f32_e32 v92, 0x32a5705f, v90
	v_sub_f32_e32 v87, v91, v86
	v_add_f32_e32 v87, v87, v92
	v_exp_f32_e32 v87, v87
	v_cvt_i32_f32_e32 v86, v86
	v_sub_f32_e32 v77, v77, v50
	v_sub_f32_e32 v76, v76, v50
	v_cmp_ngt_f32_e32 vcc, s19, v90
	v_ldexp_f32 v86, v87, v86
	v_mul_f32_e32 v87, 0x3fb8aa3b, v77
	v_fma_f32 v88, v77, s17, -v87
	v_rndne_f32_e32 v89, v87
	v_fmac_f32_e32 v88, 0x32a5705f, v77
	v_sub_f32_e32 v87, v87, v89
	v_add_f32_e32 v87, v87, v88
	v_exp_f32_e32 v87, v87
	v_cvt_i32_f32_e32 v88, v89
	v_cndmask_b32_e32 v86, 0, v86, vcc
	v_cmp_nlt_f32_e32 vcc, s21, v90
	v_sub_f32_e32 v75, v75, v50
	v_ldexp_f32 v87, v87, v88
	v_mul_f32_e32 v88, 0x3fb8aa3b, v76
	v_fma_f32 v89, v76, s17, -v88
	v_rndne_f32_e32 v90, v88
	v_fmac_f32_e32 v89, 0x32a5705f, v76
	v_sub_f32_e32 v88, v88, v90
	v_add_f32_e32 v88, v88, v89
	v_exp_f32_e32 v88, v88
	v_cvt_i32_f32_e32 v89, v90
	v_cndmask_b32_e32 v86, v73, v86, vcc
	v_cmp_ngt_f32_e32 vcc, s19, v77
	v_sub_f32_e32 v60, v60, v50
	s_add_i32 s90, s90, 1
	v_cndmask_b32_e32 v87, 0, v87, vcc
	v_cmp_nlt_f32_e32 vcc, s21, v77
	v_ldexp_f32 v77, v88, v89
	v_mul_f32_e32 v88, 0x3fb8aa3b, v75
	v_fma_f32 v89, v75, s17, -v88
	v_rndne_f32_e32 v90, v88
	v_fmac_f32_e32 v89, 0x32a5705f, v75
	v_sub_f32_e32 v88, v88, v90
	v_add_f32_e32 v88, v88, v89
	v_cvt_i32_f32_e32 v89, v90
	v_mul_f32_e32 v90, 0x3fb8aa3b, v60
	v_fma_f32 v91, v60, s17, -v90
	v_rndne_f32_e32 v92, v90
	v_fmac_f32_e32 v91, 0x32a5705f, v60
	v_sub_f32_e32 v90, v90, v92
	v_add_f32_e32 v90, v90, v91
	v_exp_f32_e32 v90, v90
	v_cvt_i32_f32_e32 v91, v92
	v_cndmask_b32_e32 v87, v73, v87, vcc
	v_cmp_ngt_f32_e32 vcc, s19, v76
	v_exp_f32_e32 v88, v88
	s_add_i32 s8, s8, 64
	v_cndmask_b32_e32 v77, 0, v77, vcc
	v_cmp_nlt_f32_e32 vcc, s21, v76
	v_ldexp_f32 v76, v88, v89
	s_waitcnt vmcnt(1)
	ds_write_b128 v63, v[78:81]
	s_waitcnt vmcnt(0)
	ds_write_b128 v64, v[82:85]
	v_cndmask_b32_e32 v92, v73, v77, vcc
	v_ldexp_f32 v77, v90, v91
	v_cmp_ngt_f32_e32 vcc, s19, v60
	s_waitcnt lgkmcnt(0)
	s_barrier
	v_cndmask_b32_e32 v77, 0, v77, vcc
	v_cmp_nlt_f32_e32 vcc, s21, v60
	s_nop 1
	v_cndmask_b32_e32 v77, v73, v77, vcc
	v_cmp_le_f32_e32 vcc, s23, v60
	s_nop 1
	v_cndmask_b32_e32 v90, 0, v77, vcc
	v_cvt_f16_f32_e32 v60, v90
	v_cmp_ngt_f32_e32 vcc, s19, v75
	v_mul_u32_u24_e32 v60, 0x10001, v60
	v_pk_mul_f16 v91, v47, v60
	v_pk_mul_f16 v93, v46, v60
	ds_read_u16 v46, v70
	ds_read_u16 v80, v70 offset:32
	ds_read_u16 v47, v71
	ds_read_u16 v82, v70 offset:64
	ds_read_u16 v84, v70 offset:96
	;; [unrolled: 1-line block ×4, first 2 shown]
	v_cndmask_b32_e32 v76, 0, v76, vcc
	v_cmp_nlt_f32_e32 vcc, s21, v75
	s_waitcnt lgkmcnt(4)
	v_perm_b32 v77, v47, v46, s24
	ds_read_u16 v46, v69 offset:176
	ds_read_u16 v47, v69
	ds_read_u16 v83, v69 offset:32
	ds_read_u16 v85, v69 offset:208
	;; [unrolled: 1-line block ×7, first 2 shown]
	v_cndmask_b32_e32 v75, v73, v76, vcc
	v_pk_mul_f16 v49, v49, v60
	v_pk_mul_f16 v88, v48, v60
	s_waitcnt lgkmcnt(7)
	v_perm_b32 v76, v46, v47, s24
	v_cvt_f32_f16_e32 v46, v49
	v_cvt_f32_f16_sdwa v47, v49 dst_sel:DWORD dst_unused:UNUSED_PAD src0_sel:WORD_1
	v_cvt_f32_f16_e32 v48, v88
	v_cvt_f32_f16_sdwa v49, v88 dst_sel:DWORD dst_unused:UNUSED_PAD src0_sel:WORD_1
	v_cvt_pk_f16_f32 v89, v92, v75
	v_cvt_pk_f16_f32 v88, v86, v87
	s_waitcnt lgkmcnt(0)
	v_perm_b32 v81, v81, v80, s24
	v_perm_b32 v80, v85, v83, s24
	v_mfma_f32_16x16x16_f16 v[76:79], v[76:77], v[88:89], v[46:49]
	ds_read_u16 v100, v71 offset:64
	ds_read_u16 v101, v71 offset:96
	;; [unrolled: 1-line block ×3, first 2 shown]
	v_cvt_f32_f16_e32 v46, v91
	v_cvt_f32_f16_sdwa v47, v91 dst_sel:DWORD dst_unused:UNUSED_PAD src0_sel:WORD_1
	v_cvt_f32_f16_e32 v48, v93
	v_cvt_f32_f16_sdwa v49, v93 dst_sel:DWORD dst_unused:UNUSED_PAD src0_sel:WORD_1
	ds_read_u16 v91, v69 offset:272
	v_pk_mul_f16 v83, v41, v60
	v_pk_mul_f16 v85, v40, v60
	s_waitcnt lgkmcnt(3)
	v_perm_b32 v41, v100, v82, s24
	v_perm_b32 v40, v97, v96, s24
	v_mfma_f32_16x16x16_f16 v[46:49], v[80:81], v[88:89], v[46:49]
	v_cvt_f32_f16_e32 v80, v83
	v_cvt_f32_f16_sdwa v81, v83 dst_sel:DWORD dst_unused:UNUSED_PAD src0_sel:WORD_1
	v_cvt_f32_f16_e32 v82, v85
	v_cvt_f32_f16_sdwa v83, v85 dst_sel:DWORD dst_unused:UNUSED_PAD src0_sel:WORD_1
	v_pk_mul_f16 v39, v39, v60
	v_pk_mul_f16 v93, v38, v60
	s_waitcnt lgkmcnt(2)
	v_perm_b32 v85, v101, v84, s24
	s_waitcnt lgkmcnt(0)
	v_perm_b32 v84, v91, v98, s24
	v_mfma_f32_16x16x16_f16 v[80:83], v[40:41], v[88:89], v[80:83]
	v_cvt_f32_f16_e32 v38, v39
	v_cvt_f32_f16_sdwa v39, v39 dst_sel:DWORD dst_unused:UNUSED_PAD src0_sel:WORD_1
	v_cvt_f32_f16_e32 v40, v93
	v_cvt_f32_f16_sdwa v41, v93 dst_sel:DWORD dst_unused:UNUSED_PAD src0_sel:WORD_1
	v_add_f32_e32 v91, v86, v87
	v_pk_mul_f16 v37, v37, v60
	v_pk_mul_f16 v60, v36, v60
	v_mfma_f32_16x16x16_f16 v[84:87], v[84:85], v[88:89], v[38:41]
	v_cvt_f32_f16_e32 v36, v37
	v_cvt_f32_f16_sdwa v37, v37 dst_sel:DWORD dst_unused:UNUSED_PAD src0_sel:WORD_1
	v_cmp_lt_i32_e32 vcc, s90, v61
	v_perm_b32 v41, v102, v94, s24
	v_perm_b32 v40, v95, v99, s24
	v_cvt_f32_f16_e32 v38, v60
	v_cvt_f32_f16_sdwa v39, v60 dst_sel:DWORD dst_unused:UNUSED_PAD src0_sel:WORD_1
	v_add_f32_e32 v60, v92, v91
	v_add_f32_e32 v60, v75, v60
	v_fmac_f32_e32 v60, v74, v90
	v_mfma_f32_16x16x16_f16 v[88:91], v[40:41], v[88:89], v[36:39]
	v_cvt_pk_f16_f32 v47, v46, v47
	v_cvt_pk_f16_f32 v46, v48, v49
	;; [unrolled: 1-line block ×10, first 2 shown]
	s_barrier
	s_cbranch_vccz .LBB9_211
; %bb.207:                              ;   in Loop: Header=BB9_202 Depth=1
	v_mov_b32_e32 v74, v60
	v_mov_b32_e32 v60, v50
	s_ashr_i32 s9, s8, 31
	s_and_saveexec_b64 s[10:11], s[0:1]
	s_cbranch_execnz .LBB9_201
	s_branch .LBB9_202
.LBB9_208:
                                        ; implicit-def: $sgpr58_sgpr59
	s_load_dwordx2 s[34:35], s[0:1], 0x74
	v_cvt_f32_u32_e32 v1, s60
	s_branch .LBB9_2
.LBB9_209:
                                        ; implicit-def: $sgpr62_sgpr63
	s_load_dwordx2 s[28:29], s[0:1], 0x5c
	s_branch .LBB9_5
.LBB9_210:
	v_mov_b32_e32 v50, 0xfeffffff
	v_mov_b32_e32 v60, 0
	;; [unrolled: 1-line block ×12, first 2 shown]
.LBB9_211:
	s_lshl_b32 s4, s90, 6
	s_ashr_i32 s5, s4, 31
	v_cmp_gt_u32_e32 vcc, 4, v43
	s_and_saveexec_b64 s[0:1], vcc
	s_cbranch_execz .LBB9_213
; %bb.212:
	v_or_b32_e32 v13, s14, v43
	v_mul_hi_u32 v16, s28, v13
	v_add_u32_e32 v16, v13, v16
	v_lshrrev_b32_e32 v16, s29, v16
	s_lshl_b64 s[8:9], s[4:5], 1
	v_mul_lo_u32 v16, v16, s20
	s_add_u32 s6, s6, s8
	v_sub_u32_e32 v13, v13, v16
	s_addc_u32 s7, s7, s9
	v_mad_i64_i32 v[18:19], s[8:9], v13, s66, 0
	v_and_b32_e32 v16, 0x7c, v56
	v_lshl_add_u64 v[18:19], v[18:19], 1, s[6:7]
	v_mov_b32_e32 v17, 0
	v_lshl_add_u64 v[18:19], v[18:19], 0, v[16:17]
	global_load_dword v13, v[18:19], off
	v_mul_u32_u24_e32 v17, 0x90, v43
	v_add3_u32 v16, 0, v17, v16
	s_waitcnt vmcnt(0)
	ds_write_b32 v16, v13 offset:11264
.LBB9_213:
	s_or_b64 exec, exec, s[0:1]
	s_mul_hi_i32 s1, s4, s22
	s_mul_i32 s0, s4, s22
	s_lshl_b64 s[0:1], s[0:1], 2
	s_add_u32 s6, s15, s0
	v_lshl_add_u32 v22, v51, 5, v58
	s_addc_u32 s7, s16, s1
	v_cmp_gt_u32_e32 vcc, 64, v22
	v_cmp_lt_u32_e64 s[0:1], 63, v22
                                        ; implicit-def: $vgpr24
                                        ; implicit-def: $vgpr18
	s_and_saveexec_b64 s[8:9], s[0:1]
	s_xor_b64 s[0:1], exec, s[8:9]
; %bb.214:
	v_mul_u32_u24_e32 v24, 0xb0, v22
	v_and_or_b32 v18, v56, 4, 32
	v_mov_b32_e32 v19, 0
; %bb.215:
	s_andn2_saveexec_b64 s[0:1], s[0:1]
	s_cbranch_execz .LBB9_217
; %bb.216:
	v_mul_lo_u32 v16, s22, v22
	v_ashrrev_i32_e32 v17, 31, v16
	v_and_b32_e32 v13, 4, v56
	v_mov_b32_e32 v19, 0
	v_lshl_add_u64 v[16:17], v[16:17], 2, s[6:7]
	v_lshlrev_b32_e32 v62, 2, v13
	v_mov_b32_e32 v63, v19
	v_lshl_add_u64 v[16:17], v[16:17], 0, v[62:63]
	global_load_dwordx4 v[26:29], v[16:17], off offset:128
	v_mul_u32_u24_e32 v24, 0xb0, v22
	v_or_b32_e32 v18, 32, v13
	v_add3_u32 v13, 0, v24, v62
	s_waitcnt vmcnt(0)
	ds_write_b128 v13, v[26:29] offset:128
.LBB9_217:
	s_or_b64 exec, exec, s[0:1]
	v_and_b32_e32 v13, 28, v56
	v_mov_b32_e32 v17, 0
	v_lshlrev_b32_e32 v16, 2, v13
	v_lshl_add_u64 v[14:15], v[14:15], 2, s[6:7]
	v_ashrrev_i32_e32 v13, 31, v12
	v_lshl_add_u64 v[14:15], v[14:15], 0, v[16:17]
	v_lshl_add_u64 v[12:13], v[12:13], 2, s[6:7]
	;; [unrolled: 1-line block ×3, first 2 shown]
	global_load_dwordx4 v[26:29], v[14:15], off
	global_load_dwordx4 v[62:65], v[12:13], off
	s_movk_i32 s0, 0xb0
	v_and_b32_e32 v14, 48, v55
	v_mul_u32_u24_e32 v13, 0xb0, v44
	v_mad_u32_u24 v12, v14, s0, 0
	v_add3_u32 v13, 0, v13, v16
	v_add3_u32 v44, v12, v45, v33
	v_and_b32_e32 v25, 0xfc, v52
	v_add_u16_e32 v14, v14, v25
	v_lshrrev_b32_e32 v15, 2, v54
	s_movk_i32 s1, 0x90
	v_mbcnt_hi_u32_b32 v43, -1, v59
	v_lshrrev_b16_e32 v14, 1, v14
	s_movk_i32 s5, 0x2c00
	v_mad_u32_u24 v15, v15, s1, 0
	v_and_b32_e32 v25, 64, v43
	v_lshlrev_b32_e32 v14, 2, v14
	v_add_u32_e32 v54, 64, v25
	v_add3_u32 v25, v15, v14, s5
	v_xor_b32_e32 v45, 32, v43
	v_cmp_lt_i32_e64 s[0:1], v45, v54
	v_xor_b32_e32 v52, 16, v43
	s_waitcnt vmcnt(1)
	ds_write_b128 v13, v[26:29]
	s_waitcnt vmcnt(0)
	ds_write_b128 v13, v[62:65] offset:5632
	s_waitcnt lgkmcnt(0)
	s_barrier
	ds_read2_b64 v[26:29], v44 offset1:4
	ds_read2_b64 v[62:65], v44 offset0:8 offset1:12
	s_waitcnt lgkmcnt(1)
	v_mfma_f32_16x16x16_f16 v[66:69], v[26:27], v[4:5], 0
	ds_read_b64 v[14:15], v44 offset:128
	s_waitcnt lgkmcnt(0)
	s_barrier
	v_mfma_f32_16x16x16_f16 v[4:7], v[28:29], v[6:7], v[66:69]
	ds_read2_b32 v[26:27], v25 offset1:1
	s_waitcnt lgkmcnt(0)
	v_cvt_f32_f16_e32 v28, v26
	v_mfma_f32_16x16x16_f16 v[4:7], v[62:63], v[0:1], v[4:7]
	v_cndmask_b32_e64 v0, v43, v45, s[0:1]
	v_lshlrev_b32_e32 v25, 2, v0
	v_cvt_f32_f16_sdwa v26, v26 dst_sel:DWORD dst_unused:UNUSED_PAD src0_sel:WORD_1
	v_mfma_f32_16x16x16_f16 v[0:3], v[64:65], v[2:3], v[4:7]
	v_cvt_f32_f16_e32 v29, v27
	v_cvt_f32_f16_sdwa v27, v27 dst_sel:DWORD dst_unused:UNUSED_PAD src0_sel:WORD_1
	v_cmp_lt_i32_e64 s[0:1], v52, v54
	v_mfma_f32_16x16x16_f16 v[4:7], v[14:15], v[10:11], v[0:3]
	s_nop 7
	v_add_f32_e32 v4, v4, v28
	v_add_f32_e32 v3, v5, v26
	;; [unrolled: 1-line block ×8, first 2 shown]
	v_max3_f32 v0, v50, v0, v5
	v_max3_f32 v5, v0, v6, v7
	ds_bpermute_b32 v6, v25, v5
	v_cndmask_b32_e64 v7, v43, v52, s[0:1]
	v_lshlrev_b32_e32 v26, 2, v7
	s_mul_hi_i32 s1, s4, s18
	s_mul_i32 s0, s4, s18
	s_waitcnt lgkmcnt(0)
	v_max_f32_e32 v6, v6, v6
	v_max_f32_e32 v5, v5, v6
	ds_bpermute_b32 v6, v26, v5
	s_lshl_b64 s[0:1], s[0:1], 2
	s_add_u32 s0, s2, s0
	v_add_u32_e32 v0, 0x1600, v13
	s_addc_u32 s1, s3, s1
	s_and_saveexec_b64 s[4:5], vcc
	s_cbranch_execz .LBB9_219
; %bb.218:
	v_mul_lo_u32 v10, s18, v22
	v_ashrrev_i32_e32 v11, 31, v10
	v_lshl_add_u64 v[10:11], v[10:11], 2, s[0:1]
	v_lshl_add_u64 v[10:11], v[18:19], 2, v[10:11]
	global_load_dwordx4 v[62:65], v[10:11], off
	v_lshlrev_b32_e32 v7, 2, v18
	v_add3_u32 v7, 0, v24, v7
	s_waitcnt vmcnt(0)
	ds_write_b128 v7, v[62:65]
.LBB9_219:
	s_or_b64 exec, exec, s[4:5]
	s_waitcnt lgkmcnt(0)
	v_max_f32_e32 v6, v6, v6
	v_max_f32_e32 v5, v5, v5
	;; [unrolled: 1-line block ×3, first 2 shown]
	v_sub_f32_e32 v18, v4, v22
	s_mov_b32 s2, 0x3fb8aa3b
	v_mul_f32_e32 v4, 0x3fb8aa3b, v18
	v_fma_f32 v5, v18, s2, -v4
	v_rndne_f32_e32 v6, v4
	v_fmac_f32_e32 v5, 0x32a5705f, v18
	v_sub_f32_e32 v4, v4, v6
	v_add_f32_e32 v4, v4, v5
	v_exp_f32_e32 v4, v4
	v_cvt_i32_f32_e32 v5, v6
	v_lshl_add_u64 v[6:7], v[8:9], 2, s[0:1]
	v_lshl_add_u64 v[14:15], v[6:7], 0, v[16:17]
	v_sub_f32_e32 v3, v3, v22
	v_ldexp_f32 v19, v4, v5
	v_mul_lo_u32 v4, s18, v42
	v_ashrrev_i32_e32 v5, 31, v4
	v_lshl_add_u64 v[4:5], v[4:5], 2, s[0:1]
	v_lshl_add_u64 v[16:17], v[4:5], 0, v[16:17]
	global_load_dwordx4 v[4:7], v[14:15], off
	global_load_dwordx4 v[8:11], v[16:17], off
	v_mul_f32_e32 v15, 0x3fb8aa3b, v3
	v_fma_f32 v16, v3, s2, -v15
	v_rndne_f32_e32 v17, v15
	v_fmac_f32_e32 v16, 0x32a5705f, v3
	v_sub_f32_e32 v15, v15, v17
	v_add_f32_e32 v15, v15, v16
	v_exp_f32_e32 v15, v15
	v_cvt_i32_f32_e32 v16, v17
	s_mov_b32 s3, 0xc2ce8ed0
	v_sub_f32_e32 v2, v2, v22
	v_cmp_ngt_f32_e32 vcc, s3, v18
	s_mov_b32 s0, 0x42b17218
	v_ldexp_f32 v15, v15, v16
	v_mul_f32_e32 v16, 0x3fb8aa3b, v2
	v_cndmask_b32_e32 v14, 0, v19, vcc
	v_cmp_nlt_f32_e32 vcc, s0, v18
	v_fma_f32 v18, v2, s2, -v16
	v_rndne_f32_e32 v19, v16
	v_fmac_f32_e32 v18, 0x32a5705f, v2
	v_sub_f32_e32 v16, v16, v19
	v_add_f32_e32 v16, v16, v18
	v_exp_f32_e32 v16, v16
	v_cvt_i32_f32_e32 v18, v19
	v_mov_b32_e32 v17, 0x7f800000
	v_cndmask_b32_e32 v14, v17, v14, vcc
	v_cmp_ngt_f32_e32 vcc, s3, v3
	v_sub_f32_e32 v1, v1, v22
	s_mov_b32 s1, 0xc1a00000
	v_cndmask_b32_e32 v15, 0, v15, vcc
	v_cmp_nlt_f32_e32 vcc, s0, v3
	v_ldexp_f32 v3, v16, v18
	v_mul_f32_e32 v16, 0x3fb8aa3b, v1
	v_fma_f32 v18, v1, s2, -v16
	v_rndne_f32_e32 v24, v16
	v_fmac_f32_e32 v18, 0x32a5705f, v1
	v_sub_f32_e32 v16, v16, v24
	v_add_f32_e32 v16, v16, v18
	v_cvt_i32_f32_e32 v18, v24
	v_sub_f32_e32 v24, v50, v22
	v_mul_f32_e32 v27, 0x3fb8aa3b, v24
	v_fma_f32 v28, v24, s2, -v27
	v_rndne_f32_e32 v29, v27
	v_fmac_f32_e32 v28, 0x32a5705f, v24
	v_sub_f32_e32 v27, v27, v29
	v_add_f32_e32 v27, v27, v28
	v_exp_f32_e32 v27, v27
	v_cvt_i32_f32_e32 v28, v29
	v_cndmask_b32_e32 v15, v17, v15, vcc
	v_cmp_ngt_f32_e32 vcc, s3, v2
	v_exp_f32_e32 v16, v16
	v_and_b32_e32 v29, 0xfc, v35
	v_cndmask_b32_e32 v3, 0, v3, vcc
	v_cmp_nlt_f32_e32 vcc, s0, v2
	v_ldexp_f32 v2, v16, v18
	v_mul_u32_u24_e32 v29, 0xb0, v29
	v_cndmask_b32_e32 v42, v17, v3, vcc
	v_ldexp_f32 v3, v27, v28
	v_cmp_ngt_f32_e32 vcc, s3, v24
	v_or_b32_e32 v28, 2, v35
	v_mul_u32_u24_e32 v28, 0xb0, v28
	v_cndmask_b32_e32 v3, 0, v3, vcc
	v_cmp_nlt_f32_e32 vcc, s0, v24
	v_add_f32_e32 v19, v14, v15
	s_waitcnt vmcnt(1)
	ds_write_b128 v13, v[4:7]
	s_waitcnt vmcnt(0)
	ds_write_b128 v0, v[8:11]
	v_cndmask_b32_e32 v3, v17, v3, vcc
	v_cmp_le_f32_e32 vcc, s1, v24
	v_add3_u32 v4, v12, v28, v23
	s_waitcnt lgkmcnt(0)
	v_cndmask_b32_e32 v18, 0, v3, vcc
	v_cvt_f16_f32_e32 v3, v18
	v_cmp_ngt_f32_e32 vcc, s3, v1
	s_barrier
	s_nop 0
	v_cndmask_b32_e32 v2, 0, v2, vcc
	v_cmp_nlt_f32_e32 vcc, s0, v1
	v_mul_u32_u24_e32 v24, 0x10001, v3
	v_add3_u32 v0, v12, v29, v23
	v_cndmask_b32_e32 v16, v17, v2, vcc
	v_or_b32_e32 v2, 3, v35
	v_mul_u32_u24_e32 v2, 0xb0, v2
	v_add3_u32 v6, v12, v2, v23
	s_mov_b32 s0, 0x5040100
	ds_read_u16 v2, v4
	ds_read_u16 v7, v4 offset:32
	ds_read_u16 v5, v6
	ds_read_u16 v10, v4 offset:64
	ds_read_u16 v23, v0 offset:272
	ds_read_u16 v35, v4 offset:96
	ds_read_u16 v43, v4 offset:128
	ds_read_u16 v44, v0 offset:304
	v_pk_mul_f16 v17, v47, v24
	v_pk_mul_f16 v27, v46, v24
	s_waitcnt lgkmcnt(5)
	v_perm_b32 v5, v5, v2, s0
	ds_read_u16 v2, v0 offset:176
	ds_read_u16 v4, v0
	ds_read_u16 v8, v0 offset:32
	ds_read_u16 v11, v0 offset:208
	;; [unrolled: 1-line block ×7, first 2 shown]
	v_pk_mul_f16 v1, v49, v24
	v_pk_mul_f16 v3, v48, v24
	s_waitcnt lgkmcnt(7)
	v_perm_b32 v4, v2, v4, s0
	v_cvt_f32_f16_e32 v0, v1
	v_cvt_f32_f16_sdwa v1, v1 dst_sel:DWORD dst_unused:UNUSED_PAD src0_sel:WORD_1
	v_cvt_f32_f16_e32 v2, v3
	v_cvt_f32_f16_sdwa v3, v3 dst_sel:DWORD dst_unused:UNUSED_PAD src0_sel:WORD_1
	v_cvt_pk_f16_f32 v29, v42, v16
	v_cvt_pk_f16_f32 v28, v14, v15
	s_waitcnt lgkmcnt(0)
	v_perm_b32 v9, v9, v7, s0
	v_perm_b32 v8, v11, v8, s0
	v_mfma_f32_16x16x16_f16 v[0:3], v[4:5], v[28:29], v[0:3]
	ds_read_u16 v13, v6 offset:64
	ds_read_u16 v14, v6 offset:96
	;; [unrolled: 1-line block ×3, first 2 shown]
	v_cvt_f32_f16_e32 v4, v17
	v_cvt_f32_f16_sdwa v5, v17 dst_sel:DWORD dst_unused:UNUSED_PAD src0_sel:WORD_1
	v_cvt_f32_f16_e32 v6, v27
	v_cvt_f32_f16_sdwa v7, v27 dst_sel:DWORD dst_unused:UNUSED_PAD src0_sel:WORD_1
	v_pk_mul_f16 v11, v41, v24
	v_pk_mul_f16 v17, v40, v24
	s_waitcnt lgkmcnt(2)
	v_perm_b32 v13, v13, v10, s0
	v_perm_b32 v12, v45, v12, s0
	v_mfma_f32_16x16x16_f16 v[4:7], v[8:9], v[28:29], v[4:7]
	v_cvt_f32_f16_e32 v8, v11
	v_cvt_f32_f16_sdwa v9, v11 dst_sel:DWORD dst_unused:UNUSED_PAD src0_sel:WORD_1
	v_cvt_f32_f16_e32 v10, v17
	v_cvt_f32_f16_sdwa v11, v17 dst_sel:DWORD dst_unused:UNUSED_PAD src0_sel:WORD_1
	v_add_f32_e32 v15, v42, v19
	v_add_f32_e32 v27, v16, v15
	v_pk_mul_f16 v15, v39, v24
	v_pk_mul_f16 v19, v38, v24
	s_waitcnt lgkmcnt(1)
	v_perm_b32 v17, v14, v35, s0
	v_perm_b32 v16, v23, v46, s0
	v_mfma_f32_16x16x16_f16 v[8:11], v[12:13], v[28:29], v[8:11]
	v_cvt_f32_f16_e32 v12, v15
	v_cvt_f32_f16_sdwa v13, v15 dst_sel:DWORD dst_unused:UNUSED_PAD src0_sel:WORD_1
	v_cvt_f32_f16_e32 v14, v19
	v_cvt_f32_f16_sdwa v15, v19 dst_sel:DWORD dst_unused:UNUSED_PAD src0_sel:WORD_1
	v_fmac_f32_e32 v27, v60, v18
	ds_bpermute_b32 v23, v25, v27
	v_pk_mul_f16 v18, v37, v24
	v_pk_mul_f16 v19, v36, v24
	s_waitcnt lgkmcnt(1)
	v_perm_b32 v37, v48, v43, s0
	v_perm_b32 v36, v44, v47, s0
	v_mfma_f32_16x16x16_f16 v[12:15], v[16:17], v[28:29], v[12:15]
	v_cvt_f32_f16_e32 v16, v18
	v_cvt_f32_f16_sdwa v17, v18 dst_sel:DWORD dst_unused:UNUSED_PAD src0_sel:WORD_1
	v_cvt_f32_f16_e32 v18, v19
	v_cvt_f32_f16_sdwa v19, v19 dst_sel:DWORD dst_unused:UNUSED_PAD src0_sel:WORD_1
	s_waitcnt lgkmcnt(0)
	v_add_f32_e32 v23, v27, v23
	ds_bpermute_b32 v24, v26, v23
	v_mfma_f32_16x16x16_f16 v[16:19], v[36:37], v[28:29], v[16:19]
	v_cmp_gt_u32_e64 s[0:1], 16, v31
	s_waitcnt lgkmcnt(0)
	s_barrier
	s_and_saveexec_b64 s[4:5], s[0:1]
; %bb.220:
	v_add_f32_e32 v23, v23, v24
	v_or_b32_e32 v24, v55, v31
	s_movk_i32 s2, 0xb0
	v_mad_u32_u24 v24, v24, s2, 0
	ds_write2_b32 v24, v22, v23 offset0:40 offset1:41
; %bb.221:
	s_or_b64 exec, exec, s[4:5]
	v_and_b32_e32 v22, 3, v51
	v_cmp_eq_u32_e32 vcc, 0, v22
	v_cmp_ne_u32_e64 s[4:5], 0, v22
	s_waitcnt lgkmcnt(0)
	s_barrier
	s_and_saveexec_b64 s[2:3], s[4:5]
	s_xor_b64 s[4:5], exec, s[2:3]
	s_cbranch_execz .LBB9_223
; %bb.222:
	s_barrier
                                        ; implicit-def: $vgpr25
                                        ; implicit-def: $vgpr26
                                        ; implicit-def: $vgpr57
.LBB9_223:
	s_andn2_saveexec_b64 s[6:7], s[4:5]
	s_cbranch_execz .LBB9_227
; %bb.224:
	v_add_u32_e32 v22, v55, v31
	s_movk_i32 s2, 0xb0
	v_mad_u32_u24 v23, v22, s2, 0
	ds_read_b64 v[28:29], v23 offset:160
	s_mov_b32 s2, 0x3fb8aa3b
	s_mov_b32 s3, 0x42b17218
	;; [unrolled: 1-line block ×3, first 2 shown]
	s_waitcnt lgkmcnt(0)
	ds_bpermute_b32 v22, v25, v28
	v_max_f32_e32 v24, v28, v28
	s_barrier
	s_waitcnt lgkmcnt(0)
	v_max_f32_e32 v22, v22, v22
	v_max_f32_e32 v22, v24, v22
	ds_bpermute_b32 v24, v26, v22
	s_waitcnt lgkmcnt(0)
	v_max_f32_e32 v24, v24, v24
	v_max_f32_e32 v22, v22, v24
	v_sub_f32_e32 v24, v28, v22
	v_mul_f32_e32 v27, 0x3fb8aa3b, v24
	v_fma_f32 v28, v24, s2, -v27
	v_rndne_f32_e32 v35, v27
	v_fmamk_f32 v28, v24, 0x32a5705f, v28
	v_sub_f32_e32 v27, v27, v35
	v_add_f32_e32 v27, v27, v28
	v_cvt_i32_f32_e32 v35, v35
	v_exp_f32_e32 v27, v27
	s_mov_b32 s2, 0xc2ce8ed0
	v_cmp_ngt_f32_e64 s[4:5], s2, v24
	v_mov_b32_e32 v28, 0x7f800000
	v_ldexp_f32 v27, v27, v35
	v_cndmask_b32_e64 v27, 0, v27, s[4:5]
	v_cmp_nlt_f32_e64 s[4:5], s3, v24
	s_nop 1
	v_cndmask_b32_e64 v24, v28, v27, s[4:5]
	v_mul_f32_e32 v27, v29, v24
	ds_bpermute_b32 v25, v25, v27
	s_waitcnt lgkmcnt(0)
	v_fmac_f32_e32 v25, v29, v24
	ds_bpermute_b32 v26, v26, v25
	s_waitcnt lgkmcnt(0)
	v_add_f32_e32 v25, v25, v26
	ds_write_b64 v23, v[24:25] offset:160
	s_and_saveexec_b64 s[4:5], s[0:1]
	s_cbranch_execz .LBB9_226
; %bb.225:
	s_add_i32 s0, s60, s57
	s_lshl_b32 s8, s0, 4
	s_lshl_b64 s[0:1], s[8:9], 3
	s_add_u32 s0, s50, s0
	v_or_b32_e32 v23, v57, v31
	s_addc_u32 s1, s51, s1
	v_lshlrev_b32_e32 v24, 3, v23
	v_mov_b32_e32 v23, v25
	global_store_dwordx2 v24, v[22:23], s[0:1]
.LBB9_226:
	s_or_b64 exec, exec, s[4:5]
.LBB9_227:
	s_or_b64 exec, exec, s[6:7]
	v_cvt_pk_f16_f32 v2, v2, v3
	v_cvt_pk_f16_f32 v3, v4, v5
	;; [unrolled: 1-line block ×3, first 2 shown]
	v_or_b32_e32 v10, v55, v34
	v_mul_u32_u24_e32 v10, 0xb0, v10
	v_cvt_pk_f16_f32 v0, v0, v1
	s_movk_i32 s4, 0xb0
	s_mov_b32 s3, 0
	v_add3_u32 v10, 0, v10, v33
	v_cvt_pk_f16_f32 v1, v6, v7
	v_cvt_pk_f16_f32 v5, v8, v9
	;; [unrolled: 1-line block ×6, first 2 shown]
	ds_write2_b32 v10, v0, v2 offset1:1
	ds_write2_b32 v10, v3, v1 offset0:8 offset1:9
	ds_write2_b32 v10, v5, v4 offset0:16 offset1:17
	;; [unrolled: 1-line block ×4, first 2 shown]
	s_waitcnt lgkmcnt(0)
	s_barrier
	s_and_saveexec_b64 s[0:1], vcc
	s_cbranch_execz .LBB9_229
; %bb.228:
	s_mul_i32 s2, s57, 0x280
	s_lshl_b64 s[6:7], s[2:3], 3
	s_add_u32 s5, s50, s6
	s_addc_u32 s6, s51, s7
	s_lshl_b32 s2, s60, 5
	v_lshrrev_b32_e32 v0, 1, v51
	s_lshl_b64 s[2:3], s[2:3], 3
	v_add_u32_e32 v12, v0, v53
	s_add_u32 s2, s5, s2
	v_lshlrev_b32_e32 v0, 2, v12
	v_and_b32_e32 v1, 15, v12
	s_movk_i32 s5, 0xfc0
	v_and_or_b32 v2, v0, s5, v1
	v_mad_u32_u24 v8, v2, s4, v30
	ds_read2st64_b32 v[0:1], v8 offset1:11
	v_mad_u32_u24 v2, v2, s4, 0
	v_add_u32_e32 v6, 0xa0, v2
	ds_read2st64_b32 v[2:3], v6 offset1:11
	ds_read2st64_b32 v[6:7], v6 offset0:22 offset1:33
	ds_read2st64_b32 v[8:9], v8 offset0:22 offset1:33
	s_waitcnt lgkmcnt(3)
	v_cvt_f32_f16_e32 v4, v0
	v_cvt_f32_f16_sdwa v5, v0 dst_sel:DWORD dst_unused:UNUSED_PAD src0_sel:WORD_1
	v_cvt_f32_f16_e32 v0, v1
	v_cvt_f32_f16_sdwa v1, v1 dst_sel:DWORD dst_unused:UNUSED_PAD src0_sel:WORD_1
	s_waitcnt lgkmcnt(0)
	v_cvt_f32_f16_e32 v10, v8
	v_cvt_f32_f16_sdwa v11, v8 dst_sel:DWORD dst_unused:UNUSED_PAD src0_sel:WORD_1
	v_cvt_f32_f16_e32 v8, v9
	v_cvt_f32_f16_sdwa v9, v9 dst_sel:DWORD dst_unused:UNUSED_PAD src0_sel:WORD_1
	v_pk_fma_f32 v[4:5], v[2:3], v[4:5], 0 op_sel_hi:[0,1,0]
	v_mov_b32_e32 v2, v3
	v_pk_fma_f32 v[0:1], v[2:3], v[0:1], v[4:5] op_sel_hi:[0,1,1]
	v_pk_fma_f32 v[0:1], v[6:7], v[10:11], v[0:1] op_sel_hi:[0,1,1]
	v_mov_b32_e32 v2, v7
	v_pk_fma_f32 v[0:1], v[2:3], v[8:9], v[0:1] op_sel_hi:[0,1,1]
	v_add_u32_e32 v2, 2, v12
	v_lshlrev_b32_e32 v3, 2, v2
	v_and_b32_e32 v2, 15, v2
	s_movk_i32 s5, 0x1fc0
	v_and_or_b32 v4, v3, s5, v2
	v_mul_u32_u24_e32 v13, 40, v12
	v_mad_u32_u24 v8, v4, s4, v30
	s_addc_u32 s3, s6, s3
	ds_read2st64_b32 v[2:3], v8 offset1:11
	v_add_lshl_u32 v13, v13, v20, 3
	v_mad_u32_u24 v4, v4, s4, 0
	v_add_u32_e32 v9, 0xa0, v4
	global_store_dwordx2 v13, v[0:1], s[2:3]
	ds_read2st64_b32 v[4:5], v9 offset1:11
	ds_read2st64_b32 v[0:1], v9 offset0:22 offset1:33
	ds_read2st64_b32 v[8:9], v8 offset0:22 offset1:33
	s_waitcnt lgkmcnt(3)
	v_cvt_f32_f16_e32 v6, v2
	v_cvt_f32_f16_sdwa v7, v2 dst_sel:DWORD dst_unused:UNUSED_PAD src0_sel:WORD_1
	v_cvt_f32_f16_e32 v2, v3
	v_cvt_f32_f16_sdwa v3, v3 dst_sel:DWORD dst_unused:UNUSED_PAD src0_sel:WORD_1
	s_waitcnt lgkmcnt(0)
	v_cvt_f32_f16_e32 v10, v8
	v_cvt_f32_f16_sdwa v11, v8 dst_sel:DWORD dst_unused:UNUSED_PAD src0_sel:WORD_1
	v_cvt_f32_f16_e32 v8, v9
	v_cvt_f32_f16_sdwa v9, v9 dst_sel:DWORD dst_unused:UNUSED_PAD src0_sel:WORD_1
	v_pk_fma_f32 v[6:7], v[4:5], v[6:7], 0 op_sel_hi:[0,1,0]
	v_mov_b32_e32 v4, v5
	v_pk_fma_f32 v[2:3], v[4:5], v[2:3], v[6:7] op_sel_hi:[0,1,1]
	v_pk_fma_f32 v[2:3], v[0:1], v[10:11], v[2:3] op_sel_hi:[0,1,1]
	v_mov_b32_e32 v0, v1
	v_pk_fma_f32 v[0:1], v[0:1], v[8:9], v[2:3] op_sel_hi:[0,1,1]
	v_add_u32_e32 v2, 4, v12
	v_lshlrev_b32_e32 v3, 2, v2
	v_and_b32_e32 v2, 15, v2
	v_and_or_b32 v4, v3, s5, v2
	v_mad_u32_u24 v8, v4, s4, v30
	ds_read2st64_b32 v[2:3], v8 offset1:11
	global_store_dwordx2 v13, v[0:1], s[2:3] offset:640
	v_mad_u32_u24 v0, v4, s4, 0
	v_add_u32_e32 v6, 0xa0, v0
	ds_read2st64_b32 v[0:1], v6 offset1:11
	ds_read2st64_b32 v[6:7], v6 offset0:22 offset1:33
	ds_read2st64_b32 v[8:9], v8 offset0:22 offset1:33
	s_waitcnt lgkmcnt(3)
	v_cvt_f32_f16_e32 v4, v2
	v_cvt_f32_f16_sdwa v5, v2 dst_sel:DWORD dst_unused:UNUSED_PAD src0_sel:WORD_1
	v_cvt_f32_f16_e32 v2, v3
	v_cvt_f32_f16_sdwa v3, v3 dst_sel:DWORD dst_unused:UNUSED_PAD src0_sel:WORD_1
	s_waitcnt lgkmcnt(0)
	v_cvt_f32_f16_e32 v10, v8
	v_cvt_f32_f16_sdwa v11, v8 dst_sel:DWORD dst_unused:UNUSED_PAD src0_sel:WORD_1
	v_cvt_f32_f16_e32 v8, v9
	v_cvt_f32_f16_sdwa v9, v9 dst_sel:DWORD dst_unused:UNUSED_PAD src0_sel:WORD_1
	v_pk_fma_f32 v[4:5], v[0:1], v[4:5], 0 op_sel_hi:[0,1,0]
	v_mov_b32_e32 v0, v1
	v_pk_fma_f32 v[0:1], v[0:1], v[2:3], v[4:5] op_sel_hi:[0,1,1]
	v_pk_fma_f32 v[0:1], v[6:7], v[10:11], v[0:1] op_sel_hi:[0,1,1]
	v_mov_b32_e32 v2, v7
	v_pk_fma_f32 v[0:1], v[2:3], v[8:9], v[0:1] op_sel_hi:[0,1,1]
	v_add_u32_e32 v2, 6, v12
	v_lshlrev_b32_e32 v3, 2, v2
	v_and_b32_e32 v2, 15, v2
	v_and_or_b32 v4, v3, s5, v2
	v_add_u32_e32 v14, 0x500, v13
	v_mad_u32_u24 v8, v4, s4, v30
	ds_read2st64_b32 v[2:3], v8 offset1:11
	global_store_dwordx2 v14, v[0:1], s[2:3]
	v_mad_u32_u24 v0, v4, s4, 0
	v_add_u32_e32 v6, 0xa0, v0
	ds_read2st64_b32 v[0:1], v6 offset1:11
	ds_read2st64_b32 v[6:7], v6 offset0:22 offset1:33
	ds_read2st64_b32 v[8:9], v8 offset0:22 offset1:33
	s_waitcnt lgkmcnt(3)
	v_cvt_f32_f16_e32 v4, v2
	v_cvt_f32_f16_sdwa v5, v2 dst_sel:DWORD dst_unused:UNUSED_PAD src0_sel:WORD_1
	v_cvt_f32_f16_e32 v2, v3
	v_cvt_f32_f16_sdwa v3, v3 dst_sel:DWORD dst_unused:UNUSED_PAD src0_sel:WORD_1
	s_waitcnt lgkmcnt(0)
	v_cvt_f32_f16_e32 v10, v8
	v_cvt_f32_f16_sdwa v11, v8 dst_sel:DWORD dst_unused:UNUSED_PAD src0_sel:WORD_1
	v_cvt_f32_f16_e32 v8, v9
	v_cvt_f32_f16_sdwa v9, v9 dst_sel:DWORD dst_unused:UNUSED_PAD src0_sel:WORD_1
	v_pk_fma_f32 v[4:5], v[0:1], v[4:5], 0 op_sel_hi:[0,1,0]
	v_mov_b32_e32 v0, v1
	v_pk_fma_f32 v[0:1], v[0:1], v[2:3], v[4:5] op_sel_hi:[0,1,1]
	v_pk_fma_f32 v[0:1], v[6:7], v[10:11], v[0:1] op_sel_hi:[0,1,1]
	v_mov_b32_e32 v2, v7
	v_pk_fma_f32 v[0:1], v[2:3], v[8:9], v[0:1] op_sel_hi:[0,1,1]
	v_add_u32_e32 v2, 8, v12
	v_lshlrev_b32_e32 v3, 2, v2
	v_and_b32_e32 v2, 15, v2
	v_and_or_b32 v4, v3, s5, v2
	v_add_u32_e32 v14, 0x780, v13
	v_mad_u32_u24 v8, v4, s4, v30
	ds_read2st64_b32 v[2:3], v8 offset1:11
	global_store_dwordx2 v14, v[0:1], s[2:3]
	;; [unrolled: 29-line block ×5, first 2 shown]
	v_mad_u32_u24 v0, v4, s4, 0
	v_add_u32_e32 v6, 0xa0, v0
	ds_read2st64_b32 v[0:1], v6 offset1:11
	ds_read2st64_b32 v[6:7], v6 offset0:22 offset1:33
	ds_read2st64_b32 v[8:9], v8 offset0:22 offset1:33
	s_waitcnt lgkmcnt(3)
	v_cvt_f32_f16_e32 v4, v2
	v_cvt_f32_f16_sdwa v5, v2 dst_sel:DWORD dst_unused:UNUSED_PAD src0_sel:WORD_1
	v_cvt_f32_f16_e32 v2, v3
	v_cvt_f32_f16_sdwa v3, v3 dst_sel:DWORD dst_unused:UNUSED_PAD src0_sel:WORD_1
	s_waitcnt lgkmcnt(0)
	v_cvt_f32_f16_e32 v10, v8
	v_cvt_f32_f16_sdwa v11, v8 dst_sel:DWORD dst_unused:UNUSED_PAD src0_sel:WORD_1
	v_cvt_f32_f16_e32 v8, v9
	v_cvt_f32_f16_sdwa v9, v9 dst_sel:DWORD dst_unused:UNUSED_PAD src0_sel:WORD_1
	v_pk_fma_f32 v[4:5], v[0:1], v[4:5], 0 op_sel_hi:[0,1,0]
	v_mov_b32_e32 v0, v1
	v_pk_fma_f32 v[0:1], v[0:1], v[2:3], v[4:5] op_sel_hi:[0,1,1]
	v_pk_fma_f32 v[0:1], v[6:7], v[10:11], v[0:1] op_sel_hi:[0,1,1]
	v_mov_b32_e32 v2, v7
	v_add_u32_e32 v12, 0x1180, v13
	v_pk_fma_f32 v[0:1], v[2:3], v[8:9], v[0:1] op_sel_hi:[0,1,1]
	global_store_dwordx2 v12, v[0:1], s[2:3]
	v_add_u32_e32 v12, v21, v32
	v_and_b32_e32 v10, 7, v31
	v_lshlrev_b32_e32 v0, 2, v12
	v_and_b32_e32 v1, 15, v12
	s_movk_i32 s5, 0x3fc0
	v_lshl_add_u32 v13, v10, 2, 0
	v_and_or_b32 v2, v0, s5, v1
	v_mad_u32_u24 v0, v2, s4, v13
	v_add_u32_e32 v8, 0x80, v0
	ds_read2st64_b32 v[0:1], v8 offset1:11
	v_mad_u32_u24 v2, v2, s4, 0
	v_add_u32_e32 v6, 0xa0, v2
	ds_read2st64_b32 v[2:3], v6 offset1:11
	ds_read2st64_b32 v[6:7], v6 offset0:22 offset1:33
	ds_read2st64_b32 v[8:9], v8 offset0:22 offset1:33
	s_waitcnt lgkmcnt(3)
	v_cvt_f32_f16_e32 v4, v0
	v_cvt_f32_f16_sdwa v5, v0 dst_sel:DWORD dst_unused:UNUSED_PAD src0_sel:WORD_1
	v_mul_u32_u24_e32 v11, 40, v12
	v_cvt_f32_f16_e32 v0, v1
	v_cvt_f32_f16_sdwa v1, v1 dst_sel:DWORD dst_unused:UNUSED_PAD src0_sel:WORD_1
	v_or_b32_e32 v14, v11, v10
	s_waitcnt lgkmcnt(0)
	v_cvt_f32_f16_e32 v10, v8
	v_cvt_f32_f16_sdwa v11, v8 dst_sel:DWORD dst_unused:UNUSED_PAD src0_sel:WORD_1
	v_cvt_f32_f16_e32 v8, v9
	v_cvt_f32_f16_sdwa v9, v9 dst_sel:DWORD dst_unused:UNUSED_PAD src0_sel:WORD_1
	v_pk_fma_f32 v[4:5], v[2:3], v[4:5], 0 op_sel_hi:[0,1,0]
	v_mov_b32_e32 v2, v3
	v_pk_fma_f32 v[0:1], v[2:3], v[0:1], v[4:5] op_sel_hi:[0,1,1]
	v_pk_fma_f32 v[0:1], v[6:7], v[10:11], v[0:1] op_sel_hi:[0,1,1]
	v_mov_b32_e32 v2, v7
	v_pk_fma_f32 v[0:1], v[2:3], v[8:9], v[0:1] op_sel_hi:[0,1,1]
	v_add_u32_e32 v2, 8, v12
	v_lshlrev_b32_e32 v3, 2, v2
	v_and_b32_e32 v2, 15, v2
	s_movk_i32 s5, 0x7fc0
	v_and_or_b32 v4, v3, s5, v2
	v_mad_u32_u24 v2, v4, s4, v13
	v_lshlrev_b32_e32 v10, 3, v14
	v_add_u32_e32 v8, 0x80, v2
	ds_read2st64_b32 v[2:3], v8 offset1:11
	global_store_dwordx2 v10, v[0:1], s[2:3] offset:256
	v_mad_u32_u24 v0, v4, s4, 0
	v_add_u32_e32 v6, 0xa0, v0
	ds_read2st64_b32 v[0:1], v6 offset1:11
	ds_read2st64_b32 v[6:7], v6 offset0:22 offset1:33
	ds_read2st64_b32 v[8:9], v8 offset0:22 offset1:33
	s_waitcnt lgkmcnt(3)
	v_cvt_f32_f16_e32 v4, v2
	v_cvt_f32_f16_sdwa v5, v2 dst_sel:DWORD dst_unused:UNUSED_PAD src0_sel:WORD_1
	v_cvt_f32_f16_e32 v2, v3
	v_cvt_f32_f16_sdwa v3, v3 dst_sel:DWORD dst_unused:UNUSED_PAD src0_sel:WORD_1
	v_add_u32_e32 v12, 0xa00, v10
	s_waitcnt lgkmcnt(0)
	v_cvt_f32_f16_e32 v10, v8
	v_cvt_f32_f16_sdwa v11, v8 dst_sel:DWORD dst_unused:UNUSED_PAD src0_sel:WORD_1
	v_cvt_f32_f16_e32 v8, v9
	v_cvt_f32_f16_sdwa v9, v9 dst_sel:DWORD dst_unused:UNUSED_PAD src0_sel:WORD_1
	v_pk_fma_f32 v[4:5], v[0:1], v[4:5], 0 op_sel_hi:[0,1,0]
	v_mov_b32_e32 v0, v1
	v_pk_fma_f32 v[0:1], v[0:1], v[2:3], v[4:5] op_sel_hi:[0,1,1]
	v_pk_fma_f32 v[0:1], v[6:7], v[10:11], v[0:1] op_sel_hi:[0,1,1]
	v_mov_b32_e32 v2, v7
	v_pk_fma_f32 v[0:1], v[2:3], v[8:9], v[0:1] op_sel_hi:[0,1,1]
	global_store_dwordx2 v12, v[0:1], s[2:3] offset:256
.LBB9_229:
	s_or_b64 exec, exec, s[0:1]
	s_barrier
	s_endpgm
	.section	.rodata,"a",@progbits
	.p2align	6, 0x0
	.amdhsa_kernel _ZL18flash_attn_ext_f16ILi80ELi80ELi4ELi4ELb0ELb0EEvPKcS1_S1_S1_S1_PKiPfP15HIP_vector_typeIfLj2EEffffjfiS5_IjLj3EEiiiiiiiiiiiliiliiiiil
		.amdhsa_group_segment_fixed_size 0
		.amdhsa_private_segment_fixed_size 0
		.amdhsa_kernarg_size 464
		.amdhsa_user_sgpr_count 2
		.amdhsa_user_sgpr_dispatch_ptr 0
		.amdhsa_user_sgpr_queue_ptr 0
		.amdhsa_user_sgpr_kernarg_segment_ptr 1
		.amdhsa_user_sgpr_dispatch_id 0
		.amdhsa_user_sgpr_kernarg_preload_length 0
		.amdhsa_user_sgpr_kernarg_preload_offset 0
		.amdhsa_user_sgpr_private_segment_size 0
		.amdhsa_uses_dynamic_stack 0
		.amdhsa_enable_private_segment 0
		.amdhsa_system_sgpr_workgroup_id_x 1
		.amdhsa_system_sgpr_workgroup_id_y 0
		.amdhsa_system_sgpr_workgroup_id_z 0
		.amdhsa_system_sgpr_workgroup_info 0
		.amdhsa_system_vgpr_workitem_id 1
		.amdhsa_next_free_vgpr 164
		.amdhsa_next_free_sgpr 100
		.amdhsa_accum_offset 164
		.amdhsa_reserve_vcc 1
		.amdhsa_float_round_mode_32 0
		.amdhsa_float_round_mode_16_64 0
		.amdhsa_float_denorm_mode_32 3
		.amdhsa_float_denorm_mode_16_64 3
		.amdhsa_dx10_clamp 1
		.amdhsa_ieee_mode 1
		.amdhsa_fp16_overflow 0
		.amdhsa_tg_split 0
		.amdhsa_exception_fp_ieee_invalid_op 0
		.amdhsa_exception_fp_denorm_src 0
		.amdhsa_exception_fp_ieee_div_zero 0
		.amdhsa_exception_fp_ieee_overflow 0
		.amdhsa_exception_fp_ieee_underflow 0
		.amdhsa_exception_fp_ieee_inexact 0
		.amdhsa_exception_int_div_zero 0
	.end_amdhsa_kernel
	.section	.text._ZL18flash_attn_ext_f16ILi80ELi80ELi4ELi4ELb0ELb0EEvPKcS1_S1_S1_S1_PKiPfP15HIP_vector_typeIfLj2EEffffjfiS5_IjLj3EEiiiiiiiiiiiliiliiiiil,"axG",@progbits,_ZL18flash_attn_ext_f16ILi80ELi80ELi4ELi4ELb0ELb0EEvPKcS1_S1_S1_S1_PKiPfP15HIP_vector_typeIfLj2EEffffjfiS5_IjLj3EEiiiiiiiiiiiliiliiiiil,comdat
.Lfunc_end9:
	.size	_ZL18flash_attn_ext_f16ILi80ELi80ELi4ELi4ELb0ELb0EEvPKcS1_S1_S1_S1_PKiPfP15HIP_vector_typeIfLj2EEffffjfiS5_IjLj3EEiiiiiiiiiiiliiliiiiil, .Lfunc_end9-_ZL18flash_attn_ext_f16ILi80ELi80ELi4ELi4ELb0ELb0EEvPKcS1_S1_S1_S1_PKiPfP15HIP_vector_typeIfLj2EEffffjfiS5_IjLj3EEiiiiiiiiiiiliiliiiiil
                                        ; -- End function
	.set _ZL18flash_attn_ext_f16ILi80ELi80ELi4ELi4ELb0ELb0EEvPKcS1_S1_S1_S1_PKiPfP15HIP_vector_typeIfLj2EEffffjfiS5_IjLj3EEiiiiiiiiiiiliiliiiiil.num_vgpr, 164
	.set _ZL18flash_attn_ext_f16ILi80ELi80ELi4ELi4ELb0ELb0EEvPKcS1_S1_S1_S1_PKiPfP15HIP_vector_typeIfLj2EEffffjfiS5_IjLj3EEiiiiiiiiiiiliiliiiiil.num_agpr, 0
	.set _ZL18flash_attn_ext_f16ILi80ELi80ELi4ELi4ELb0ELb0EEvPKcS1_S1_S1_S1_PKiPfP15HIP_vector_typeIfLj2EEffffjfiS5_IjLj3EEiiiiiiiiiiiliiliiiiil.numbered_sgpr, 100
	.set _ZL18flash_attn_ext_f16ILi80ELi80ELi4ELi4ELb0ELb0EEvPKcS1_S1_S1_S1_PKiPfP15HIP_vector_typeIfLj2EEffffjfiS5_IjLj3EEiiiiiiiiiiiliiliiiiil.num_named_barrier, 0
	.set _ZL18flash_attn_ext_f16ILi80ELi80ELi4ELi4ELb0ELb0EEvPKcS1_S1_S1_S1_PKiPfP15HIP_vector_typeIfLj2EEffffjfiS5_IjLj3EEiiiiiiiiiiiliiliiiiil.private_seg_size, 0
	.set _ZL18flash_attn_ext_f16ILi80ELi80ELi4ELi4ELb0ELb0EEvPKcS1_S1_S1_S1_PKiPfP15HIP_vector_typeIfLj2EEffffjfiS5_IjLj3EEiiiiiiiiiiiliiliiiiil.uses_vcc, 1
	.set _ZL18flash_attn_ext_f16ILi80ELi80ELi4ELi4ELb0ELb0EEvPKcS1_S1_S1_S1_PKiPfP15HIP_vector_typeIfLj2EEffffjfiS5_IjLj3EEiiiiiiiiiiiliiliiiiil.uses_flat_scratch, 0
	.set _ZL18flash_attn_ext_f16ILi80ELi80ELi4ELi4ELb0ELb0EEvPKcS1_S1_S1_S1_PKiPfP15HIP_vector_typeIfLj2EEffffjfiS5_IjLj3EEiiiiiiiiiiiliiliiiiil.has_dyn_sized_stack, 0
	.set _ZL18flash_attn_ext_f16ILi80ELi80ELi4ELi4ELb0ELb0EEvPKcS1_S1_S1_S1_PKiPfP15HIP_vector_typeIfLj2EEffffjfiS5_IjLj3EEiiiiiiiiiiiliiliiiiil.has_recursion, 0
	.set _ZL18flash_attn_ext_f16ILi80ELi80ELi4ELi4ELb0ELb0EEvPKcS1_S1_S1_S1_PKiPfP15HIP_vector_typeIfLj2EEffffjfiS5_IjLj3EEiiiiiiiiiiiliiliiiiil.has_indirect_call, 0
	.section	.AMDGPU.csdata,"",@progbits
; Kernel info:
; codeLenInByte = 29304
; TotalNumSgprs: 106
; NumVgprs: 164
; NumAgprs: 0
; TotalNumVgprs: 164
; ScratchSize: 0
; MemoryBound: 0
; FloatMode: 240
; IeeeMode: 1
; LDSByteSize: 0 bytes/workgroup (compile time only)
; SGPRBlocks: 13
; VGPRBlocks: 20
; NumSGPRsForWavesPerEU: 106
; NumVGPRsForWavesPerEU: 164
; AccumOffset: 164
; Occupancy: 3
; WaveLimiterHint : 1
; COMPUTE_PGM_RSRC2:SCRATCH_EN: 0
; COMPUTE_PGM_RSRC2:USER_SGPR: 2
; COMPUTE_PGM_RSRC2:TRAP_HANDLER: 0
; COMPUTE_PGM_RSRC2:TGID_X_EN: 1
; COMPUTE_PGM_RSRC2:TGID_Y_EN: 0
; COMPUTE_PGM_RSRC2:TGID_Z_EN: 0
; COMPUTE_PGM_RSRC2:TIDIG_COMP_CNT: 1
; COMPUTE_PGM_RSRC3_GFX90A:ACCUM_OFFSET: 40
; COMPUTE_PGM_RSRC3_GFX90A:TG_SPLIT: 0
	.section	.text._ZL18flash_attn_ext_f16ILi80ELi80ELi4ELi4ELb1ELb0EEvPKcS1_S1_S1_S1_PKiPfP15HIP_vector_typeIfLj2EEffffjfiS5_IjLj3EEiiiiiiiiiiiliiliiiiil,"axG",@progbits,_ZL18flash_attn_ext_f16ILi80ELi80ELi4ELi4ELb1ELb0EEvPKcS1_S1_S1_S1_PKiPfP15HIP_vector_typeIfLj2EEffffjfiS5_IjLj3EEiiiiiiiiiiiliiliiiiil,comdat
	.globl	_ZL18flash_attn_ext_f16ILi80ELi80ELi4ELi4ELb1ELb0EEvPKcS1_S1_S1_S1_PKiPfP15HIP_vector_typeIfLj2EEffffjfiS5_IjLj3EEiiiiiiiiiiiliiliiiiil ; -- Begin function _ZL18flash_attn_ext_f16ILi80ELi80ELi4ELi4ELb1ELb0EEvPKcS1_S1_S1_S1_PKiPfP15HIP_vector_typeIfLj2EEffffjfiS5_IjLj3EEiiiiiiiiiiiliiliiiiil
	.p2align	8
	.type	_ZL18flash_attn_ext_f16ILi80ELi80ELi4ELi4ELb1ELb0EEvPKcS1_S1_S1_S1_PKiPfP15HIP_vector_typeIfLj2EEffffjfiS5_IjLj3EEiiiiiiiiiiiliiliiiiil,@function
_ZL18flash_attn_ext_f16ILi80ELi80ELi4ELi4ELb1ELb0EEvPKcS1_S1_S1_S1_PKiPfP15HIP_vector_typeIfLj2EEffffjfiS5_IjLj3EEiiiiiiiiiiiliiliiiiil: ; @_ZL18flash_attn_ext_f16ILi80ELi80ELi4ELi4ELb1ELb0EEvPKcS1_S1_S1_S1_PKiPfP15HIP_vector_typeIfLj2EEffffjfiS5_IjLj3EEiiiiiiiiiiiliiliiiiil
; %bb.0:
	s_add_u32 s8, s0, 0xd0
	s_addc_u32 s9, s1, 0
	s_getpc_b64 s[0:1]
	s_add_u32 s0, s0, _ZL14no_device_codePKciS0_iS0_@rel32@lo+4
	s_addc_u32 s1, s1, _ZL14no_device_codePKciS0_iS0_@rel32@hi+12
	v_mov_b32_e32 v0, 0x6cc
	s_mov_b32 s32, 0
	s_swappc_b64 s[30:31], s[0:1]
	.section	.rodata,"a",@progbits
	.p2align	6, 0x0
	.amdhsa_kernel _ZL18flash_attn_ext_f16ILi80ELi80ELi4ELi4ELb1ELb0EEvPKcS1_S1_S1_S1_PKiPfP15HIP_vector_typeIfLj2EEffffjfiS5_IjLj3EEiiiiiiiiiiiliiliiiiil
		.amdhsa_group_segment_fixed_size 0
		.amdhsa_private_segment_fixed_size 16
		.amdhsa_kernarg_size 464
		.amdhsa_user_sgpr_count 2
		.amdhsa_user_sgpr_dispatch_ptr 0
		.amdhsa_user_sgpr_queue_ptr 0
		.amdhsa_user_sgpr_kernarg_segment_ptr 1
		.amdhsa_user_sgpr_dispatch_id 0
		.amdhsa_user_sgpr_kernarg_preload_length 0
		.amdhsa_user_sgpr_kernarg_preload_offset 0
		.amdhsa_user_sgpr_private_segment_size 0
		.amdhsa_uses_dynamic_stack 0
		.amdhsa_enable_private_segment 1
		.amdhsa_system_sgpr_workgroup_id_x 1
		.amdhsa_system_sgpr_workgroup_id_y 0
		.amdhsa_system_sgpr_workgroup_id_z 0
		.amdhsa_system_sgpr_workgroup_info 0
		.amdhsa_system_vgpr_workitem_id 0
		.amdhsa_next_free_vgpr 52
		.amdhsa_next_free_sgpr 34
		.amdhsa_accum_offset 52
		.amdhsa_reserve_vcc 1
		.amdhsa_float_round_mode_32 0
		.amdhsa_float_round_mode_16_64 0
		.amdhsa_float_denorm_mode_32 3
		.amdhsa_float_denorm_mode_16_64 3
		.amdhsa_dx10_clamp 1
		.amdhsa_ieee_mode 1
		.amdhsa_fp16_overflow 0
		.amdhsa_tg_split 0
		.amdhsa_exception_fp_ieee_invalid_op 0
		.amdhsa_exception_fp_denorm_src 0
		.amdhsa_exception_fp_ieee_div_zero 0
		.amdhsa_exception_fp_ieee_overflow 0
		.amdhsa_exception_fp_ieee_underflow 0
		.amdhsa_exception_fp_ieee_inexact 0
		.amdhsa_exception_int_div_zero 0
	.end_amdhsa_kernel
	.section	.text._ZL18flash_attn_ext_f16ILi80ELi80ELi4ELi4ELb1ELb0EEvPKcS1_S1_S1_S1_PKiPfP15HIP_vector_typeIfLj2EEffffjfiS5_IjLj3EEiiiiiiiiiiiliiliiiiil,"axG",@progbits,_ZL18flash_attn_ext_f16ILi80ELi80ELi4ELi4ELb1ELb0EEvPKcS1_S1_S1_S1_PKiPfP15HIP_vector_typeIfLj2EEffffjfiS5_IjLj3EEiiiiiiiiiiiliiliiiiil,comdat
.Lfunc_end10:
	.size	_ZL18flash_attn_ext_f16ILi80ELi80ELi4ELi4ELb1ELb0EEvPKcS1_S1_S1_S1_PKiPfP15HIP_vector_typeIfLj2EEffffjfiS5_IjLj3EEiiiiiiiiiiiliiliiiiil, .Lfunc_end10-_ZL18flash_attn_ext_f16ILi80ELi80ELi4ELi4ELb1ELb0EEvPKcS1_S1_S1_S1_PKiPfP15HIP_vector_typeIfLj2EEffffjfiS5_IjLj3EEiiiiiiiiiiiliiliiiiil
                                        ; -- End function
	.set _ZL18flash_attn_ext_f16ILi80ELi80ELi4ELi4ELb1ELb0EEvPKcS1_S1_S1_S1_PKiPfP15HIP_vector_typeIfLj2EEffffjfiS5_IjLj3EEiiiiiiiiiiiliiliiiiil.num_vgpr, max(1, .L_ZL14no_device_codePKciS0_iS0_.num_vgpr)
	.set _ZL18flash_attn_ext_f16ILi80ELi80ELi4ELi4ELb1ELb0EEvPKcS1_S1_S1_S1_PKiPfP15HIP_vector_typeIfLj2EEffffjfiS5_IjLj3EEiiiiiiiiiiiliiliiiiil.num_agpr, max(0, .L_ZL14no_device_codePKciS0_iS0_.num_agpr)
	.set _ZL18flash_attn_ext_f16ILi80ELi80ELi4ELi4ELb1ELb0EEvPKcS1_S1_S1_S1_PKiPfP15HIP_vector_typeIfLj2EEffffjfiS5_IjLj3EEiiiiiiiiiiiliiliiiiil.numbered_sgpr, max(33, .L_ZL14no_device_codePKciS0_iS0_.numbered_sgpr)
	.set _ZL18flash_attn_ext_f16ILi80ELi80ELi4ELi4ELb1ELb0EEvPKcS1_S1_S1_S1_PKiPfP15HIP_vector_typeIfLj2EEffffjfiS5_IjLj3EEiiiiiiiiiiiliiliiiiil.num_named_barrier, max(0, .L_ZL14no_device_codePKciS0_iS0_.num_named_barrier)
	.set _ZL18flash_attn_ext_f16ILi80ELi80ELi4ELi4ELb1ELb0EEvPKcS1_S1_S1_S1_PKiPfP15HIP_vector_typeIfLj2EEffffjfiS5_IjLj3EEiiiiiiiiiiiliiliiiiil.private_seg_size, 0+max(.L_ZL14no_device_codePKciS0_iS0_.private_seg_size)
	.set _ZL18flash_attn_ext_f16ILi80ELi80ELi4ELi4ELb1ELb0EEvPKcS1_S1_S1_S1_PKiPfP15HIP_vector_typeIfLj2EEffffjfiS5_IjLj3EEiiiiiiiiiiiliiliiiiil.uses_vcc, or(1, .L_ZL14no_device_codePKciS0_iS0_.uses_vcc)
	.set _ZL18flash_attn_ext_f16ILi80ELi80ELi4ELi4ELb1ELb0EEvPKcS1_S1_S1_S1_PKiPfP15HIP_vector_typeIfLj2EEffffjfiS5_IjLj3EEiiiiiiiiiiiliiliiiiil.uses_flat_scratch, or(0, .L_ZL14no_device_codePKciS0_iS0_.uses_flat_scratch)
	.set _ZL18flash_attn_ext_f16ILi80ELi80ELi4ELi4ELb1ELb0EEvPKcS1_S1_S1_S1_PKiPfP15HIP_vector_typeIfLj2EEffffjfiS5_IjLj3EEiiiiiiiiiiiliiliiiiil.has_dyn_sized_stack, or(0, .L_ZL14no_device_codePKciS0_iS0_.has_dyn_sized_stack)
	.set _ZL18flash_attn_ext_f16ILi80ELi80ELi4ELi4ELb1ELb0EEvPKcS1_S1_S1_S1_PKiPfP15HIP_vector_typeIfLj2EEffffjfiS5_IjLj3EEiiiiiiiiiiiliiliiiiil.has_recursion, or(0, .L_ZL14no_device_codePKciS0_iS0_.has_recursion)
	.set _ZL18flash_attn_ext_f16ILi80ELi80ELi4ELi4ELb1ELb0EEvPKcS1_S1_S1_S1_PKiPfP15HIP_vector_typeIfLj2EEffffjfiS5_IjLj3EEiiiiiiiiiiiliiliiiiil.has_indirect_call, or(0, .L_ZL14no_device_codePKciS0_iS0_.has_indirect_call)
	.section	.AMDGPU.csdata,"",@progbits
; Kernel info:
; codeLenInByte = 48
; TotalNumSgprs: 40
; NumVgprs: 52
; NumAgprs: 0
; TotalNumVgprs: 52
; ScratchSize: 16
; MemoryBound: 0
; FloatMode: 240
; IeeeMode: 1
; LDSByteSize: 0 bytes/workgroup (compile time only)
; SGPRBlocks: 4
; VGPRBlocks: 6
; NumSGPRsForWavesPerEU: 40
; NumVGPRsForWavesPerEU: 52
; AccumOffset: 52
; Occupancy: 8
; WaveLimiterHint : 1
; COMPUTE_PGM_RSRC2:SCRATCH_EN: 1
; COMPUTE_PGM_RSRC2:USER_SGPR: 2
; COMPUTE_PGM_RSRC2:TRAP_HANDLER: 0
; COMPUTE_PGM_RSRC2:TGID_X_EN: 1
; COMPUTE_PGM_RSRC2:TGID_Y_EN: 0
; COMPUTE_PGM_RSRC2:TGID_Z_EN: 0
; COMPUTE_PGM_RSRC2:TIDIG_COMP_CNT: 0
; COMPUTE_PGM_RSRC3_GFX90A:ACCUM_OFFSET: 12
; COMPUTE_PGM_RSRC3_GFX90A:TG_SPLIT: 0
	.section	.text._ZL33flash_attn_stream_k_fixup_uniformILi80ELi4ELi4EEvPfPK15HIP_vector_typeIfLj2EEiiiiiiS1_IjLj3EES5_S5_,"axG",@progbits,_ZL33flash_attn_stream_k_fixup_uniformILi80ELi4ELi4EEvPfPK15HIP_vector_typeIfLj2EEiiiiiiS1_IjLj3EES5_S5_,comdat
	.globl	_ZL33flash_attn_stream_k_fixup_uniformILi80ELi4ELi4EEvPfPK15HIP_vector_typeIfLj2EEiiiiiiS1_IjLj3EES5_S5_ ; -- Begin function _ZL33flash_attn_stream_k_fixup_uniformILi80ELi4ELi4EEvPfPK15HIP_vector_typeIfLj2EEiiiiiiS1_IjLj3EES5_S5_
	.p2align	8
	.type	_ZL33flash_attn_stream_k_fixup_uniformILi80ELi4ELi4EEvPfPK15HIP_vector_typeIfLj2EEiiiiiiS1_IjLj3EES5_S5_,@function
_ZL33flash_attn_stream_k_fixup_uniformILi80ELi4ELi4EEvPfPK15HIP_vector_typeIfLj2EEiiiiiiS1_IjLj3EES5_S5_: ; @_ZL33flash_attn_stream_k_fixup_uniformILi80ELi4ELi4EEvPfPK15HIP_vector_typeIfLj2EEiiiiiiS1_IjLj3EES5_S5_
; %bb.0:
	s_load_dwordx8 s[8:15], s[0:1], 0x1c
	s_load_dwordx2 s[6:7], s[0:1], 0x10
	s_load_dwordx4 s[16:19], s[0:1], 0x3c
	s_waitcnt lgkmcnt(0)
	s_mul_hi_u32 s5, s11, s2
	s_add_i32 s5, s2, s5
	s_lshr_b32 s5, s5, s12
	s_mul_i32 s11, s5, s13
	s_sub_i32 s12, s2, s11
	s_mul_hi_u32 s11, s12, s14
	s_add_i32 s11, s12, s11
	s_lshr_b32 s11, s11, s15
	s_mul_i32 s13, s11, s16
	s_sub_i32 s12, s12, s13
	;; [unrolled: 5-line block ×3, first 2 shown]
	s_lshl_b32 s12, s16, 2
	s_lshl_b32 s17, s13, 2
	s_add_i32 s12, s12, s3
	s_cmp_lt_i32 s12, s6
	s_cselect_b64 s[12:13], -1, 0
	s_add_i32 s17, s17, s4
	s_cmp_lt_i32 s17, s9
	s_cselect_b64 s[14:15], -1, 0
	s_and_b64 s[12:13], s[12:13], s[14:15]
	s_andn2_b64 vcc, exec, s[12:13]
	s_cbranch_vccnz .LBB11_6
; %bb.1:
	s_load_dwordx4 s[12:15], s[0:1], 0x0
	s_mul_i32 s0, s5, s6
	s_mul_i32 s11, s11, s9
	s_add_i32 s0, s0, s3
	s_mul_i32 s0, s0, s7
	s_add_i32 s5, s17, s11
	;; [unrolled: 2-line block ×3, first 2 shown]
	s_mulk_i32 s1, 0x140
	s_mulk_i32 s0, 0x50
	s_add_i32 s0, s0, s1
	v_add_u32_e32 v4, s0, v0
	s_waitcnt lgkmcnt(0)
	v_mov_b32_e32 v2, s12
	v_mov_b32_e32 v3, s13
	v_ashrrev_i32_e32 v5, 31, v4
	v_lshl_add_u64 v[2:3], v[4:5], 2, v[2:3]
	global_load_dword v5, v[2:3], off
	s_mul_i32 s5, s10, s2
	s_lshl_b32 s11, s3, 2
	s_add_i32 s9, s5, s10
	s_add_i32 s0, s11, s4
	s_lshl_b32 s1, s9, 4
	s_add_i32 s0, s0, s1
	s_add_i32 s0, s0, -16
	s_ashr_i32 s1, s0, 31
	s_lshl_b64 s[0:1], s[0:1], 3
	s_add_u32 s0, s14, s0
	s_addc_u32 s1, s15, s1
	s_load_dword s12, s[0:1], 0x4
	s_add_i32 s6, s9, -2
	s_cmp_lt_i32 s6, s5
	s_cbranch_scc1 .LBB11_4
; %bb.2:
	s_lshl_b32 s6, s8, 6
	s_ashr_i32 s7, s6, 31
	s_lshl_b64 s[6:7], s[6:7], 2
	s_add_u32 s6, s14, s6
	s_addc_u32 s7, s15, s7
	s_add_i32 s2, s2, 1
	s_load_dword s0, s[0:1], 0x0
	s_mul_i32 s1, s10, s2
	s_lshl_b32 s2, s1, 4
	s_add_i32 s2, s4, s2
	s_mulk_i32 s3, 0x140
	s_mulk_i32 s4, 0x50
	s_lshl_b32 s8, s8, 4
	s_mulk_i32 s1, 0x500
	s_add_i32 s3, s4, s3
	s_add_i32 s2, s2, s8
	;; [unrolled: 1-line block ×4, first 2 shown]
	v_add_u32_e32 v0, s3, v0
	s_add_i32 s9, s9, -1
	s_sub_i32 s2, s2, 32
	v_add_u32_e32 v0, 0xfffff600, v0
	s_waitcnt lgkmcnt(0)
	v_mov_b32_e32 v7, s0
	v_mov_b32_e32 v4, s12
	s_mov_b32 s4, 0x3fb8aa3b
	s_mov_b32 s8, 0xc2ce8ed0
	;; [unrolled: 1-line block ×3, first 2 shown]
	v_mov_b32_e32 v6, 0x7f800000
	s_mov_b32 s11, 0xc1a00000
.LBB11_3:                               ; =>This Inner Loop Header: Depth=1
	v_ashrrev_i32_e32 v1, 31, v0
	v_lshl_add_u64 v[8:9], v[0:1], 2, s[6:7]
	global_load_dword v9, v[8:9], off
	s_ashr_i32 s3, s2, 31
	s_lshl_b64 s[0:1], s[2:3], 3
	s_add_u32 s0, s14, s0
	s_addc_u32 s1, s15, s1
	s_load_dwordx2 s[0:1], s[0:1], 0x0
	v_max_f32_e32 v1, v7, v7
	s_add_i32 s9, s9, -1
	s_add_i32 s2, s2, -16
	v_add_u32_e32 v0, 0xfffffb00, v0
	s_waitcnt lgkmcnt(0)
	v_max_f32_e64 v10, s0, s0
	v_max_f32_e32 v1, v1, v10
	v_sub_f32_e32 v11, s0, v1
	v_sub_f32_e32 v10, v7, v1
	v_mul_f32_e32 v12, 0x3fb8aa3b, v11
	v_mov_b32_e32 v7, v1
	v_mul_f32_e32 v1, 0x3fb8aa3b, v10
	v_fma_f32 v15, v11, s4, -v12
	v_rndne_f32_e32 v16, v12
	v_fma_f32 v13, v10, s4, -v1
	v_rndne_f32_e32 v14, v1
	v_fmac_f32_e32 v15, 0x32a5705f, v11
	v_sub_f32_e32 v12, v12, v16
	v_fmac_f32_e32 v13, 0x32a5705f, v10
	v_sub_f32_e32 v1, v1, v14
	v_add_f32_e32 v12, v12, v15
	v_cvt_i32_f32_e32 v16, v16
	v_add_f32_e32 v1, v1, v13
	v_exp_f32_e32 v12, v12
	v_cvt_i32_f32_e32 v14, v14
	v_exp_f32_e32 v1, v1
	v_cmp_ngt_f32_e32 vcc, s8, v11
	v_ldexp_f32 v12, v12, v16
	v_mov_b32_e32 v8, s1
	v_ldexp_f32 v1, v1, v14
	v_cmp_ngt_f32_e64 s[0:1], s8, v10
	v_cndmask_b32_e32 v12, 0, v12, vcc
	v_cmp_nlt_f32_e32 vcc, s10, v11
	v_cndmask_b32_e64 v1, 0, v1, s[0:1]
	v_cmp_nlt_f32_e64 s[0:1], s10, v10
	v_cndmask_b32_e32 v12, v6, v12, vcc
	v_cmp_le_f32_e32 vcc, s11, v11
	v_cndmask_b32_e64 v1, v6, v1, s[0:1]
	v_cmp_le_f32_e64 s[0:1], s11, v10
	v_cndmask_b32_e32 v12, 0, v12, vcc
	s_cmp_le_i32 s9, s5
	v_cndmask_b32_e64 v10, 0, v1, s[0:1]
	s_waitcnt vmcnt(0)
	v_pk_mul_f32 v[8:9], v[8:9], v[12:13] op_sel_hi:[1,0]
	s_nop 0
	v_pk_fma_f32 v[4:5], v[4:5], v[10:11], v[8:9] op_sel_hi:[1,0,1]
	s_cbranch_scc0 .LBB11_3
	s_branch .LBB11_5
.LBB11_4:
	s_waitcnt lgkmcnt(0)
	v_mov_b32_e32 v4, s12
.LBB11_5:
	s_waitcnt vmcnt(0)
	v_div_scale_f32 v0, s[0:1], v4, v4, v5
	v_rcp_f32_e32 v1, v0
	v_div_scale_f32 v6, vcc, v5, v4, v5
	v_fma_f32 v7, -v0, v1, 1.0
	v_fmac_f32_e32 v1, v7, v1
	v_mul_f32_e32 v7, v6, v1
	v_fma_f32 v8, -v0, v7, v6
	v_fmac_f32_e32 v7, v8, v1
	v_fma_f32 v0, -v0, v7, v6
	v_div_fmas_f32 v0, v0, v1, v7
	v_div_fixup_f32 v0, v0, v4, v5
	global_store_dword v[2:3], v0, off
.LBB11_6:
	s_endpgm
	.section	.rodata,"a",@progbits
	.p2align	6, 0x0
	.amdhsa_kernel _ZL33flash_attn_stream_k_fixup_uniformILi80ELi4ELi4EEvPfPK15HIP_vector_typeIfLj2EEiiiiiiS1_IjLj3EES5_S5_
		.amdhsa_group_segment_fixed_size 0
		.amdhsa_private_segment_fixed_size 0
		.amdhsa_kernarg_size 76
		.amdhsa_user_sgpr_count 2
		.amdhsa_user_sgpr_dispatch_ptr 0
		.amdhsa_user_sgpr_queue_ptr 0
		.amdhsa_user_sgpr_kernarg_segment_ptr 1
		.amdhsa_user_sgpr_dispatch_id 0
		.amdhsa_user_sgpr_kernarg_preload_length 0
		.amdhsa_user_sgpr_kernarg_preload_offset 0
		.amdhsa_user_sgpr_private_segment_size 0
		.amdhsa_uses_dynamic_stack 0
		.amdhsa_enable_private_segment 0
		.amdhsa_system_sgpr_workgroup_id_x 1
		.amdhsa_system_sgpr_workgroup_id_y 1
		.amdhsa_system_sgpr_workgroup_id_z 1
		.amdhsa_system_sgpr_workgroup_info 0
		.amdhsa_system_vgpr_workitem_id 0
		.amdhsa_next_free_vgpr 17
		.amdhsa_next_free_sgpr 20
		.amdhsa_accum_offset 20
		.amdhsa_reserve_vcc 1
		.amdhsa_float_round_mode_32 0
		.amdhsa_float_round_mode_16_64 0
		.amdhsa_float_denorm_mode_32 3
		.amdhsa_float_denorm_mode_16_64 3
		.amdhsa_dx10_clamp 1
		.amdhsa_ieee_mode 1
		.amdhsa_fp16_overflow 0
		.amdhsa_tg_split 0
		.amdhsa_exception_fp_ieee_invalid_op 0
		.amdhsa_exception_fp_denorm_src 0
		.amdhsa_exception_fp_ieee_div_zero 0
		.amdhsa_exception_fp_ieee_overflow 0
		.amdhsa_exception_fp_ieee_underflow 0
		.amdhsa_exception_fp_ieee_inexact 0
		.amdhsa_exception_int_div_zero 0
	.end_amdhsa_kernel
	.section	.text._ZL33flash_attn_stream_k_fixup_uniformILi80ELi4ELi4EEvPfPK15HIP_vector_typeIfLj2EEiiiiiiS1_IjLj3EES5_S5_,"axG",@progbits,_ZL33flash_attn_stream_k_fixup_uniformILi80ELi4ELi4EEvPfPK15HIP_vector_typeIfLj2EEiiiiiiS1_IjLj3EES5_S5_,comdat
.Lfunc_end11:
	.size	_ZL33flash_attn_stream_k_fixup_uniformILi80ELi4ELi4EEvPfPK15HIP_vector_typeIfLj2EEiiiiiiS1_IjLj3EES5_S5_, .Lfunc_end11-_ZL33flash_attn_stream_k_fixup_uniformILi80ELi4ELi4EEvPfPK15HIP_vector_typeIfLj2EEiiiiiiS1_IjLj3EES5_S5_
                                        ; -- End function
	.set _ZL33flash_attn_stream_k_fixup_uniformILi80ELi4ELi4EEvPfPK15HIP_vector_typeIfLj2EEiiiiiiS1_IjLj3EES5_S5_.num_vgpr, 17
	.set _ZL33flash_attn_stream_k_fixup_uniformILi80ELi4ELi4EEvPfPK15HIP_vector_typeIfLj2EEiiiiiiS1_IjLj3EES5_S5_.num_agpr, 0
	.set _ZL33flash_attn_stream_k_fixup_uniformILi80ELi4ELi4EEvPfPK15HIP_vector_typeIfLj2EEiiiiiiS1_IjLj3EES5_S5_.numbered_sgpr, 20
	.set _ZL33flash_attn_stream_k_fixup_uniformILi80ELi4ELi4EEvPfPK15HIP_vector_typeIfLj2EEiiiiiiS1_IjLj3EES5_S5_.num_named_barrier, 0
	.set _ZL33flash_attn_stream_k_fixup_uniformILi80ELi4ELi4EEvPfPK15HIP_vector_typeIfLj2EEiiiiiiS1_IjLj3EES5_S5_.private_seg_size, 0
	.set _ZL33flash_attn_stream_k_fixup_uniformILi80ELi4ELi4EEvPfPK15HIP_vector_typeIfLj2EEiiiiiiS1_IjLj3EES5_S5_.uses_vcc, 1
	.set _ZL33flash_attn_stream_k_fixup_uniformILi80ELi4ELi4EEvPfPK15HIP_vector_typeIfLj2EEiiiiiiS1_IjLj3EES5_S5_.uses_flat_scratch, 0
	.set _ZL33flash_attn_stream_k_fixup_uniformILi80ELi4ELi4EEvPfPK15HIP_vector_typeIfLj2EEiiiiiiS1_IjLj3EES5_S5_.has_dyn_sized_stack, 0
	.set _ZL33flash_attn_stream_k_fixup_uniformILi80ELi4ELi4EEvPfPK15HIP_vector_typeIfLj2EEiiiiiiS1_IjLj3EES5_S5_.has_recursion, 0
	.set _ZL33flash_attn_stream_k_fixup_uniformILi80ELi4ELi4EEvPfPK15HIP_vector_typeIfLj2EEiiiiiiS1_IjLj3EES5_S5_.has_indirect_call, 0
	.section	.AMDGPU.csdata,"",@progbits
; Kernel info:
; codeLenInByte = 832
; TotalNumSgprs: 26
; NumVgprs: 17
; NumAgprs: 0
; TotalNumVgprs: 17
; ScratchSize: 0
; MemoryBound: 0
; FloatMode: 240
; IeeeMode: 1
; LDSByteSize: 0 bytes/workgroup (compile time only)
; SGPRBlocks: 3
; VGPRBlocks: 2
; NumSGPRsForWavesPerEU: 26
; NumVGPRsForWavesPerEU: 17
; AccumOffset: 20
; Occupancy: 8
; WaveLimiterHint : 0
; COMPUTE_PGM_RSRC2:SCRATCH_EN: 0
; COMPUTE_PGM_RSRC2:USER_SGPR: 2
; COMPUTE_PGM_RSRC2:TRAP_HANDLER: 0
; COMPUTE_PGM_RSRC2:TGID_X_EN: 1
; COMPUTE_PGM_RSRC2:TGID_Y_EN: 1
; COMPUTE_PGM_RSRC2:TGID_Z_EN: 1
; COMPUTE_PGM_RSRC2:TIDIG_COMP_CNT: 0
; COMPUTE_PGM_RSRC3_GFX90A:ACCUM_OFFSET: 4
; COMPUTE_PGM_RSRC3_GFX90A:TG_SPLIT: 0
	.section	.text._ZL33flash_attn_stream_k_fixup_generalILi80ELi4ELi4EEvPfPK15HIP_vector_typeIfLj2EEiiiiS1_IjLj3EES5_S5_S5_,"axG",@progbits,_ZL33flash_attn_stream_k_fixup_generalILi80ELi4ELi4EEvPfPK15HIP_vector_typeIfLj2EEiiiiS1_IjLj3EES5_S5_S5_,comdat
	.globl	_ZL33flash_attn_stream_k_fixup_generalILi80ELi4ELi4EEvPfPK15HIP_vector_typeIfLj2EEiiiiS1_IjLj3EES5_S5_S5_ ; -- Begin function _ZL33flash_attn_stream_k_fixup_generalILi80ELi4ELi4EEvPfPK15HIP_vector_typeIfLj2EEiiiiS1_IjLj3EES5_S5_S5_
	.p2align	8
	.type	_ZL33flash_attn_stream_k_fixup_generalILi80ELi4ELi4EEvPfPK15HIP_vector_typeIfLj2EEiiiiS1_IjLj3EES5_S5_S5_,@function
_ZL33flash_attn_stream_k_fixup_generalILi80ELi4ELi4EEvPfPK15HIP_vector_typeIfLj2EEiiiiS1_IjLj3EES5_S5_S5_: ; @_ZL33flash_attn_stream_k_fixup_generalILi80ELi4ELi4EEvPfPK15HIP_vector_typeIfLj2EEiiiiS1_IjLj3EES5_S5_S5_
; %bb.0:
	s_load_dwordx4 s[8:11], s[0:1], 0x10
	s_load_dword s22, s[0:1], 0x50
	s_mov_b32 s12, 0
	s_waitcnt lgkmcnt(0)
	s_mul_hi_i32 s13, s11, s2
	s_cmp_lg_u64 s[12:13], 0
	s_mul_i32 s5, s11, s2
	s_cbranch_scc0 .LBB12_20
; %bb.1:
	s_add_u32 s6, s22, 0
	s_addc_u32 s7, 0, 0
	s_xor_b64 s[6:7], s[6:7], 0
	v_cvt_f32_u32_e32 v1, s6
	v_cvt_f32_u32_e32 v2, s7
	s_sub_u32 s12, 0, s6
	s_subb_u32 s18, 0, s7
	v_fmamk_f32 v1, v2, 0x4f800000, v1
	v_rcp_f32_e32 v1, v1
	s_nop 0
	v_mul_f32_e32 v1, 0x5f7ffffc, v1
	v_mul_f32_e32 v2, 0x2f800000, v1
	v_trunc_f32_e32 v2, v2
	v_fmamk_f32 v1, v2, 0xcf800000, v1
	v_cvt_u32_f32_e32 v2, v2
	v_cvt_u32_f32_e32 v1, v1
	v_readfirstlane_b32 s19, v2
	v_readfirstlane_b32 s14, v1
	s_mul_i32 s15, s12, s19
	s_mul_hi_u32 s21, s12, s14
	s_mul_i32 s20, s18, s14
	s_add_i32 s15, s21, s15
	s_add_i32 s15, s15, s20
	s_mul_i32 s23, s12, s14
	s_mul_i32 s21, s14, s15
	s_mul_hi_u32 s24, s14, s23
	s_mul_hi_u32 s20, s14, s15
	s_add_u32 s21, s24, s21
	s_addc_u32 s20, 0, s20
	s_mul_hi_u32 s25, s19, s23
	s_mul_i32 s23, s19, s23
	s_add_u32 s21, s21, s23
	s_mul_hi_u32 s24, s19, s15
	s_addc_u32 s20, s20, s25
	s_addc_u32 s21, s24, 0
	s_mul_i32 s15, s19, s15
	s_add_u32 s15, s20, s15
	s_addc_u32 s20, 0, s21
	s_add_u32 s21, s14, s15
	s_cselect_b64 s[14:15], -1, 0
	s_cmp_lg_u64 s[14:15], 0
	s_addc_u32 s19, s19, s20
	s_mul_i32 s14, s12, s19
	s_mul_hi_u32 s15, s12, s21
	s_add_i32 s14, s15, s14
	s_mul_i32 s18, s18, s21
	s_add_i32 s14, s14, s18
	s_mul_i32 s12, s12, s21
	s_mul_hi_u32 s18, s19, s12
	s_mul_i32 s20, s19, s12
	s_mul_i32 s24, s21, s14
	s_mul_hi_u32 s12, s21, s12
	s_mul_hi_u32 s23, s21, s14
	s_add_u32 s12, s12, s24
	s_addc_u32 s23, 0, s23
	s_add_u32 s12, s12, s20
	s_mul_hi_u32 s15, s19, s14
	s_addc_u32 s12, s23, s18
	s_addc_u32 s15, s15, 0
	s_mul_i32 s14, s19, s14
	s_add_u32 s12, s12, s14
	s_addc_u32 s18, 0, s15
	s_add_u32 s20, s21, s12
	s_cselect_b64 s[14:15], -1, 0
	s_cmp_lg_u64 s[14:15], 0
	s_addc_u32 s18, s19, s18
	s_ashr_i32 s14, s13, 31
	s_add_u32 s12, s5, s14
	s_mov_b32 s15, s14
	s_addc_u32 s13, s13, s14
	s_xor_b64 s[12:13], s[12:13], s[14:15]
	s_mul_i32 s21, s12, s18
	s_mul_hi_u32 s23, s12, s20
	s_mul_hi_u32 s19, s12, s18
	s_add_u32 s21, s23, s21
	s_addc_u32 s19, 0, s19
	s_mul_hi_u32 s24, s13, s20
	s_mul_i32 s20, s13, s20
	s_add_u32 s20, s21, s20
	s_mul_hi_u32 s23, s13, s18
	s_addc_u32 s19, s19, s24
	s_addc_u32 s20, s23, 0
	s_mul_i32 s18, s13, s18
	s_add_u32 s23, s19, s18
	s_addc_u32 s24, 0, s20
	s_mul_i32 s18, s6, s24
	s_mul_hi_u32 s19, s6, s23
	s_add_i32 s18, s19, s18
	s_mul_i32 s19, s7, s23
	s_add_i32 s25, s18, s19
	s_sub_i32 s20, s13, s25
	s_mul_i32 s18, s6, s23
	s_sub_u32 s12, s12, s18
	s_cselect_b64 s[18:19], -1, 0
	s_cmp_lg_u64 s[18:19], 0
	s_subb_u32 s26, s20, s7
	s_sub_u32 s27, s12, s6
	s_cselect_b64 s[20:21], -1, 0
	s_cmp_lg_u64 s[20:21], 0
	s_subb_u32 s20, s26, 0
	s_cmp_ge_u32 s20, s7
	s_cselect_b32 s21, -1, 0
	s_cmp_ge_u32 s27, s6
	s_cselect_b32 s26, -1, 0
	s_cmp_eq_u32 s20, s7
	s_cselect_b32 s20, s26, s21
	s_add_u32 s21, s23, 1
	s_addc_u32 s26, s24, 0
	s_add_u32 s27, s23, 2
	s_addc_u32 s28, s24, 0
	s_cmp_lg_u32 s20, 0
	s_cselect_b32 s20, s27, s21
	s_cselect_b32 s21, s28, s26
	s_cmp_lg_u64 s[18:19], 0
	s_subb_u32 s13, s13, s25
	s_cmp_ge_u32 s13, s7
	s_cselect_b32 s18, -1, 0
	s_cmp_ge_u32 s12, s6
	s_cselect_b32 s6, -1, 0
	s_cmp_eq_u32 s13, s7
	s_cselect_b32 s6, s6, s18
	s_cmp_lg_u32 s6, 0
	s_cselect_b32 s7, s21, s24
	s_cselect_b32 s6, s20, s23
	s_xor_b64 s[12:13], s[14:15], 0
	s_xor_b64 s[6:7], s[6:7], s[12:13]
	s_sub_u32 s6, s6, s12
	s_load_dwordx4 s[12:15], s[0:1], 0x44
	s_cbranch_execnz .LBB12_3
.LBB12_2:
	v_cvt_f32_u32_e32 v1, s22
	s_sub_i32 s6, 0, s22
	v_rcp_iflag_f32_e32 v1, v1
	s_nop 0
	v_mul_f32_e32 v1, 0x4f7ffffe, v1
	v_cvt_u32_f32_e32 v1, v1
	s_nop 0
	v_readfirstlane_b32 s7, v1
	s_mul_i32 s6, s6, s7
	s_mul_hi_u32 s6, s7, s6
	s_add_i32 s7, s7, s6
	s_mul_hi_u32 s6, s5, s7
	s_waitcnt lgkmcnt(0)
	s_mul_i32 s15, s6, s22
	s_sub_i32 s5, s5, s15
	s_add_i32 s7, s6, 1
	s_sub_i32 s15, s5, s22
	s_cmp_ge_u32 s5, s22
	s_cselect_b32 s6, s7, s6
	s_cselect_b32 s5, s15, s5
	s_add_i32 s7, s6, 1
	s_cmp_ge_u32 s5, s22
	s_cselect_b32 s6, s7, s6
.LBB12_3:
	s_add_i32 s5, s2, 1
	s_mul_hi_i32 s21, s11, s5
	s_mov_b32 s20, 0
	s_cmp_lg_u64 s[20:21], 0
	s_mul_i32 s5, s11, s5
	s_cbranch_scc0 .LBB12_21
; %bb.4:
	s_add_u32 s16, s22, 0
	s_addc_u32 s17, 0, 0
	s_xor_b64 s[18:19], s[16:17], 0
	v_cvt_f32_u32_e32 v1, s18
	v_cvt_f32_u32_e32 v2, s19
	s_sub_u32 s7, 0, s18
	s_waitcnt lgkmcnt(0)
	s_subb_u32 s15, 0, s19
	v_fmamk_f32 v1, v2, 0x4f800000, v1
	v_rcp_f32_e32 v1, v1
	s_nop 0
	v_mul_f32_e32 v1, 0x5f7ffffc, v1
	v_mul_f32_e32 v2, 0x2f800000, v1
	v_trunc_f32_e32 v2, v2
	v_fmamk_f32 v1, v2, 0xcf800000, v1
	v_cvt_u32_f32_e32 v2, v2
	v_cvt_u32_f32_e32 v1, v1
	v_readfirstlane_b32 s20, v2
	v_readfirstlane_b32 s23, v1
	s_mul_i32 s24, s7, s20
	s_mul_hi_u32 s26, s7, s23
	s_mul_i32 s25, s15, s23
	s_add_i32 s24, s26, s24
	s_add_i32 s24, s24, s25
	s_mul_i32 s27, s7, s23
	s_mul_i32 s26, s23, s24
	s_mul_hi_u32 s28, s23, s27
	s_mul_hi_u32 s25, s23, s24
	s_add_u32 s26, s28, s26
	s_addc_u32 s25, 0, s25
	s_mul_hi_u32 s29, s20, s27
	s_mul_i32 s27, s20, s27
	s_add_u32 s26, s26, s27
	s_mul_hi_u32 s28, s20, s24
	s_addc_u32 s25, s25, s29
	s_addc_u32 s26, s28, 0
	s_mul_i32 s24, s20, s24
	s_add_u32 s24, s25, s24
	s_addc_u32 s26, 0, s26
	s_add_u32 s23, s23, s24
	s_cselect_b64 s[24:25], -1, 0
	s_cmp_lg_u64 s[24:25], 0
	s_addc_u32 s20, s20, s26
	s_mul_i32 s24, s7, s20
	s_mul_hi_u32 s25, s7, s23
	s_add_i32 s24, s25, s24
	s_mul_i32 s15, s15, s23
	s_add_i32 s24, s24, s15
	s_mul_i32 s7, s7, s23
	s_mul_hi_u32 s25, s20, s7
	s_mul_i32 s26, s20, s7
	s_mul_i32 s28, s23, s24
	s_mul_hi_u32 s7, s23, s7
	s_mul_hi_u32 s27, s23, s24
	s_add_u32 s7, s7, s28
	s_addc_u32 s27, 0, s27
	s_add_u32 s7, s7, s26
	s_mul_hi_u32 s15, s20, s24
	s_addc_u32 s7, s27, s25
	s_addc_u32 s15, s15, 0
	s_mul_i32 s24, s20, s24
	s_add_u32 s7, s7, s24
	s_addc_u32 s15, 0, s15
	s_add_u32 s7, s23, s7
	s_cselect_b64 s[24:25], -1, 0
	s_cmp_lg_u64 s[24:25], 0
	s_addc_u32 s15, s20, s15
	s_ashr_i32 s24, s21, 31
	s_add_u32 s20, s5, s24
	s_mov_b32 s25, s24
	s_addc_u32 s21, s21, s24
	s_xor_b64 s[20:21], s[20:21], s[24:25]
	s_mul_i32 s26, s20, s15
	s_mul_hi_u32 s27, s20, s7
	s_mul_hi_u32 s23, s20, s15
	s_add_u32 s26, s27, s26
	s_addc_u32 s23, 0, s23
	s_mul_hi_u32 s28, s21, s7
	s_mul_i32 s7, s21, s7
	s_add_u32 s7, s26, s7
	s_mul_hi_u32 s27, s21, s15
	s_addc_u32 s7, s23, s28
	s_addc_u32 s23, s27, 0
	s_mul_i32 s15, s21, s15
	s_add_u32 s7, s7, s15
	s_addc_u32 s15, 0, s23
	s_mul_i32 s23, s18, s15
	s_mul_hi_u32 s26, s18, s7
	s_add_i32 s23, s26, s23
	s_mul_i32 s26, s19, s7
	s_add_i32 s23, s23, s26
	s_sub_i32 s28, s21, s23
	s_mul_i32 s26, s18, s7
	s_sub_u32 s20, s20, s26
	s_cselect_b64 s[26:27], -1, 0
	s_cmp_lg_u64 s[26:27], 0
	s_subb_u32 s30, s28, s19
	s_sub_u32 s31, s20, s18
	s_cselect_b64 s[28:29], -1, 0
	s_cmp_lg_u64 s[28:29], 0
	s_subb_u32 s28, s30, 0
	s_cmp_ge_u32 s28, s19
	s_cselect_b32 s29, -1, 0
	s_cmp_ge_u32 s31, s18
	s_cselect_b32 s30, -1, 0
	s_cmp_eq_u32 s28, s19
	s_cselect_b32 s28, s30, s29
	s_add_u32 s29, s7, 1
	s_addc_u32 s30, s15, 0
	s_add_u32 s31, s7, 2
	s_addc_u32 s33, s15, 0
	s_cmp_lg_u32 s28, 0
	s_cselect_b32 s28, s31, s29
	s_cselect_b32 s29, s33, s30
	s_cmp_lg_u64 s[26:27], 0
	s_subb_u32 s21, s21, s23
	s_cmp_ge_u32 s21, s19
	s_cselect_b32 s23, -1, 0
	s_cmp_ge_u32 s20, s18
	s_cselect_b32 s18, -1, 0
	s_cmp_eq_u32 s21, s19
	s_cselect_b32 s18, s18, s23
	s_cmp_lg_u32 s18, 0
	s_cselect_b32 s19, s29, s15
	s_cselect_b32 s18, s28, s7
	s_xor_b64 s[20:21], s[24:25], 0
	s_xor_b64 s[18:19], s[18:19], s[20:21]
	s_sub_u32 s18, s18, s20
	s_cbranch_execnz .LBB12_6
.LBB12_5:
	v_cvt_f32_u32_e32 v1, s22
	s_sub_i32 s7, 0, s22
	v_rcp_iflag_f32_e32 v1, v1
	s_nop 0
	v_mul_f32_e32 v1, 0x4f7ffffe, v1
	v_cvt_u32_f32_e32 v1, v1
	s_waitcnt lgkmcnt(0)
	v_readfirstlane_b32 s15, v1
	s_mul_i32 s7, s7, s15
	s_mul_hi_u32 s7, s15, s7
	s_add_i32 s15, s15, s7
	s_mul_hi_u32 s7, s5, s15
	s_mul_i32 s16, s7, s22
	s_sub_i32 s5, s5, s16
	s_add_i32 s15, s7, 1
	s_sub_i32 s16, s5, s22
	s_cmp_ge_u32 s5, s22
	s_cselect_b32 s7, s15, s7
	s_cselect_b32 s5, s16, s5
	s_add_i32 s15, s7, 1
	s_cmp_ge_u32 s5, s22
	s_cselect_b32 s18, s15, s7
.LBB12_6:
	s_cmp_eq_u32 s6, s18
	s_waitcnt lgkmcnt(0)
	s_mul_hi_u32 s5, s6, s12
	s_cselect_b64 s[16:17], -1, 0
	s_add_i32 s5, s5, s6
	s_lshr_b32 s7, s5, s13
	s_mul_i32 s5, s7, s14
	s_cmp_eq_u32 s5, s6
	s_mul_hi_u32 s5, s18, s12
	s_cselect_b64 s[20:21], -1, 0
	s_add_i32 s5, s5, s18
	s_lshr_b32 s5, s5, s13
	s_cmp_eq_u32 s7, s5
	s_mul_i32 s5, s5, s14
	s_cselect_b64 s[24:25], -1, 0
	s_cmp_lg_u32 s5, s18
	s_cselect_b64 s[18:19], -1, 0
	s_and_b64 s[18:19], s[24:25], s[18:19]
	s_or_b64 s[16:17], s[16:17], s[20:21]
	s_or_b64 s[16:17], s[16:17], s[18:19]
	s_and_b64 vcc, exec, s[16:17]
	s_cbranch_vccnz .LBB12_23
; %bb.7:
	s_load_dwordx8 s[24:31], s[0:1], 0x20
	s_load_dword s5, s[0:1], 0x40
	s_waitcnt lgkmcnt(0)
	s_mul_hi_u32 s15, s6, s24
	s_add_i32 s15, s15, s6
	s_lshr_b32 s20, s15, s25
	s_mul_i32 s15, s20, s26
	s_sub_i32 s15, s6, s15
	s_mul_hi_u32 s16, s15, s27
	s_add_i32 s16, s15, s16
	s_lshr_b32 s21, s16, s28
	s_mul_i32 s16, s21, s29
	s_sub_i32 s15, s15, s16
	;; [unrolled: 5-line block ×3, first 2 shown]
	s_mul_hi_u32 s15, s5, s12
	s_add_i32 s5, s5, s15
	s_lshr_b32 s23, s5, s13
	s_lshl_b32 s5, s23, 2
	s_lshl_b32 s24, s16, 2
	s_add_i32 s5, s5, s3
	s_cmp_lt_i32 s5, s8
	s_cselect_b64 s[16:17], -1, 0
	s_add_i32 s24, s24, s4
	s_cmp_lt_i32 s24, s10
	s_cselect_b64 s[18:19], -1, 0
	s_and_b64 s[16:17], s[16:17], s[18:19]
	s_andn2_b64 vcc, exec, s[16:17]
	s_cbranch_vccnz .LBB12_23
; %bb.8:
	s_load_dwordx4 s[16:19], s[0:1], 0x0
	s_mov_b32 s0, 0
	s_lshl_b32 s15, s3, 2
	s_lshl_b32 s26, s22, 6
	s_mov_b32 s27, s0
	s_add_i32 s15, s15, s4
	s_lshl_b64 s[4:5], s[26:27], 2
	s_waitcnt lgkmcnt(0)
	s_add_u32 s4, s18, s4
	s_mul_i32 s1, s20, s8
	s_addc_u32 s5, s19, s5
	s_mul_i32 s21, s21, s10
	s_add_i32 s1, s1, s3
	s_mul_i32 s1, s1, s9
	s_add_i32 s3, s24, s21
	;; [unrolled: 2-line block ×3, first 2 shown]
	s_mulk_i32 s8, 0x140
	s_mulk_i32 s1, 0x50
	s_add_i32 s8, s8, s1
	v_add_u32_e32 v4, s8, v0
	v_mov_b32_e32 v2, s16
	v_mov_b32_e32 v3, s17
	v_ashrrev_i32_e32 v5, 31, v4
	v_lshl_add_u64 v[2:3], v[4:5], 2, v[2:3]
	global_load_dword v1, v[2:3], off
	v_cvt_f32_u32_e32 v4, s22
	s_lshl_b32 s1, s2, 4
	s_add_i32 s8, s15, s1
	s_ashr_i32 s9, s8, 31
	s_lshl_b64 s[8:9], s[8:9], 3
	v_rcp_iflag_f32_e32 v4, v4
	s_add_u32 s8, s18, s8
	s_addc_u32 s9, s19, s9
	s_load_dwordx2 s[8:9], s[8:9], 0x0
	v_mul_f32_e32 v4, 0x4f7ffffe, v4
	v_cvt_u32_f32_e32 v7, v4
	s_mul_i32 s1, s15, 0x50
	s_add_i32 s21, s2, -1
	v_add_u32_e32 v6, s1, v0
	s_waitcnt lgkmcnt(0)
	v_mov_b32_e32 v0, s9
	v_mov_b32_e32 v9, s8
	s_mov_b32 s10, 0x3fb8aa3b
	s_mov_b32 s20, 0xc2ce8ed0
	;; [unrolled: 1-line block ×4, first 2 shown]
	v_mov_b32_e32 v8, 0x7f800000
	s_mul_hi_i32 s1, s21, s11
	s_cmp_lg_u64 s[0:1], 0
	s_mul_i32 s16, s21, s11
	s_cbranch_scc0 .LBB12_19
.LBB12_9:
	s_add_u32 s2, s22, 0
	s_addc_u32 s3, 0, 0
	s_xor_b64 s[2:3], s[2:3], 0
	v_cvt_f32_u32_e32 v4, s2
	v_cvt_f32_u32_e32 v5, s3
	s_sub_u32 s17, 0, s2
	s_subb_u32 s25, 0, s3
	v_fmac_f32_e32 v4, 0x4f800000, v5
	v_rcp_f32_e32 v4, v4
	s_nop 0
	v_mul_f32_e32 v4, 0x5f7ffffc, v4
	v_mul_f32_e32 v5, 0x2f800000, v4
	v_trunc_f32_e32 v5, v5
	v_fmac_f32_e32 v4, 0xcf800000, v5
	v_cvt_u32_f32_e32 v5, v5
	v_cvt_u32_f32_e32 v4, v4
	v_readfirstlane_b32 s26, v5
	v_readfirstlane_b32 s8, v4
	s_mul_i32 s9, s17, s26
	s_mul_hi_u32 s28, s17, s8
	s_mul_i32 s27, s25, s8
	s_add_i32 s9, s28, s9
	s_mul_i32 s29, s17, s8
	s_add_i32 s9, s9, s27
	s_mul_i32 s28, s8, s9
	s_mul_hi_u32 s30, s8, s29
	s_mul_hi_u32 s27, s8, s9
	s_add_u32 s28, s30, s28
	s_addc_u32 s27, 0, s27
	s_mul_hi_u32 s31, s26, s29
	s_mul_i32 s29, s26, s29
	s_add_u32 s28, s28, s29
	s_mul_hi_u32 s30, s26, s9
	s_addc_u32 s27, s27, s31
	s_addc_u32 s28, s30, 0
	s_mul_i32 s9, s26, s9
	s_add_u32 s9, s27, s9
	s_addc_u32 s27, 0, s28
	s_add_u32 s28, s8, s9
	s_cselect_b64 s[8:9], -1, 0
	s_cmp_lg_u64 s[8:9], 0
	s_addc_u32 s26, s26, s27
	s_mul_i32 s8, s17, s26
	s_mul_hi_u32 s9, s17, s28
	s_add_i32 s8, s9, s8
	s_mul_i32 s25, s25, s28
	s_add_i32 s8, s8, s25
	s_mul_i32 s17, s17, s28
	s_mul_hi_u32 s25, s26, s17
	s_mul_i32 s27, s26, s17
	s_mul_i32 s30, s28, s8
	s_mul_hi_u32 s17, s28, s17
	s_mul_hi_u32 s29, s28, s8
	s_add_u32 s17, s17, s30
	s_addc_u32 s29, 0, s29
	s_add_u32 s17, s17, s27
	s_mul_hi_u32 s9, s26, s8
	s_addc_u32 s17, s29, s25
	s_addc_u32 s9, s9, 0
	s_mul_i32 s8, s26, s8
	s_add_u32 s8, s17, s8
	s_addc_u32 s17, 0, s9
	s_add_u32 s25, s28, s8
	s_cselect_b64 s[8:9], -1, 0
	s_cmp_lg_u64 s[8:9], 0
	s_addc_u32 s17, s26, s17
	s_ashr_i32 s8, s1, 31
	s_add_u32 s26, s16, s8
	s_mov_b32 s9, s8
	s_addc_u32 s27, s1, s8
	s_xor_b64 s[26:27], s[26:27], s[8:9]
	s_mul_i32 s28, s26, s17
	s_mul_hi_u32 s29, s26, s25
	s_mul_hi_u32 s1, s26, s17
	s_add_u32 s28, s29, s28
	s_addc_u32 s1, 0, s1
	s_mul_hi_u32 s30, s27, s25
	s_mul_i32 s25, s27, s25
	s_add_u32 s25, s28, s25
	s_mul_hi_u32 s29, s27, s17
	s_addc_u32 s1, s1, s30
	s_addc_u32 s25, s29, 0
	s_mul_i32 s17, s27, s17
	s_add_u32 s1, s1, s17
	s_addc_u32 s17, 0, s25
	s_mul_i32 s25, s2, s17
	s_mul_hi_u32 s28, s2, s1
	s_add_i32 s25, s28, s25
	s_mul_i32 s28, s3, s1
	s_add_i32 s25, s25, s28
	s_sub_i32 s30, s27, s25
	s_mul_i32 s28, s2, s1
	s_sub_u32 s26, s26, s28
	s_cselect_b64 s[28:29], -1, 0
	s_cmp_lg_u64 s[28:29], 0
	s_subb_u32 s33, s30, s3
	s_sub_u32 s34, s26, s2
	s_cselect_b64 s[30:31], -1, 0
	s_cmp_lg_u64 s[30:31], 0
	s_subb_u32 s30, s33, 0
	s_cmp_ge_u32 s30, s3
	s_cselect_b32 s31, -1, 0
	s_cmp_ge_u32 s34, s2
	s_cselect_b32 s33, -1, 0
	s_cmp_eq_u32 s30, s3
	s_cselect_b32 s30, s33, s31
	s_add_u32 s31, s1, 1
	s_addc_u32 s33, s17, 0
	s_add_u32 s34, s1, 2
	s_addc_u32 s35, s17, 0
	s_cmp_lg_u32 s30, 0
	s_cselect_b32 s30, s34, s31
	s_cselect_b32 s31, s35, s33
	s_cmp_lg_u64 s[28:29], 0
	s_subb_u32 s25, s27, s25
	s_cmp_ge_u32 s25, s3
	s_cselect_b32 s27, -1, 0
	s_cmp_ge_u32 s26, s2
	s_cselect_b32 s2, -1, 0
	s_cmp_eq_u32 s25, s3
	s_cselect_b32 s2, s2, s27
	s_cmp_lg_u32 s2, 0
	s_cselect_b32 s3, s31, s17
	s_cselect_b32 s2, s30, s1
	s_xor_b64 s[8:9], s[8:9], 0
	s_xor_b64 s[2:3], s[2:3], s[8:9]
	s_sub_u32 s8, s2, s8
	s_cbranch_execnz .LBB12_11
.LBB12_10:
	s_sub_i32 s1, 0, s22
	v_readfirstlane_b32 s2, v7
	s_mul_i32 s1, s1, s2
	s_mul_hi_u32 s1, s2, s1
	s_add_i32 s2, s2, s1
	s_mul_hi_u32 s1, s16, s2
	s_mul_i32 s3, s1, s22
	s_sub_i32 s3, s16, s3
	s_add_i32 s2, s1, 1
	s_sub_i32 s8, s3, s22
	s_cmp_ge_u32 s3, s22
	s_cselect_b32 s1, s2, s1
	s_cselect_b32 s3, s8, s3
	s_add_i32 s2, s1, 1
	s_cmp_ge_u32 s3, s22
	s_cselect_b32 s8, s2, s1
.LBB12_11:
	s_cmp_lg_u32 s6, s8
	s_cbranch_scc0 .LBB12_15
; %bb.12:
	s_add_i32 s1, s21, s22
	s_lshl_b32 s1, s1, 4
	s_add_i32 s2, s1, s15
	s_mov_b32 s3, s0
	s_lshl_b64 s[2:3], s[2:3], 3
	s_add_u32 s16, s18, s2
	s_mul_hi_u32 s1, s8, s12
	s_addc_u32 s17, s19, s3
	s_add_i32 s1, s1, s8
	s_lshr_b32 s1, s1, s13
	s_mul_i32 s2, s1, s14
	s_cmp_eq_u32 s2, s8
	s_cselect_b64 s[2:3], -1, 0
	s_cmp_lt_u32 s1, s7
	s_cselect_b64 s[26:27], -1, 0
	s_or_b64 s[26:27], s[26:27], s[2:3]
	s_mov_b64 s[2:3], -1
	s_and_b64 vcc, exec, s[26:27]
	s_mov_b32 s1, s21
	s_mov_b32 s25, s6
	s_cbranch_vccnz .LBB12_14
; %bb.13:
	s_add_i32 s1, s21, -1
	s_mov_b64 s[2:3], 0
	s_mov_b32 s25, s8
.LBB12_14:
	s_mul_i32 s8, s21, 0x500
	v_add_u32_e32 v4, s8, v6
	v_ashrrev_i32_e32 v5, 31, v4
	v_lshl_add_u64 v[4:5], v[4:5], 2, s[4:5]
	global_load_dword v5, v[4:5], off
	s_load_dwordx2 s[8:9], s[16:17], 0x0
	v_max_f32_e32 v4, v9, v9
	s_waitcnt lgkmcnt(0)
	v_max_f32_e64 v10, s8, s8
	v_max_f32_e32 v10, v4, v10
	v_sub_f32_e32 v11, v9, v10
	v_sub_f32_e32 v13, s8, v10
	v_mul_f32_e32 v4, 0x3fb8aa3b, v11
	v_mul_f32_e32 v12, 0x3fb8aa3b, v13
	v_fma_f32 v14, v11, s10, -v4
	v_rndne_f32_e32 v15, v4
	v_fma_f32 v16, v13, s10, -v12
	v_rndne_f32_e32 v17, v12
	v_fmac_f32_e32 v14, 0x32a5705f, v11
	v_sub_f32_e32 v4, v4, v15
	v_fmac_f32_e32 v16, 0x32a5705f, v13
	v_sub_f32_e32 v12, v12, v17
	v_add_f32_e32 v4, v4, v14
	v_cvt_i32_f32_e32 v15, v15
	v_add_f32_e32 v12, v12, v16
	v_exp_f32_e32 v14, v4
	v_cvt_i32_f32_e32 v17, v17
	v_exp_f32_e32 v12, v12
	v_cmp_ngt_f32_e32 vcc, s20, v11
	v_ldexp_f32 v14, v14, v15
	v_mov_b32_e32 v4, s9
	v_ldexp_f32 v12, v12, v17
	v_cndmask_b32_e32 v14, 0, v14, vcc
	v_cmp_ngt_f32_e32 vcc, s20, v13
	s_nop 1
	v_cndmask_b32_e32 v12, 0, v12, vcc
	v_cmp_nlt_f32_e32 vcc, s23, v11
	s_nop 1
	v_cndmask_b32_e32 v14, v8, v14, vcc
	v_cmp_nlt_f32_e32 vcc, s23, v13
	s_nop 1
	v_cndmask_b32_e32 v15, v8, v12, vcc
	v_cmp_le_f32_e32 vcc, s24, v11
	s_nop 1
	v_cndmask_b32_e32 v12, 0, v14, vcc
	v_cmp_le_f32_e32 vcc, s24, v13
	s_nop 1
	v_cndmask_b32_e32 v14, 0, v15, vcc
	s_waitcnt vmcnt(0)
	v_pk_mul_f32 v[4:5], v[4:5], v[14:15] op_sel_hi:[1,0]
	s_nop 0
	v_pk_fma_f32 v[4:5], v[0:1], v[12:13], v[4:5] op_sel_hi:[1,0,1]
	s_cbranch_execz .LBB12_16
	s_branch .LBB12_17
.LBB12_15:
                                        ; implicit-def: $vgpr4_vgpr5
                                        ; implicit-def: $sgpr2_sgpr3
                                        ; implicit-def: $vgpr10
                                        ; implicit-def: $sgpr1
                                        ; implicit-def: $sgpr25
.LBB12_16:
	s_add_i32 s1, s21, -1
	s_mov_b64 s[2:3], 0
	s_mov_b32 s25, s6
	v_mov_b32_e32 v10, v9
	s_waitcnt vmcnt(0)
	v_mov_b64_e32 v[4:5], v[0:1]
.LBB12_17:
	s_andn2_b64 vcc, exec, s[2:3]
	s_cbranch_vccz .LBB12_22
; %bb.18:
	s_mov_b32 s6, s25
	s_mov_b32 s21, s1
	v_mov_b32_e32 v9, v10
	s_waitcnt vmcnt(0)
	v_mov_b64_e32 v[0:1], v[4:5]
	s_mul_hi_i32 s1, s21, s11
	s_cmp_lg_u64 s[0:1], 0
	s_mul_i32 s16, s21, s11
	s_cbranch_scc1 .LBB12_9
.LBB12_19:
                                        ; implicit-def: $sgpr8_sgpr9
	s_branch .LBB12_10
.LBB12_20:
                                        ; implicit-def: $sgpr6_sgpr7
	s_load_dwordx4 s[12:15], s[0:1], 0x44
	s_branch .LBB12_2
.LBB12_21:
                                        ; implicit-def: $sgpr18_sgpr19
	s_branch .LBB12_5
.LBB12_22:
	v_div_scale_f32 v0, s[0:1], v4, v4, v5
	s_waitcnt vmcnt(0)
	v_rcp_f32_e32 v1, v0
	v_div_scale_f32 v6, vcc, v5, v4, v5
	v_fma_f32 v7, -v0, v1, 1.0
	v_fmac_f32_e32 v1, v7, v1
	v_mul_f32_e32 v7, v6, v1
	v_fma_f32 v8, -v0, v7, v6
	v_fmac_f32_e32 v7, v8, v1
	v_fma_f32 v0, -v0, v7, v6
	v_div_fmas_f32 v0, v0, v1, v7
	v_div_fixup_f32 v0, v0, v4, v5
	global_store_dword v[2:3], v0, off
.LBB12_23:
	s_endpgm
	.section	.rodata,"a",@progbits
	.p2align	6, 0x0
	.amdhsa_kernel _ZL33flash_attn_stream_k_fixup_generalILi80ELi4ELi4EEvPfPK15HIP_vector_typeIfLj2EEiiiiS1_IjLj3EES5_S5_S5_
		.amdhsa_group_segment_fixed_size 0
		.amdhsa_private_segment_fixed_size 0
		.amdhsa_kernarg_size 336
		.amdhsa_user_sgpr_count 2
		.amdhsa_user_sgpr_dispatch_ptr 0
		.amdhsa_user_sgpr_queue_ptr 0
		.amdhsa_user_sgpr_kernarg_segment_ptr 1
		.amdhsa_user_sgpr_dispatch_id 0
		.amdhsa_user_sgpr_kernarg_preload_length 0
		.amdhsa_user_sgpr_kernarg_preload_offset 0
		.amdhsa_user_sgpr_private_segment_size 0
		.amdhsa_uses_dynamic_stack 0
		.amdhsa_enable_private_segment 0
		.amdhsa_system_sgpr_workgroup_id_x 1
		.amdhsa_system_sgpr_workgroup_id_y 1
		.amdhsa_system_sgpr_workgroup_id_z 1
		.amdhsa_system_sgpr_workgroup_info 0
		.amdhsa_system_vgpr_workitem_id 0
		.amdhsa_next_free_vgpr 18
		.amdhsa_next_free_sgpr 36
		.amdhsa_accum_offset 20
		.amdhsa_reserve_vcc 1
		.amdhsa_float_round_mode_32 0
		.amdhsa_float_round_mode_16_64 0
		.amdhsa_float_denorm_mode_32 3
		.amdhsa_float_denorm_mode_16_64 3
		.amdhsa_dx10_clamp 1
		.amdhsa_ieee_mode 1
		.amdhsa_fp16_overflow 0
		.amdhsa_tg_split 0
		.amdhsa_exception_fp_ieee_invalid_op 0
		.amdhsa_exception_fp_denorm_src 0
		.amdhsa_exception_fp_ieee_div_zero 0
		.amdhsa_exception_fp_ieee_overflow 0
		.amdhsa_exception_fp_ieee_underflow 0
		.amdhsa_exception_fp_ieee_inexact 0
		.amdhsa_exception_int_div_zero 0
	.end_amdhsa_kernel
	.section	.text._ZL33flash_attn_stream_k_fixup_generalILi80ELi4ELi4EEvPfPK15HIP_vector_typeIfLj2EEiiiiS1_IjLj3EES5_S5_S5_,"axG",@progbits,_ZL33flash_attn_stream_k_fixup_generalILi80ELi4ELi4EEvPfPK15HIP_vector_typeIfLj2EEiiiiS1_IjLj3EES5_S5_S5_,comdat
.Lfunc_end12:
	.size	_ZL33flash_attn_stream_k_fixup_generalILi80ELi4ELi4EEvPfPK15HIP_vector_typeIfLj2EEiiiiS1_IjLj3EES5_S5_S5_, .Lfunc_end12-_ZL33flash_attn_stream_k_fixup_generalILi80ELi4ELi4EEvPfPK15HIP_vector_typeIfLj2EEiiiiS1_IjLj3EES5_S5_S5_
                                        ; -- End function
	.set _ZL33flash_attn_stream_k_fixup_generalILi80ELi4ELi4EEvPfPK15HIP_vector_typeIfLj2EEiiiiS1_IjLj3EES5_S5_S5_.num_vgpr, 18
	.set _ZL33flash_attn_stream_k_fixup_generalILi80ELi4ELi4EEvPfPK15HIP_vector_typeIfLj2EEiiiiS1_IjLj3EES5_S5_S5_.num_agpr, 0
	.set _ZL33flash_attn_stream_k_fixup_generalILi80ELi4ELi4EEvPfPK15HIP_vector_typeIfLj2EEiiiiS1_IjLj3EES5_S5_S5_.numbered_sgpr, 36
	.set _ZL33flash_attn_stream_k_fixup_generalILi80ELi4ELi4EEvPfPK15HIP_vector_typeIfLj2EEiiiiS1_IjLj3EES5_S5_S5_.num_named_barrier, 0
	.set _ZL33flash_attn_stream_k_fixup_generalILi80ELi4ELi4EEvPfPK15HIP_vector_typeIfLj2EEiiiiS1_IjLj3EES5_S5_S5_.private_seg_size, 0
	.set _ZL33flash_attn_stream_k_fixup_generalILi80ELi4ELi4EEvPfPK15HIP_vector_typeIfLj2EEiiiiS1_IjLj3EES5_S5_S5_.uses_vcc, 1
	.set _ZL33flash_attn_stream_k_fixup_generalILi80ELi4ELi4EEvPfPK15HIP_vector_typeIfLj2EEiiiiS1_IjLj3EES5_S5_S5_.uses_flat_scratch, 0
	.set _ZL33flash_attn_stream_k_fixup_generalILi80ELi4ELi4EEvPfPK15HIP_vector_typeIfLj2EEiiiiS1_IjLj3EES5_S5_S5_.has_dyn_sized_stack, 0
	.set _ZL33flash_attn_stream_k_fixup_generalILi80ELi4ELi4EEvPfPK15HIP_vector_typeIfLj2EEiiiiS1_IjLj3EES5_S5_S5_.has_recursion, 0
	.set _ZL33flash_attn_stream_k_fixup_generalILi80ELi4ELi4EEvPfPK15HIP_vector_typeIfLj2EEiiiiS1_IjLj3EES5_S5_S5_.has_indirect_call, 0
	.section	.AMDGPU.csdata,"",@progbits
; Kernel info:
; codeLenInByte = 2944
; TotalNumSgprs: 42
; NumVgprs: 18
; NumAgprs: 0
; TotalNumVgprs: 18
; ScratchSize: 0
; MemoryBound: 0
; FloatMode: 240
; IeeeMode: 1
; LDSByteSize: 0 bytes/workgroup (compile time only)
; SGPRBlocks: 5
; VGPRBlocks: 2
; NumSGPRsForWavesPerEU: 42
; NumVGPRsForWavesPerEU: 18
; AccumOffset: 20
; Occupancy: 8
; WaveLimiterHint : 0
; COMPUTE_PGM_RSRC2:SCRATCH_EN: 0
; COMPUTE_PGM_RSRC2:USER_SGPR: 2
; COMPUTE_PGM_RSRC2:TRAP_HANDLER: 0
; COMPUTE_PGM_RSRC2:TGID_X_EN: 1
; COMPUTE_PGM_RSRC2:TGID_Y_EN: 1
; COMPUTE_PGM_RSRC2:TGID_Z_EN: 1
; COMPUTE_PGM_RSRC2:TIDIG_COMP_CNT: 0
; COMPUTE_PGM_RSRC3_GFX90A:ACCUM_OFFSET: 4
; COMPUTE_PGM_RSRC3_GFX90A:TG_SPLIT: 0
	.section	.text._ZL26flash_attn_combine_resultsILi80EEvPKfPK15HIP_vector_typeIfLj2EEPfi,"axG",@progbits,_ZL26flash_attn_combine_resultsILi80EEvPKfPK15HIP_vector_typeIfLj2EEPfi,comdat
	.globl	_ZL26flash_attn_combine_resultsILi80EEvPKfPK15HIP_vector_typeIfLj2EEPfi ; -- Begin function _ZL26flash_attn_combine_resultsILi80EEvPKfPK15HIP_vector_typeIfLj2EEPfi
	.p2align	8
	.type	_ZL26flash_attn_combine_resultsILi80EEvPKfPK15HIP_vector_typeIfLj2EEPfi,@function
_ZL26flash_attn_combine_resultsILi80EEvPKfPK15HIP_vector_typeIfLj2EEPfi: ; @_ZL26flash_attn_combine_resultsILi80EEvPKfPK15HIP_vector_typeIfLj2EEPfi
; %bb.0:
	s_load_dwordx2 s[6:7], s[0:1], 0x20
	s_load_dword s23, s[0:1], 0x18
	s_load_dwordx4 s[16:19], s[0:1], 0x0
	s_load_dwordx2 s[14:15], s[0:1], 0x10
	s_waitcnt lgkmcnt(0)
	s_mul_i32 s0, s6, s4
	s_add_i32 s0, s0, s2
	s_mul_i32 s22, s0, s7
	s_add_i32 s22, s22, s3
	s_lshl_b32 s12, s23, 1
	s_mul_i32 s2, s22, s23
	v_cmp_gt_i32_e32 vcc, s12, v0
	s_and_saveexec_b64 s[0:1], vcc
	s_cbranch_execz .LBB13_13
; %bb.1:
	v_xad_u32 v1, v0, -1, s12
	s_movk_i32 s4, 0x4f
	s_ashr_i32 s3, s2, 31
	v_cmp_lt_u32_e32 vcc, s4, v1
	s_mov_b64 s[6:7], -1
	v_mov_b32_e32 v2, v0
	s_and_saveexec_b64 s[4:5], vcc
	s_cbranch_execz .LBB13_10
; %bb.2:
	s_mov_b32 s6, 0xcccccccd
	v_mul_hi_u32 v1, v1, s6
	v_lshrrev_b32_e32 v6, 6, v1
	s_lshl_b64 s[6:7], s[2:3], 3
	v_add_u32_e32 v2, -1, v6
	s_add_u32 s6, s18, s6
	v_add_u32_e32 v1, 0x50, v0
	v_lshrrev_b32_e32 v3, 1, v2
	s_addc_u32 s7, s19, s7
	v_add_u32_e32 v7, 1, v3
	v_cmp_lt_u32_e32 vcc, 13, v2
	v_mov_b32_e32 v4, 0
	v_mov_b64_e32 v[2:3], v[0:1]
	s_and_saveexec_b64 s[8:9], vcc
	s_cbranch_execz .LBB13_6
; %bb.3:
	v_and_b32_e32 v8, -8, v7
	s_mov_b32 s13, 0
	v_lshl_add_u32 v9, v0, 2, 0
	s_mov_b64 s[10:11], 0
	v_mov_b32_e32 v5, 0
	v_mov_b64_e32 v[2:3], v[0:1]
.LBB13_4:                               ; =>This Inner Loop Header: Depth=1
	v_mov_b32_e32 v4, v2
	v_lshl_add_u64 v[24:25], v[4:5], 2, s[6:7]
	v_mov_b32_e32 v4, v3
	v_add_u32_e32 v10, 0xa0, v3
	v_mov_b32_e32 v11, v5
	v_lshl_add_u64 v[26:27], v[4:5], 2, s[6:7]
	v_add_u32_e32 v4, 0xa0, v2
	v_lshl_add_u64 v[10:11], v[10:11], 2, s[6:7]
	global_load_dword v1, v[24:25], off
	v_lshl_add_u64 v[24:25], v[4:5], 2, s[6:7]
	v_add_u32_e32 v4, 0x140, v2
	global_load_dword v28, v[26:27], off
	global_load_dword v29, v[24:25], off
	;; [unrolled: 1-line block ×3, first 2 shown]
	v_lshl_add_u64 v[10:11], v[4:5], 2, s[6:7]
	v_add_u32_e32 v4, 0x1e0, v2
	v_add_u32_e32 v12, 0x140, v3
	v_mov_b32_e32 v13, v5
	v_add_u32_e32 v14, 0x1e0, v3
	v_mov_b32_e32 v15, v5
	v_lshl_add_u64 v[24:25], v[4:5], 2, s[6:7]
	v_add_u32_e32 v4, 0x280, v2
	v_lshl_add_u64 v[12:13], v[12:13], 2, s[6:7]
	v_lshl_add_u64 v[14:15], v[14:15], 2, s[6:7]
	global_load_dword v26, v[10:11], off
	global_load_dword v27, v[12:13], off
	;; [unrolled: 1-line block ×4, first 2 shown]
	v_lshl_add_u64 v[10:11], v[4:5], 2, s[6:7]
	v_add_u32_e32 v4, 0x320, v2
	v_add_u32_e32 v16, 0x280, v3
	v_mov_b32_e32 v17, v5
	v_add_u32_e32 v18, 0x320, v3
	v_mov_b32_e32 v19, v5
	v_lshl_add_u64 v[12:13], v[4:5], 2, s[6:7]
	v_add_u32_e32 v4, 0x3c0, v2
	v_add_u32_e32 v20, 0x3c0, v3
	v_mov_b32_e32 v21, v5
	v_add_u32_e32 v22, 0x460, v3
	v_mov_b32_e32 v23, v5
	v_lshl_add_u64 v[16:17], v[16:17], 2, s[6:7]
	v_lshl_add_u64 v[18:19], v[18:19], 2, s[6:7]
	global_load_dword v14, v[10:11], off
	global_load_dword v15, v[16:17], off
	;; [unrolled: 1-line block ×4, first 2 shown]
	v_lshl_add_u64 v[10:11], v[4:5], 2, s[6:7]
	v_add_u32_e32 v4, 0x460, v2
	v_lshl_add_u64 v[20:21], v[20:21], 2, s[6:7]
	v_lshl_add_u64 v[22:23], v[22:23], 2, s[6:7]
	;; [unrolled: 1-line block ×3, first 2 shown]
	global_load_dword v16, v[10:11], off
	global_load_dword v17, v[20:21], off
	;; [unrolled: 1-line block ×4, first 2 shown]
	v_add_u32_e32 v8, -8, v8
	s_add_i32 s13, s13, 16
	v_cmp_eq_u32_e32 vcc, 0, v8
	v_add_u32_e32 v10, 0x400, v9
	v_add_u32_e32 v11, 0x600, v9
	;; [unrolled: 1-line block ×7, first 2 shown]
	v_mov_b32_e32 v4, s13
	s_or_b64 s[10:11], vcc, s[10:11]
	v_add_u32_e32 v2, 0x500, v2
	s_waitcnt vmcnt(14)
	ds_write2_b32 v9, v1, v28 offset1:80
	s_waitcnt vmcnt(12)
	ds_write2_b32 v9, v29, v30 offset0:160 offset1:240
	v_add_u32_e32 v9, 0x1400, v9
	s_waitcnt vmcnt(10)
	ds_write2_b32 v10, v26, v27 offset0:64 offset1:144
	s_waitcnt vmcnt(8)
	ds_write2_b32 v11, v31, v32 offset0:96 offset1:176
	s_waitcnt vmcnt(6)
	ds_write2_b32 v12, v14, v15 offset0:128 offset1:208
	s_waitcnt vmcnt(4)
	ds_write2_b32 v13, v24, v25 offset0:32 offset1:112
	s_waitcnt vmcnt(2)
	ds_write2_b32 v20, v16, v17 offset0:64 offset1:144
	s_waitcnt vmcnt(0)
	ds_write2_b32 v21, v18, v19 offset0:96 offset1:176
	s_andn2_b64 exec, exec, s[10:11]
	s_cbranch_execnz .LBB13_4
; %bb.5:
	s_or_b64 exec, exec, s[10:11]
.LBB13_6:
	s_or_b64 exec, exec, s[8:9]
	v_and_b32_e32 v1, 7, v7
	v_cmp_ne_u32_e32 vcc, 0, v1
	s_and_saveexec_b64 s[8:9], vcc
	s_cbranch_execz .LBB13_9
; %bb.7:
	s_movk_i32 s10, 0x140
	v_mul_lo_u32 v4, v4, s10
	v_lshlrev_b32_e32 v5, 2, v0
	v_add3_u32 v7, v4, v5, 0
	s_mov_b64 s[10:11], 0
	v_mov_b32_e32 v5, 0
.LBB13_8:                               ; =>This Inner Loop Header: Depth=1
	v_mov_b32_e32 v4, v2
	v_lshl_add_u64 v[8:9], v[4:5], 2, s[6:7]
	v_mov_b32_e32 v4, v3
	v_lshl_add_u64 v[10:11], v[4:5], 2, s[6:7]
	global_load_dword v4, v[8:9], off
	global_load_dword v12, v[10:11], off
	v_add_u32_e32 v1, -1, v1
	v_cmp_eq_u32_e32 vcc, 0, v1
	v_add_u32_e32 v2, 0xa0, v2
	v_add_u32_e32 v3, 0xa0, v3
	s_or_b64 s[10:11], vcc, s[10:11]
	s_waitcnt vmcnt(0)
	ds_write2_b32 v7, v4, v12 offset1:80
	v_add_u32_e32 v7, 0x280, v7
	s_andn2_b64 exec, exec, s[10:11]
	s_cbranch_execnz .LBB13_8
.LBB13_9:
	s_or_b64 exec, exec, s[8:9]
	v_add_u32_e32 v1, 1, v6
	v_and_b32_e32 v4, 0x7fffffe, v1
	s_movk_i32 s6, 0x50
	v_mad_u64_u32 v[2:3], s[6:7], v4, s6, v[0:1]
	v_cmp_ne_u32_e32 vcc, v1, v4
	s_orn2_b64 s[6:7], vcc, exec
.LBB13_10:
	s_or_b64 exec, exec, s[4:5]
	s_and_b64 exec, exec, s[6:7]
	s_cbranch_execz .LBB13_13
; %bb.11:
	s_lshl_b64 s[4:5], s[2:3], 3
	s_add_u32 s4, s18, s4
	v_mov_b32_e32 v3, 0
	s_addc_u32 s5, s19, s5
	v_lshl_add_u64 v[4:5], v[2:3], 2, s[4:5]
	v_lshl_add_u32 v1, v2, 2, 0
	s_mov_b64 s[4:5], 0
	s_mov_b64 s[6:7], 0x140
.LBB13_12:                              ; =>This Inner Loop Header: Depth=1
	global_load_dword v3, v[4:5], off
	v_add_u32_e32 v2, 0x50, v2
	v_cmp_le_i32_e32 vcc, s12, v2
	v_lshl_add_u64 v[4:5], v[4:5], 0, s[6:7]
	s_or_b64 s[4:5], vcc, s[4:5]
	s_waitcnt vmcnt(0)
	ds_write_b32 v1, v3
	v_add_u32_e32 v1, 0x140, v1
	s_andn2_b64 exec, exec, s[4:5]
	s_cbranch_execnz .LBB13_12
.LBB13_13:
	s_or_b64 exec, exec, s[0:1]
	v_mov_b32_e32 v1, 0
	s_waitcnt lgkmcnt(0)
	s_barrier
	ds_read_b32 v1, v1
	s_cmp_lt_i32 s23, 2
	s_cbranch_scc1 .LBB13_21
; %bb.14:
	s_cmp_eq_u32 s23, 2
	s_cbranch_scc1 .LBB13_18
; %bb.15:
	s_add_i32 s3, s23, -1
	s_and_b32 s4, s3, -2
	s_add_i32 s6, 0, 8
	s_mov_b32 s5, 2
	s_waitcnt lgkmcnt(0)
	v_mov_b32_e32 v4, v1
.LBB13_16:                              ; =>This Inner Loop Header: Depth=1
	v_mov_b32_e32 v2, v1
	v_mov_b32_e32 v1, s6
	;; [unrolled: 1-line block ×3, first 2 shown]
	ds_read2_b32 v[4:5], v1 offset1:2
	s_cmp_lg_u32 s4, s5
	s_cselect_b64 s[8:9], -1, 0
	v_max_f32_e32 v1, v3, v3
	v_max_f32_e32 v6, v2, v2
	s_waitcnt lgkmcnt(0)
	v_cmp_u_f32_e32 vcc, v5, v5
	v_max_f32_e32 v7, v5, v5
	v_max_f32_e32 v8, v4, v4
	v_cndmask_b32_e64 v5, 0, 1, vcc
	v_cmp_u_f32_e32 vcc, v4, v4
	v_readfirstlane_b32 s0, v5
	s_lshl_b32 s0, s0, 1
	v_cndmask_b32_e64 v9, 0, 1, vcc
	v_max_f32_e32 v4, v1, v7
	v_readfirstlane_b32 s1, v9
	s_or_b32 s0, s1, s0
	s_and_b32 s7, s0, 3
	s_cmp_lg_u32 s7, 0
	s_cselect_b64 s[0:1], -1, 0
	s_cmp_eq_u32 s7, 0
	s_cselect_b64 s[10:11], -1, 0
	s_and_b64 s[8:9], s[10:11], s[8:9]
	v_max_f32_e32 v1, v6, v8
	s_add_i32 s5, s5, 2
	s_add_i32 s6, s6, 16
	s_and_b64 vcc, exec, s[8:9]
	s_cbranch_vccnz .LBB13_16
; %bb.17:
	s_add_i32 s5, s5, -4
	s_and_b64 s[6:7], s[0:1], exec
	s_cselect_b32 s5, s5, s3
	s_or_b32 s5, s5, 1
	v_cndmask_b32_e64 v1, v1, v2, s[0:1]
	v_cndmask_b32_e64 v2, v4, v3, s[0:1]
	s_cmp_lg_u32 s3, s4
	v_max_f32_e32 v2, v2, v2
	v_max_f32_e32 v1, v1, v1
	s_cselect_b64 s[6:7], -1, 0
	v_max_f32_e32 v1, v1, v2
	s_or_b64 s[0:1], s[6:7], s[0:1]
	s_and_b64 vcc, exec, s[0:1]
	s_cbranch_vccnz .LBB13_19
	s_branch .LBB13_21
.LBB13_18:
	s_mov_b32 s5, 1
	s_cbranch_execz .LBB13_21
.LBB13_19:
	s_lshl_b32 s1, s5, 3
	s_sub_i32 s0, s23, s5
	s_add_i32 s1, s1, 0
.LBB13_20:                              ; =>This Inner Loop Header: Depth=1
	v_mov_b32_e32 v2, s1
	ds_read_b32 v2, v2
	s_waitcnt lgkmcnt(1)
	v_max_f32_e32 v1, v1, v1
	s_add_i32 s0, s0, -1
	s_add_i32 s1, s1, 8
	s_cmp_eq_u32 s0, 0
	s_waitcnt lgkmcnt(0)
	v_max_f32_e32 v2, v2, v2
	v_max_f32_e32 v1, v1, v2
	s_cbranch_scc0 .LBB13_20
.LBB13_21:
	s_cmp_lt_i32 s23, 1
	s_cbranch_scc1 .LBB13_26
; %bb.22:
	s_mul_i32 s18, s2, 0x50
	s_ashr_i32 s19, s18, 31
	s_cmp_lt_u32 s23, 8
	s_cbranch_scc1 .LBB13_27
; %bb.23:
	s_lshl_b64 s[0:1], s[18:19], 2
	s_add_u32 s20, s16, s0
	v_mov_b32_e32 v7, 0
	s_addc_u32 s21, s17, s1
	s_and_b32 s24, s23, 0x7ffffff8
	v_add_u32_e32 v4, 0x140, v0
	s_mov_b32 s25, 0
	s_mov_b32 s26, 0x3fb8aa3b
	;; [unrolled: 1-line block ×4, first 2 shown]
	v_mov_b32_e32 v8, 0x7f800000
	s_mov_b32 s29, 0
	v_mov_b32_e32 v2, v7
	v_mov_b32_e32 v3, v7
.LBB13_24:                              ; =>This Inner Loop Header: Depth=1
	v_add_u32_e32 v6, 0xfffffec0, v4
	v_mov_b32_e32 v9, s25
	v_lshl_add_u64 v[26:27], v[6:7], 2, s[20:21]
	v_add_u32_e32 v6, 0xffffff10, v4
	ds_read2_b64 v[10:13], v9 offset1:1
	ds_read2_b64 v[14:17], v9 offset0:2 offset1:3
	ds_read2_b64 v[18:21], v9 offset0:4 offset1:5
	;; [unrolled: 1-line block ×3, first 2 shown]
	v_lshl_add_u64 v[30:31], v[6:7], 2, s[20:21]
	v_add_u32_e32 v6, 0xffffff60, v4
	global_load_dword v33, v[26:27], off
	global_load_dword v35, v[30:31], off
	v_lshl_add_u64 v[26:27], v[6:7], 2, s[20:21]
	v_add_u32_e32 v6, 0xffffffb0, v4
	v_mov_b32_e32 v5, v7
	v_lshl_add_u64 v[30:31], v[6:7], 2, s[20:21]
	v_add_u32_e32 v6, 0x50, v4
	v_lshl_add_u64 v[28:29], v[4:5], 2, s[20:21]
	global_load_dword v37, v[26:27], off
	global_load_dword v39, v[30:31], off
	;; [unrolled: 1-line block ×3, first 2 shown]
	v_lshl_add_u64 v[26:27], v[6:7], 2, s[20:21]
	v_add_u32_e32 v6, 0xa0, v4
	s_waitcnt lgkmcnt(3)
	v_mov_b32_e32 v32, v11
	v_sub_f32_e32 v9, v12, v1
	v_mov_b32_e32 v34, v13
	global_load_dword v11, v[26:27], off
	v_lshl_add_u64 v[12:13], v[6:7], 2, s[20:21]
	v_add_u32_e32 v6, 0xf0, v4
	s_waitcnt lgkmcnt(2)
	v_mov_b32_e32 v36, v15
	global_load_dword v15, v[12:13], off
	v_lshl_add_u64 v[12:13], v[6:7], 2, s[20:21]
	v_mov_b32_e32 v38, v17
	global_load_dword v17, v[12:13], off
	v_sub_f32_e32 v5, v10, v1
	s_waitcnt lgkmcnt(1)
	v_mov_b32_e32 v40, v19
	v_sub_f32_e32 v19, v20, v1
	s_waitcnt lgkmcnt(0)
	v_sub_f32_e32 v20, v22, v1
	v_mul_f32_e32 v22, 0x3fb8aa3b, v5
	v_sub_f32_e32 v28, v14, v1
	v_sub_f32_e32 v29, v16, v1
	v_mov_b32_e32 v14, v23
	v_mul_f32_e32 v23, 0x3fb8aa3b, v9
	v_fma_f32 v6, v5, s26, -v22
	v_rndne_f32_e32 v42, v22
	v_sub_f32_e32 v18, v18, v1
	v_mov_b32_e32 v10, v21
	v_sub_f32_e32 v21, v24, v1
	v_mov_b32_e32 v16, v25
	v_mul_f32_e32 v24, 0x3fb8aa3b, v28
	v_mul_f32_e32 v25, 0x3fb8aa3b, v29
	v_fma_f32 v43, v9, s26, -v23
	v_rndne_f32_e32 v44, v23
	v_fmac_f32_e32 v6, 0x32a5705f, v5
	v_sub_f32_e32 v12, v22, v42
	v_mul_f32_e32 v26, 0x3fb8aa3b, v18
	v_mul_f32_e32 v27, 0x3fb8aa3b, v19
	;; [unrolled: 1-line block ×3, first 2 shown]
	v_fma_f32 v45, v28, s26, -v24
	v_rndne_f32_e32 v46, v24
	v_fma_f32 v47, v29, s26, -v25
	v_rndne_f32_e32 v48, v25
	v_fmac_f32_e32 v43, 0x32a5705f, v9
	v_sub_f32_e32 v22, v23, v44
	v_add_f32_e32 v6, v12, v6
	v_fma_f32 v49, v18, s26, -v26
	v_rndne_f32_e32 v50, v26
	v_fma_f32 v51, v19, s26, -v27
	v_rndne_f32_e32 v52, v27
	;; [unrolled: 2-line block ×3, first 2 shown]
	v_cvt_i32_f32_e32 v13, v42
	v_fmac_f32_e32 v45, 0x32a5705f, v28
	v_sub_f32_e32 v24, v24, v46
	v_fmac_f32_e32 v47, 0x32a5705f, v29
	v_sub_f32_e32 v25, v25, v48
	v_add_f32_e32 v12, v22, v43
	v_exp_f32_e32 v6, v6
	v_cvt_i32_f32_e32 v23, v44
	v_fmac_f32_e32 v49, 0x32a5705f, v18
	v_sub_f32_e32 v26, v26, v50
	v_fmac_f32_e32 v51, 0x32a5705f, v19
	v_sub_f32_e32 v27, v27, v52
	;; [unrolled: 2-line block ×3, first 2 shown]
	v_add_f32_e32 v22, v24, v45
	v_add_f32_e32 v24, v25, v47
	v_exp_f32_e32 v12, v12
	v_mul_f32_e32 v31, 0x3fb8aa3b, v21
	v_cvt_i32_f32_e32 v42, v46
	v_cvt_i32_f32_e32 v44, v48
	v_add_f32_e32 v25, v26, v49
	v_add_f32_e32 v26, v27, v51
	v_add_f32_e32 v27, v30, v53
	v_exp_f32_e32 v22, v22
	v_exp_f32_e32 v24, v24
	v_fma_f32 v55, v21, s26, -v31
	v_rndne_f32_e32 v56, v31
	v_cvt_i32_f32_e32 v46, v50
	v_cvt_i32_f32_e32 v48, v52
	;; [unrolled: 1-line block ×3, first 2 shown]
	v_exp_f32_e32 v25, v25
	v_exp_f32_e32 v26, v26
	;; [unrolled: 1-line block ×3, first 2 shown]
	v_fmac_f32_e32 v55, 0x32a5705f, v21
	v_sub_f32_e32 v31, v31, v56
	v_ldexp_f32 v6, v6, v13
	v_cmp_ngt_f32_e64 s[12:13], s27, v5
	v_add_f32_e32 v30, v31, v55
	v_ldexp_f32 v12, v12, v23
	v_cmp_ngt_f32_e32 vcc, s27, v9
	v_cndmask_b32_e64 v6, 0, v6, s[12:13]
	v_cmp_nlt_f32_e64 s[12:13], s28, v5
	v_cvt_i32_f32_e32 v52, v56
	v_exp_f32_e32 v30, v30
	v_ldexp_f32 v13, v22, v42
	v_cmp_ngt_f32_e64 s[0:1], s27, v28
	v_ldexp_f32 v22, v24, v44
	v_cmp_ngt_f32_e64 s[2:3], s27, v29
	v_cndmask_b32_e32 v12, 0, v12, vcc
	v_cmp_nlt_f32_e32 vcc, s28, v9
	v_cndmask_b32_e64 v6, v8, v6, s[12:13]
	v_ldexp_f32 v23, v25, v46
	v_cmp_ngt_f32_e64 s[4:5], s27, v18
	v_ldexp_f32 v24, v26, v48
	v_cmp_ngt_f32_e64 s[6:7], s27, v19
	;; [unrolled: 2-line block ×3, first 2 shown]
	v_cndmask_b32_e64 v9, 0, v13, s[0:1]
	v_cmp_nlt_f32_e64 s[0:1], s28, v28
	v_cndmask_b32_e64 v13, 0, v22, s[2:3]
	v_cndmask_b32_e32 v12, v8, v12, vcc
	s_waitcnt vmcnt(7)
	v_pk_fma_f32 v[2:3], v[6:7], v[32:33], v[2:3] op_sel_hi:[0,1,1]
	v_cmp_nlt_f32_e64 s[2:3], s28, v29
	v_cndmask_b32_e64 v22, 0, v23, s[4:5]
	v_cmp_nlt_f32_e64 s[4:5], s28, v18
	v_cndmask_b32_e64 v23, 0, v24, s[6:7]
	;; [unrolled: 2-line block ×3, first 2 shown]
	v_cndmask_b32_e64 v18, v8, v9, s[0:1]
	s_waitcnt vmcnt(6)
	v_pk_fma_f32 v[2:3], v[12:13], v[34:35], v[2:3] op_sel_hi:[0,1,1]
	v_cmp_nlt_f32_e64 s[8:9], s28, v20
	v_cndmask_b32_e64 v20, v8, v13, s[2:3]
	s_waitcnt vmcnt(5)
	v_pk_fma_f32 v[2:3], v[18:19], v[36:37], v[2:3] op_sel_hi:[0,1,1]
	v_ldexp_f32 v26, v30, v52
	v_cmp_ngt_f32_e64 s[10:11], s27, v21
	v_cndmask_b32_e64 v22, v8, v22, s[4:5]
	s_waitcnt vmcnt(4)
	v_pk_fma_f32 v[2:3], v[20:21], v[38:39], v[2:3] op_sel_hi:[0,1,1]
	v_cndmask_b32_e64 v25, 0, v26, s[10:11]
	v_cndmask_b32_e64 v24, v8, v23, s[6:7]
	s_waitcnt vmcnt(3)
	v_pk_fma_f32 v[2:3], v[22:23], v[40:41], v[2:3] op_sel_hi:[0,1,1]
	v_cmp_nlt_f32_e64 s[10:11], s28, v21
	v_cndmask_b32_e64 v26, v8, v19, s[8:9]
	s_waitcnt vmcnt(2)
	v_pk_fma_f32 v[2:3], v[24:25], v[10:11], v[2:3] op_sel_hi:[0,1,1]
	s_add_i32 s29, s29, 8
	s_add_i32 s25, s25, 64
	v_cndmask_b32_e64 v28, v8, v25, s[10:11]
	s_waitcnt vmcnt(1)
	v_pk_fma_f32 v[2:3], v[26:27], v[14:15], v[2:3] op_sel_hi:[0,1,1]
	s_cmp_eq_u32 s24, s29
	v_add_u32_e32 v4, 0x280, v4
	s_waitcnt vmcnt(0)
	v_pk_fma_f32 v[2:3], v[28:29], v[16:17], v[2:3] op_sel_hi:[0,1,1]
	s_cbranch_scc0 .LBB13_24
; %bb.25:
	s_and_b32 s2, s23, 7
	s_cmp_eq_u32 s2, 0
	s_cbranch_scc0 .LBB13_28
	s_branch .LBB13_30
.LBB13_26:
	s_waitcnt lgkmcnt(0)
	v_mov_b32_e32 v1, 0x7fc00000
	s_branch .LBB13_31
.LBB13_27:
	v_mov_b32_e32 v2, 0
	s_mov_b32 s24, 0
	v_mov_b32_e32 v3, v2
	s_and_b32 s2, s23, 7
	s_cmp_eq_u32 s2, 0
	s_cbranch_scc1 .LBB13_30
.LBB13_28:
	s_lshl_b64 s[0:1], s[18:19], 2
	s_mul_i32 s3, s24, 0x50
	s_add_u32 s0, s16, s0
	v_add_u32_e32 v4, s3, v0
	v_mov_b32_e32 v5, 0
	s_addc_u32 s1, s17, s1
	v_lshl_add_u64 v[4:5], v[4:5], 2, s[0:1]
	s_lshl_b32 s0, s24, 3
	s_add_i32 s3, s0, 0
	s_mov_b32 s4, 0x3fb8aa3b
	s_mov_b32 s5, 0xc2ce8ed0
	;; [unrolled: 1-line block ×3, first 2 shown]
	v_mov_b32_e32 v6, 0x7f800000
	s_mov_b64 s[0:1], 0x140
.LBB13_29:                              ; =>This Inner Loop Header: Depth=1
	global_load_dword v9, v[4:5], off
	v_mov_b32_e32 v7, s3
	ds_read_b64 v[10:11], v7
	s_add_i32 s3, s3, 8
	s_add_i32 s2, s2, -1
	v_lshl_add_u64 v[4:5], v[4:5], 0, s[0:1]
	s_cmp_lg_u32 s2, 0
	s_waitcnt lgkmcnt(0)
	v_sub_f32_e32 v7, v10, v1
	v_mul_f32_e32 v8, 0x3fb8aa3b, v7
	v_fma_f32 v10, v7, s4, -v8
	v_rndne_f32_e32 v12, v8
	v_fmac_f32_e32 v10, 0x32a5705f, v7
	v_sub_f32_e32 v8, v8, v12
	v_add_f32_e32 v8, v8, v10
	v_cvt_i32_f32_e32 v12, v12
	v_exp_f32_e32 v10, v8
	v_cmp_ngt_f32_e32 vcc, s5, v7
	v_mov_b32_e32 v8, v11
	v_ldexp_f32 v10, v10, v12
	v_cndmask_b32_e32 v10, 0, v10, vcc
	v_cmp_nlt_f32_e32 vcc, s6, v7
	s_nop 1
	v_cndmask_b32_e32 v10, v6, v10, vcc
	s_waitcnt vmcnt(0)
	v_pk_fma_f32 v[2:3], v[10:11], v[8:9], v[2:3] op_sel_hi:[0,1,1]
	s_cbranch_scc1 .LBB13_29
.LBB13_30:
	s_waitcnt lgkmcnt(0)
	v_div_scale_f32 v1, s[0:1], v2, v2, v3
	v_rcp_f32_e32 v4, v1
	v_div_scale_f32 v5, vcc, v3, v2, v3
	v_fma_f32 v6, -v1, v4, 1.0
	v_fmac_f32_e32 v4, v6, v4
	v_mul_f32_e32 v6, v5, v4
	v_fma_f32 v7, -v1, v6, v5
	v_fmac_f32_e32 v6, v7, v4
	v_fma_f32 v1, -v1, v6, v5
	v_div_fmas_f32 v1, v1, v4, v6
	v_div_fixup_f32 v1, v1, v2, v3
.LBB13_31:
	s_mul_i32 s0, s22, 0x50
	s_ashr_i32 s1, s0, 31
	s_lshl_b64 s[0:1], s[0:1], 2
	s_add_u32 s0, s14, s0
	s_addc_u32 s1, s15, s1
	v_lshlrev_b32_e32 v0, 2, v0
	global_store_dword v0, v1, s[0:1]
	s_endpgm
	.section	.rodata,"a",@progbits
	.p2align	6, 0x0
	.amdhsa_kernel _ZL26flash_attn_combine_resultsILi80EEvPKfPK15HIP_vector_typeIfLj2EEPfi
		.amdhsa_group_segment_fixed_size 0
		.amdhsa_private_segment_fixed_size 0
		.amdhsa_kernarg_size 288
		.amdhsa_user_sgpr_count 2
		.amdhsa_user_sgpr_dispatch_ptr 0
		.amdhsa_user_sgpr_queue_ptr 0
		.amdhsa_user_sgpr_kernarg_segment_ptr 1
		.amdhsa_user_sgpr_dispatch_id 0
		.amdhsa_user_sgpr_kernarg_preload_length 0
		.amdhsa_user_sgpr_kernarg_preload_offset 0
		.amdhsa_user_sgpr_private_segment_size 0
		.amdhsa_uses_dynamic_stack 0
		.amdhsa_enable_private_segment 0
		.amdhsa_system_sgpr_workgroup_id_x 1
		.amdhsa_system_sgpr_workgroup_id_y 1
		.amdhsa_system_sgpr_workgroup_id_z 1
		.amdhsa_system_sgpr_workgroup_info 0
		.amdhsa_system_vgpr_workitem_id 0
		.amdhsa_next_free_vgpr 57
		.amdhsa_next_free_sgpr 30
		.amdhsa_accum_offset 60
		.amdhsa_reserve_vcc 1
		.amdhsa_float_round_mode_32 0
		.amdhsa_float_round_mode_16_64 0
		.amdhsa_float_denorm_mode_32 3
		.amdhsa_float_denorm_mode_16_64 3
		.amdhsa_dx10_clamp 1
		.amdhsa_ieee_mode 1
		.amdhsa_fp16_overflow 0
		.amdhsa_tg_split 0
		.amdhsa_exception_fp_ieee_invalid_op 0
		.amdhsa_exception_fp_denorm_src 0
		.amdhsa_exception_fp_ieee_div_zero 0
		.amdhsa_exception_fp_ieee_overflow 0
		.amdhsa_exception_fp_ieee_underflow 0
		.amdhsa_exception_fp_ieee_inexact 0
		.amdhsa_exception_int_div_zero 0
	.end_amdhsa_kernel
	.section	.text._ZL26flash_attn_combine_resultsILi80EEvPKfPK15HIP_vector_typeIfLj2EEPfi,"axG",@progbits,_ZL26flash_attn_combine_resultsILi80EEvPKfPK15HIP_vector_typeIfLj2EEPfi,comdat
.Lfunc_end13:
	.size	_ZL26flash_attn_combine_resultsILi80EEvPKfPK15HIP_vector_typeIfLj2EEPfi, .Lfunc_end13-_ZL26flash_attn_combine_resultsILi80EEvPKfPK15HIP_vector_typeIfLj2EEPfi
                                        ; -- End function
	.set _ZL26flash_attn_combine_resultsILi80EEvPKfPK15HIP_vector_typeIfLj2EEPfi.num_vgpr, 57
	.set _ZL26flash_attn_combine_resultsILi80EEvPKfPK15HIP_vector_typeIfLj2EEPfi.num_agpr, 0
	.set _ZL26flash_attn_combine_resultsILi80EEvPKfPK15HIP_vector_typeIfLj2EEPfi.numbered_sgpr, 30
	.set _ZL26flash_attn_combine_resultsILi80EEvPKfPK15HIP_vector_typeIfLj2EEPfi.num_named_barrier, 0
	.set _ZL26flash_attn_combine_resultsILi80EEvPKfPK15HIP_vector_typeIfLj2EEPfi.private_seg_size, 0
	.set _ZL26flash_attn_combine_resultsILi80EEvPKfPK15HIP_vector_typeIfLj2EEPfi.uses_vcc, 1
	.set _ZL26flash_attn_combine_resultsILi80EEvPKfPK15HIP_vector_typeIfLj2EEPfi.uses_flat_scratch, 0
	.set _ZL26flash_attn_combine_resultsILi80EEvPKfPK15HIP_vector_typeIfLj2EEPfi.has_dyn_sized_stack, 0
	.set _ZL26flash_attn_combine_resultsILi80EEvPKfPK15HIP_vector_typeIfLj2EEPfi.has_recursion, 0
	.set _ZL26flash_attn_combine_resultsILi80EEvPKfPK15HIP_vector_typeIfLj2EEPfi.has_indirect_call, 0
	.section	.AMDGPU.csdata,"",@progbits
; Kernel info:
; codeLenInByte = 3032
; TotalNumSgprs: 36
; NumVgprs: 57
; NumAgprs: 0
; TotalNumVgprs: 57
; ScratchSize: 0
; MemoryBound: 0
; FloatMode: 240
; IeeeMode: 1
; LDSByteSize: 0 bytes/workgroup (compile time only)
; SGPRBlocks: 4
; VGPRBlocks: 7
; NumSGPRsForWavesPerEU: 36
; NumVGPRsForWavesPerEU: 57
; AccumOffset: 60
; Occupancy: 8
; WaveLimiterHint : 0
; COMPUTE_PGM_RSRC2:SCRATCH_EN: 0
; COMPUTE_PGM_RSRC2:USER_SGPR: 2
; COMPUTE_PGM_RSRC2:TRAP_HANDLER: 0
; COMPUTE_PGM_RSRC2:TGID_X_EN: 1
; COMPUTE_PGM_RSRC2:TGID_Y_EN: 1
; COMPUTE_PGM_RSRC2:TGID_Z_EN: 1
; COMPUTE_PGM_RSRC2:TIDIG_COMP_CNT: 0
; COMPUTE_PGM_RSRC3_GFX90A:ACCUM_OFFSET: 14
; COMPUTE_PGM_RSRC3_GFX90A:TG_SPLIT: 0
	.section	.text._ZL18flash_attn_ext_f16ILi96ELi96ELi4ELi4ELb0ELb0EEvPKcS1_S1_S1_S1_PKiPfP15HIP_vector_typeIfLj2EEffffjfiS5_IjLj3EEiiiiiiiiiiiliiliiiiil,"axG",@progbits,_ZL18flash_attn_ext_f16ILi96ELi96ELi4ELi4ELb0ELb0EEvPKcS1_S1_S1_S1_PKiPfP15HIP_vector_typeIfLj2EEffffjfiS5_IjLj3EEiiiiiiiiiiiliiliiiiil,comdat
	.globl	_ZL18flash_attn_ext_f16ILi96ELi96ELi4ELi4ELb0ELb0EEvPKcS1_S1_S1_S1_PKiPfP15HIP_vector_typeIfLj2EEffffjfiS5_IjLj3EEiiiiiiiiiiiliiliiiiil ; -- Begin function _ZL18flash_attn_ext_f16ILi96ELi96ELi4ELi4ELb0ELb0EEvPKcS1_S1_S1_S1_PKiPfP15HIP_vector_typeIfLj2EEffffjfiS5_IjLj3EEiiiiiiiiiiiliiliiiiil
	.p2align	8
	.type	_ZL18flash_attn_ext_f16ILi96ELi96ELi4ELi4ELb0ELb0EEvPKcS1_S1_S1_S1_PKiPfP15HIP_vector_typeIfLj2EEffffjfiS5_IjLj3EEiiiiiiiiiiiliiliiiiil,@function
_ZL18flash_attn_ext_f16ILi96ELi96ELi4ELi4ELb0ELb0EEvPKcS1_S1_S1_S1_PKiPfP15HIP_vector_typeIfLj2EEffffjfiS5_IjLj3EEiiiiiiiiiiiliiliiiiil: ; @_ZL18flash_attn_ext_f16ILi96ELi96ELi4ELi4ELb0ELb0EEvPKcS1_S1_S1_S1_PKiPfP15HIP_vector_typeIfLj2EEffffjfiS5_IjLj3EEiiiiiiiiiiiliiliiiiil
; %bb.0:
	s_load_dwordx2 s[4:5], s[0:1], 0x80
	s_load_dwordx4 s[36:39], s[0:1], 0x64
	s_mov_b32 s33, s2
                                        ; implicit-def: $vgpr164 : SGPR spill to VGPR lane
	s_load_dword s44, s[0:1], 0xd0
	s_mov_b32 s6, 0
	s_waitcnt lgkmcnt(0)
	s_abs_i32 s2, s5
	v_cvt_f32_u32_e32 v1, s2
	s_sub_i32 s8, 0, s2
	s_abs_i32 s7, s37
	s_xor_b32 s3, s37, s5
	v_rcp_iflag_f32_e32 v1, v1
	s_ashr_i32 s3, s3, 31
	v_mul_f32_e32 v1, 0x4f7ffffe, v1
	v_cvt_u32_f32_e32 v1, v1
	s_nop 0
	v_readfirstlane_b32 s9, v1
	s_mul_i32 s8, s8, s9
	s_mul_hi_u32 s8, s9, s8
	s_add_i32 s9, s9, s8
	s_mul_hi_u32 s8, s7, s9
	s_mul_i32 s9, s8, s2
	s_sub_i32 s7, s7, s9
	s_add_i32 s10, s8, 1
	s_sub_i32 s9, s7, s2
	s_cmp_ge_u32 s7, s2
	s_cselect_b32 s8, s10, s8
	s_cselect_b32 s7, s9, s7
	s_add_i32 s9, s8, 1
	s_cmp_ge_u32 s7, s2
	s_cselect_b32 s2, s9, s8
	s_add_i32 s4, s4, 63
	s_xor_b32 s2, s2, s3
	s_ashr_i32 s7, s4, 31
	s_sub_i32 s3, s2, s3
	s_lshr_b32 s2, s7, 26
	s_add_i32 s4, s4, s2
	s_add_i32 s2, s36, 3
	s_lshr_b32 s7, s2, 2
	s_add_i32 s2, s3, 3
	s_ashr_i32 s94, s4, 6
	s_ashr_i32 s4, s2, 31
	s_lshr_b32 s4, s4, 30
	s_add_i32 s2, s2, s4
	s_ashr_i32 s2, s2, 2
	s_mul_i32 s4, s7, s94
	v_writelane_b32 v164, s7, 0
	s_mul_i32 s2, s4, s2
	v_writelane_b32 v164, s4, 1
	;; [unrolled: 2-line block ×3, first 2 shown]
	s_mul_i32 s2, s93, s38
	s_ashr_i32 s10, s2, 31
	s_mul_i32 s4, s10, s33
	s_mul_hi_u32 s5, s2, s33
	s_add_i32 s7, s5, s4
	s_cmp_lg_u64 s[6:7], 0
	s_mul_i32 s6, s2, s33
	s_cbranch_scc0 .LBB14_205
; %bb.1:
	s_add_u32 s4, s44, 0
	s_addc_u32 s5, 0, 0
	s_xor_b64 s[8:9], s[4:5], 0
	v_cvt_f32_u32_e32 v1, s8
	v_cvt_f32_u32_e32 v2, s9
	s_sub_u32 s11, 0, s8
	s_subb_u32 s14, 0, s9
	v_fmamk_f32 v1, v2, 0x4f800000, v1
	v_rcp_f32_e32 v1, v1
	s_nop 0
	v_mul_f32_e32 v1, 0x5f7ffffc, v1
	v_mul_f32_e32 v2, 0x2f800000, v1
	v_trunc_f32_e32 v2, v2
	v_fmamk_f32 v1, v2, 0xcf800000, v1
	v_cvt_u32_f32_e32 v2, v2
	v_cvt_u32_f32_e32 v1, v1
	v_readfirstlane_b32 s15, v2
	v_readfirstlane_b32 s12, v1
	s_mul_i32 s13, s11, s15
	s_mul_hi_u32 s17, s11, s12
	s_mul_i32 s16, s14, s12
	s_add_i32 s13, s17, s13
	s_add_i32 s13, s13, s16
	s_mul_i32 s18, s11, s12
	s_mul_i32 s17, s12, s13
	s_mul_hi_u32 s19, s12, s18
	s_mul_hi_u32 s16, s12, s13
	s_add_u32 s17, s19, s17
	s_addc_u32 s16, 0, s16
	s_mul_hi_u32 s20, s15, s18
	s_mul_i32 s18, s15, s18
	s_add_u32 s17, s17, s18
	s_mul_hi_u32 s19, s15, s13
	s_addc_u32 s16, s16, s20
	s_addc_u32 s17, s19, 0
	s_mul_i32 s13, s15, s13
	s_add_u32 s13, s16, s13
	s_addc_u32 s16, 0, s17
	s_add_u32 s17, s12, s13
	s_cselect_b64 s[12:13], -1, 0
	s_cmp_lg_u64 s[12:13], 0
	s_addc_u32 s15, s15, s16
	s_mul_i32 s12, s11, s15
	s_mul_hi_u32 s13, s11, s17
	s_add_i32 s12, s13, s12
	s_mul_i32 s14, s14, s17
	s_add_i32 s12, s12, s14
	s_mul_i32 s11, s11, s17
	s_mul_hi_u32 s14, s15, s11
	s_mul_i32 s16, s15, s11
	s_mul_i32 s19, s17, s12
	s_mul_hi_u32 s11, s17, s11
	s_mul_hi_u32 s18, s17, s12
	s_add_u32 s11, s11, s19
	s_addc_u32 s18, 0, s18
	s_add_u32 s11, s11, s16
	s_mul_hi_u32 s13, s15, s12
	s_addc_u32 s11, s18, s14
	s_addc_u32 s13, s13, 0
	s_mul_i32 s12, s15, s12
	s_add_u32 s11, s11, s12
	s_addc_u32 s14, 0, s13
	s_add_u32 s11, s17, s11
	s_cselect_b64 s[12:13], -1, 0
	s_cmp_lg_u64 s[12:13], 0
	s_addc_u32 s16, s15, s14
	s_ashr_i32 s12, s7, 31
	s_add_u32 s14, s6, s12
	s_mov_b32 s13, s12
	s_addc_u32 s15, s7, s12
	s_xor_b64 s[14:15], s[14:15], s[12:13]
	s_mul_i32 s17, s14, s16
	s_mul_hi_u32 s18, s14, s11
	s_mul_hi_u32 s7, s14, s16
	s_add_u32 s17, s18, s17
	s_addc_u32 s7, 0, s7
	s_mul_hi_u32 s19, s15, s11
	s_mul_i32 s11, s15, s11
	s_add_u32 s11, s17, s11
	s_mul_hi_u32 s18, s15, s16
	s_addc_u32 s7, s7, s19
	s_addc_u32 s11, s18, 0
	s_mul_i32 s16, s15, s16
	s_add_u32 s7, s7, s16
	s_addc_u32 s11, 0, s11
	s_mul_i32 s16, s8, s11
	s_mul_hi_u32 s17, s8, s7
	s_add_i32 s16, s17, s16
	s_mul_i32 s17, s9, s7
	s_add_i32 s20, s16, s17
	s_sub_i32 s18, s15, s20
	s_mul_i32 s16, s8, s7
	s_sub_u32 s14, s14, s16
	s_cselect_b64 s[16:17], -1, 0
	s_cmp_lg_u64 s[16:17], 0
	s_subb_u32 s21, s18, s9
	s_sub_u32 s22, s14, s8
	s_cselect_b64 s[18:19], -1, 0
	s_cmp_lg_u64 s[18:19], 0
	s_subb_u32 s18, s21, 0
	s_cmp_ge_u32 s18, s9
	s_cselect_b32 s19, -1, 0
	s_cmp_ge_u32 s22, s8
	s_cselect_b32 s21, -1, 0
	s_cmp_eq_u32 s18, s9
	s_cselect_b32 s18, s21, s19
	s_add_u32 s19, s7, 1
	s_addc_u32 s21, s11, 0
	s_add_u32 s22, s7, 2
	s_addc_u32 s23, s11, 0
	s_cmp_lg_u32 s18, 0
	s_cselect_b32 s18, s22, s19
	s_cselect_b32 s19, s23, s21
	s_cmp_lg_u64 s[16:17], 0
	s_subb_u32 s15, s15, s20
	s_cmp_ge_u32 s15, s9
	s_cselect_b32 s16, -1, 0
	s_cmp_ge_u32 s14, s8
	s_cselect_b32 s8, -1, 0
	s_cmp_eq_u32 s15, s9
	s_cselect_b32 s8, s8, s16
	s_cmp_lg_u32 s8, 0
	s_cselect_b32 s9, s19, s11
	s_cselect_b32 s8, s18, s7
	s_xor_b64 s[12:13], s[12:13], 0
	s_xor_b64 s[8:9], s[8:9], s[12:13]
	s_sub_u32 s54, s8, s12
	s_load_dwordx2 s[46:47], s[0:1], 0x74
	v_cvt_f32_u32_e32 v1, s44
	s_cbranch_execnz .LBB14_3
.LBB14_2:
	v_rcp_iflag_f32_e32 v2, v1
	s_sub_i32 s4, 0, s44
	v_mul_f32_e32 v2, 0x4f7ffffe, v2
	v_cvt_u32_f32_e32 v2, v2
	s_nop 0
	v_readfirstlane_b32 s5, v2
	s_mul_i32 s4, s4, s5
	s_mul_hi_u32 s4, s5, s4
	s_add_i32 s5, s5, s4
	s_mul_hi_u32 s4, s6, s5
	s_mul_i32 s7, s4, s44
	s_sub_i32 s6, s6, s7
	s_add_i32 s5, s4, 1
	s_sub_i32 s7, s6, s44
	s_cmp_ge_u32 s6, s44
	s_cselect_b32 s4, s5, s4
	s_cselect_b32 s6, s7, s6
	s_add_i32 s5, s4, 1
	s_cmp_ge_u32 s6, s44
	s_cselect_b32 s54, s5, s4
.LBB14_3:
	s_add_i32 s4, s33, 1
	s_mul_i32 s5, s10, s4
	s_mul_hi_u32 s6, s2, s4
	s_add_i32 s9, s6, s5
	s_mov_b32 s8, 0
	s_cmp_lg_u64 s[8:9], 0
	s_mul_i32 s2, s2, s4
	s_cbranch_scc0 .LBB14_206
; %bb.4:
	s_add_u32 s4, s44, 0
	s_addc_u32 s5, 0, 0
	s_xor_b64 s[6:7], s[4:5], 0
	v_cvt_f32_u32_e32 v2, s6
	v_cvt_f32_u32_e32 v3, s7
	s_sub_u32 s8, 0, s6
	s_subb_u32 s12, 0, s7
	v_fmamk_f32 v2, v3, 0x4f800000, v2
	v_rcp_f32_e32 v2, v2
	s_nop 0
	v_mul_f32_e32 v2, 0x5f7ffffc, v2
	v_mul_f32_e32 v3, 0x2f800000, v2
	v_trunc_f32_e32 v3, v3
	v_fmamk_f32 v2, v3, 0xcf800000, v2
	v_cvt_u32_f32_e32 v3, v3
	v_cvt_u32_f32_e32 v2, v2
	v_readfirstlane_b32 s13, v3
	v_readfirstlane_b32 s10, v2
	s_mul_i32 s11, s8, s13
	s_mul_hi_u32 s15, s8, s10
	s_mul_i32 s14, s12, s10
	s_add_i32 s11, s15, s11
	s_add_i32 s11, s11, s14
	s_mul_i32 s16, s8, s10
	s_mul_i32 s15, s10, s11
	s_mul_hi_u32 s17, s10, s16
	s_mul_hi_u32 s14, s10, s11
	s_add_u32 s15, s17, s15
	s_addc_u32 s14, 0, s14
	s_mul_hi_u32 s18, s13, s16
	s_mul_i32 s16, s13, s16
	s_add_u32 s15, s15, s16
	s_mul_hi_u32 s17, s13, s11
	s_addc_u32 s14, s14, s18
	s_addc_u32 s15, s17, 0
	s_mul_i32 s11, s13, s11
	s_add_u32 s11, s14, s11
	s_addc_u32 s14, 0, s15
	s_add_u32 s15, s10, s11
	s_cselect_b64 s[10:11], -1, 0
	s_cmp_lg_u64 s[10:11], 0
	s_addc_u32 s13, s13, s14
	s_mul_i32 s10, s8, s13
	s_mul_hi_u32 s11, s8, s15
	s_add_i32 s10, s11, s10
	s_mul_i32 s12, s12, s15
	s_add_i32 s10, s10, s12
	s_mul_i32 s8, s8, s15
	s_mul_hi_u32 s12, s13, s8
	s_mul_i32 s14, s13, s8
	s_mul_i32 s17, s15, s10
	s_mul_hi_u32 s8, s15, s8
	s_mul_hi_u32 s16, s15, s10
	s_add_u32 s8, s8, s17
	s_addc_u32 s16, 0, s16
	s_add_u32 s8, s8, s14
	s_mul_hi_u32 s11, s13, s10
	s_addc_u32 s8, s16, s12
	s_addc_u32 s11, s11, 0
	s_mul_i32 s10, s13, s10
	s_add_u32 s8, s8, s10
	s_addc_u32 s12, 0, s11
	s_add_u32 s14, s15, s8
	s_cselect_b64 s[10:11], -1, 0
	s_cmp_lg_u64 s[10:11], 0
	s_addc_u32 s12, s13, s12
	s_ashr_i32 s10, s9, 31
	s_add_u32 s8, s2, s10
	s_mov_b32 s11, s10
	s_addc_u32 s9, s9, s10
	s_xor_b64 s[8:9], s[8:9], s[10:11]
	s_mul_i32 s15, s8, s12
	s_mul_hi_u32 s16, s8, s14
	s_mul_hi_u32 s13, s8, s12
	s_add_u32 s15, s16, s15
	s_addc_u32 s13, 0, s13
	s_mul_hi_u32 s17, s9, s14
	s_mul_i32 s14, s9, s14
	s_add_u32 s14, s15, s14
	s_mul_hi_u32 s16, s9, s12
	s_addc_u32 s13, s13, s17
	s_addc_u32 s14, s16, 0
	s_mul_i32 s12, s9, s12
	s_add_u32 s16, s13, s12
	s_addc_u32 s17, 0, s14
	s_mul_i32 s12, s6, s17
	s_mul_hi_u32 s13, s6, s16
	s_add_i32 s12, s13, s12
	s_mul_i32 s13, s7, s16
	s_add_i32 s18, s12, s13
	s_sub_i32 s14, s9, s18
	s_mul_i32 s12, s6, s16
	s_sub_u32 s8, s8, s12
	s_cselect_b64 s[12:13], -1, 0
	s_cmp_lg_u64 s[12:13], 0
	s_subb_u32 s19, s14, s7
	s_sub_u32 s20, s8, s6
	s_cselect_b64 s[14:15], -1, 0
	s_cmp_lg_u64 s[14:15], 0
	s_subb_u32 s14, s19, 0
	s_cmp_ge_u32 s14, s7
	s_cselect_b32 s15, -1, 0
	s_cmp_ge_u32 s20, s6
	s_cselect_b32 s19, -1, 0
	s_cmp_eq_u32 s14, s7
	s_cselect_b32 s14, s19, s15
	s_add_u32 s15, s16, 1
	s_addc_u32 s19, s17, 0
	s_add_u32 s20, s16, 2
	s_addc_u32 s21, s17, 0
	s_cmp_lg_u32 s14, 0
	s_cselect_b32 s14, s20, s15
	s_cselect_b32 s15, s21, s19
	s_cmp_lg_u64 s[12:13], 0
	s_subb_u32 s9, s9, s18
	s_cmp_ge_u32 s9, s7
	s_cselect_b32 s12, -1, 0
	s_cmp_ge_u32 s8, s6
	s_cselect_b32 s6, -1, 0
	s_cmp_eq_u32 s9, s7
	s_cselect_b32 s6, s6, s12
	s_cmp_lg_u32 s6, 0
	s_cselect_b32 s7, s15, s17
	s_cselect_b32 s6, s14, s16
	s_xor_b64 s[8:9], s[10:11], 0
	s_xor_b64 s[6:7], s[6:7], s[8:9]
	s_sub_u32 s58, s6, s8
	s_load_dwordx2 s[34:35], s[0:1], 0x5c
	s_cbranch_execnz .LBB14_6
.LBB14_5:
	v_rcp_iflag_f32_e32 v1, v1
	s_sub_i32 s4, 0, s44
	v_mul_f32_e32 v1, 0x4f7ffffe, v1
	v_cvt_u32_f32_e32 v1, v1
	s_nop 0
	v_readfirstlane_b32 s5, v1
	s_mul_i32 s4, s4, s5
	s_mul_hi_u32 s4, s5, s4
	s_add_i32 s5, s5, s4
	s_mul_hi_u32 s4, s2, s5
	s_mul_i32 s6, s4, s44
	s_sub_i32 s2, s2, s6
	s_add_i32 s5, s4, 1
	s_sub_i32 s6, s2, s44
	s_cmp_ge_u32 s2, s44
	s_cselect_b32 s4, s5, s4
	s_cselect_b32 s2, s6, s2
	s_add_i32 s5, s4, 1
	s_cmp_ge_u32 s2, s44
	s_cselect_b32 s58, s5, s4
.LBB14_6:
	s_abs_i32 s95, s94
	v_cvt_f32_u32_e32 v1, s95
	s_load_dwordx16 s[16:31], s[0:1], 0x0
	s_load_dword s2, s[0:1], 0x40
	s_load_dwordx2 s[4:5], s[0:1], 0x8c
	s_load_dwordx4 s[40:43], s[0:1], 0x98
	s_load_dwordx2 s[48:49], s[0:1], 0xa8
	s_load_dwordx2 s[12:13], s[0:1], 0xb8
	;; [unrolled: 1-line block ×3, first 2 shown]
	s_waitcnt lgkmcnt(0)
	s_mov_b32 s1, s5
	s_ashr_i32 s38, s4, 2
	v_rcp_iflag_f32_e32 v1, v1
	s_sub_i32 s4, 0, s95
	v_writelane_b32 v164, s0, 3
	s_ashr_i32 s55, s39, 3
	v_mul_f32_e32 v1, 0x4f7ffffe, v1
	v_cvt_u32_f32_e32 v1, v1
	v_writelane_b32 v164, s1, 4
	s_ashr_i32 s1, s94, 31
	v_writelane_b32 v164, s1, 5
	v_readfirstlane_b32 s52, v1
	s_mul_i32 s4, s4, s52
	s_mul_hi_u32 s4, s52, s4
	s_abs_i32 s1, s54
	s_add_i32 s52, s52, s4
	s_mul_hi_u32 s4, s1, s52
	s_mul_i32 s4, s4, s95
	s_sub_i32 s1, s1, s4
	s_ashr_i32 s53, s46, 3
	s_ashr_i32 s62, s13, 1
	;; [unrolled: 1-line block ×4, first 2 shown]
	s_sub_i32 s4, s1, s95
	s_cmp_ge_u32 s1, s95
	s_cselect_b32 s1, s4, s1
	s_sub_i32 s4, s1, s95
	s_cmp_ge_u32 s1, s95
	s_cselect_b32 s1, s4, s1
	s_xor_b32 s1, s1, s0
	s_sub_i32 s84, s1, s0
	s_sub_i32 s0, s58, s54
	s_add_i32 s4, s0, s84
	s_min_i32 s66, s94, s4
	s_cmp_gt_i32 s58, s54
	s_cselect_b64 s[8:9], -1, 0
	s_cmp_le_i32 s58, s54
	s_cselect_b64 s[0:1], -1, 0
	s_cmp_gt_i32 s94, s4
	v_cvt_f16_f32_e32 v1, s2
	s_cselect_b64 s[4:5], -1, 0
	s_or_b64 s[0:1], s[4:5], s[0:1]
	v_bfe_u32 v35, v0, 5, 5
	v_bfe_u32 v31, v0, 10, 10
	s_mov_b32 s61, 0
	s_and_b64 vcc, exec, s[0:1]
	v_lshl_add_u32 v67, v31, 1, v35
	v_and_b32_e32 v30, 31, v0
	v_lshlrev_b32_e32 v39, 2, v31
	v_lshlrev_b32_e32 v37, 4, v31
	v_mbcnt_lo_u32_b32 v57, -1, 0
	s_cbranch_vccz .LBB14_9
; %bb.7:
	s_andn2_b64 vcc, exec, s[8:9]
	s_cbranch_vccz .LBB14_186
.LBB14_8:
	s_endpgm
.LBB14_9:
	v_and_b32_e32 v4, 0x3ff, v0
	s_cmp_eq_u64 s[24:25], 0
	v_and_b32_e32 v32, 15, v0
	s_movk_i32 s2, 0xd0
	v_and_b32_e32 v5, 0x3f0, v39
	v_lshrrev_b32_e32 v9, 1, v0
	v_lshlrev_b32_e32 v10, 1, v4
	v_writelane_b32 v164, s44, 6
	s_cselect_b64 s[0:1], -1, 0
	v_mad_u32_u24 v6, v5, s2, 0
	v_mul_u32_u24_e32 v7, 0xd0, v32
	v_and_b32_e32 v9, 0x78, v9
	v_and_b32_e32 v34, 62, v10
	v_writelane_b32 v164, s0, 7
	s_cmp_lg_u64 s[26:27], 0
	v_add3_u32 v69, v6, v7, v9
	v_mul_u32_u24_e32 v6, 0x90, v67
	v_lshlrev_b32_e32 v10, 1, v34
	v_writelane_b32 v164, s1, 8
	s_cselect_b64 s[0:1], -1, 0
	v_add3_u32 v71, 0, v6, v10
	v_bfe_u32 v6, v0, 2, 8
	v_lshlrev_b32_e32 v12, 2, v4
	v_writelane_b32 v164, s0, 9
	v_add_u32_e32 v10, v37, v6
	v_and_b32_e32 v36, 12, v12
	v_writelane_b32 v164, s1, 10
	v_bfe_u32 v8, v0, 3, 7
	v_mad_u32_u24 v11, v10, s2, 0
	v_lshlrev_b32_e32 v13, 2, v36
	s_movk_i32 s0, 0x80
	v_add3_u32 v73, v11, v13, s0
	v_lshl_add_u32 v11, v31, 3, v8
	v_and_b32_e32 v38, 28, v12
	v_mul_u32_u24_e32 v13, 0xd0, v11
	v_lshlrev_b32_e32 v12, 2, v38
	v_add3_u32 v75, 0, v13, v12
	v_and_b32_e32 v12, 48, v37
	v_and_b32_e32 v6, 60, v6
	v_and_or_b32 v5, v0, 12, v5
	v_add_u16_e32 v6, v12, v6
	v_lshrrev_b32_e32 v5, 2, v5
	v_lshrrev_b16_e32 v6, 1, v6
	v_mul_u32_u24_e32 v5, 0x90, v5
	v_lshlrev_b32_e32 v6, 2, v6
	v_mad_u32_u24 v13, v12, s2, 0
	v_add3_u32 v79, 0, v5, v6
	v_lshlrev_b32_e32 v5, 1, v8
	v_add3_u32 v77, v13, v7, v9
	v_and_b32_e32 v6, 60, v5
	v_or_b32_e32 v7, 2, v5
	v_or_b32_e32 v5, 3, v5
	v_mul_u32_u24_e32 v5, 0xd0, v5
	v_lshlrev_b32_e32 v8, 1, v32
	v_add3_u32 v108, v13, v5, v8
	v_bfe_u32 v5, v0, 10, 2
	v_cmp_eq_u32_e64 s[0:1], 0, v5
	v_cmp_ne_u32_e64 s[4:5], 0, v5
	v_or_b32_e32 v5, v37, v32
	v_mul_u32_u24_e32 v5, 0xd0, v5
	v_add3_u32 v109, 0, v5, v9
	v_lshrrev_b32_e32 v5, 10, v0
	v_writelane_b32 v164, s4, 11
	s_lshl_b32 s60, s33, 4
	v_bfe_u32 v5, v5, 1, 9
	v_bfe_u32 v2, v0, 4, 6
	s_ashr_i32 s63, s62, 31
	s_ashr_i32 s39, s38, 31
	;; [unrolled: 1-line block ×3, first 2 shown]
	v_mul_u32_u24_e32 v6, 0xd0, v6
	v_mul_u32_u24_e32 v7, 0xd0, v7
	v_writelane_b32 v164, s5, 12
	s_lshl_b64 s[4:5], s[60:61], 3
	v_add_u32_e32 v5, v5, v35
	v_add_u32_e32 v3, v39, v2
	v_add3_u32 v106, v13, v6, v8
	v_add3_u32 v107, v13, v7, v8
	s_add_u32 s8, s30, s4
	v_add_u32_e32 v6, v2, v31
	v_lshlrev_b32_e32 v2, 2, v5
	v_and_b32_e32 v7, 15, v5
	s_movk_i32 s4, 0x3c0
	v_and_or_b32 v2, v2, s4, v7
	v_add_u32_e32 v7, 2, v5
	v_lshlrev_b32_e32 v8, 2, v7
	v_and_b32_e32 v9, 15, v7
	s_movk_i32 s4, 0x7c0
	v_and_or_b32 v8, v8, s4, v9
	v_add_u32_e32 v9, 4, v5
	v_lshlrev_b32_e32 v12, 2, v9
	v_and_b32_e32 v13, 15, v9
	v_and_or_b32 v12, v12, s4, v13
	v_add_u32_e32 v13, 6, v5
	v_lshlrev_b32_e32 v14, 2, v13
	v_and_b32_e32 v15, 15, v13
	s_addc_u32 s9, s31, s5
	v_and_or_b32 v14, v14, s4, v15
	v_add_u32_e32 v15, 8, v5
	s_abs_i32 s57, s93
	v_lshlrev_b32_e32 v16, 2, v15
	v_and_b32_e32 v17, 15, v15
	v_cvt_f32_u32_e32 v28, s57
	v_and_or_b32 v16, v16, s4, v17
	v_add_u32_e32 v17, 10, v5
	v_writelane_b32 v164, s33, 13
	v_lshlrev_b32_e32 v18, 2, v17
	v_and_b32_e32 v19, 15, v17
	v_and_or_b32 v18, v18, s4, v19
	v_add_u32_e32 v19, 12, v5
	v_readlane_b32 s44, v164, 2
	v_lshlrev_b32_e32 v20, 2, v19
	v_and_b32_e32 v21, 15, v19
	v_rcp_iflag_f32_e32 v28, v28
	s_abs_i32 s96, s44
	v_and_or_b32 v20, v20, s4, v21
	v_add_u32_e32 v21, 14, v5
	v_cvt_f32_u32_e32 v40, s96
	v_lshlrev_b32_e32 v22, 2, v21
	v_and_b32_e32 v23, 15, v21
	v_and_or_b32 v22, v22, s4, v23
	v_lshlrev_b32_e32 v23, 2, v6
	v_and_b32_e32 v24, 15, v6
	v_and_or_b32 v23, v23, s4, v24
	v_add_u32_e32 v24, 4, v6
	v_mul_f32_e32 v28, 0x4f7ffffe, v28
	v_lshlrev_b32_e32 v25, 2, v24
	v_and_b32_e32 v26, 15, v24
	s_movk_i32 s4, 0xfc0
	v_cvt_u32_f32_e32 v28, v28
	v_rcp_iflag_f32_e32 v40, v40
	v_and_or_b32 v25, v25, s4, v26
	v_add_u32_e32 v26, 8, v6
	v_lshlrev_b32_e32 v27, 2, v26
	v_and_b32_e32 v29, 15, v26
	v_and_or_b32 v27, v27, s4, v29
	v_add_u32_e32 v29, 12, v6
	v_readlane_b32 s42, v164, 1
	v_lshlrev_b32_e32 v41, 2, v29
	v_and_b32_e32 v42, 15, v29
	v_readfirstlane_b32 s11, v28
	v_mul_f32_e32 v28, 0x4f7ffffe, v40
	s_abs_i32 s97, s42
	v_and_or_b32 v54, v41, s4, v42
	v_cvt_u32_f32_e32 v28, v28
	v_cvt_f32_u32_e32 v40, s97
	s_mov_b32 s4, s12
	v_writelane_b32 v164, s4, 14
	s_ashr_i32 s33, s93, 31
	s_abs_i32 s98, s12
	v_writelane_b32 v164, s5, 15
	v_writelane_b32 v164, s33, 16
	s_sub_i32 s33, 0, s57
	v_cvt_f32_u32_e32 v41, s98
	v_readfirstlane_b32 s12, v28
	v_rcp_iflag_f32_e32 v28, v40
	s_mul_i32 s33, s33, s11
	s_mul_hi_u32 s33, s11, s33
	s_add_i32 s11, s11, s33
	v_lshl_add_u32 v110, v32, 2, 0
	v_writelane_b32 v164, s11, 17
	s_ashr_i32 s11, s44, 31
	v_lshrrev_b32_e32 v33, 2, v3
	v_rcp_iflag_f32_e32 v40, v41
	v_mad_u32_u24 v111, v3, s2, v110
	v_mul_f32_e32 v3, 0x4f7ffffe, v28
	v_writelane_b32 v164, s11, 18
	s_sub_i32 s11, 0, s96
	v_cvt_u32_f32_e32 v3, v3
	s_mul_i32 s11, s11, s12
	s_mul_hi_u32 s11, s12, s11
	s_add_i32 s11, s12, s11
	v_mul_f32_e32 v28, 0x4f7ffffe, v40
	v_writelane_b32 v164, s11, 19
	s_ashr_i32 s11, s42, 31
	v_cvt_u32_f32_e32 v28, v28
	v_readfirstlane_b32 s2, v3
	v_writelane_b32 v164, s11, 20
	s_sub_i32 s11, 0, s97
	s_mul_i32 s11, s11, s2
	v_or_b32_e32 v3, v39, v4
	s_mul_hi_u32 s11, s2, s11
	v_lshlrev_b32_e32 v40, 3, v3
	v_add_u32_e32 v3, v37, v4
	s_add_i32 s2, s2, s11
	v_readfirstlane_b32 s13, v28
	v_mov_b32_e32 v41, 0
	v_mul_lo_u32 v48, s14, v10
	v_mul_u32_u24_e32 v113, 0xd0, v3
	v_add_u32_e32 v3, 8, v67
	v_writelane_b32 v164, s2, 21
	s_sub_i32 s2, 0, s98
	v_and_b32_e32 v56, 3, v0
	v_ashrrev_i32_e32 v49, 31, v48
	v_lshrrev_b32_e32 v114, 2, v3
	v_mul_u32_u24_e32 v115, 0xd0, v2
	s_mul_i32 s2, s2, s13
	v_lshlrev_b32_e32 v2, 2, v30
	v_mov_b32_e32 v3, v41
	v_lshl_add_u64 v[58:59], s[8:9], 0, v[40:41]
	v_lshlrev_b32_e32 v40, 4, v56
	v_mul_u32_u24_e32 v132, 0xd0, v54
	s_mul_hi_u32 s2, s13, s2
	v_add_u32_e32 v133, 0, v2
	v_lshl_add_u64 v[54:55], s[22:23], 0, v[2:3]
	v_lshl_add_u64 v[2:3], v[48:49], 2, v[40:41]
	v_mul_lo_u32 v42, s38, v10
	s_add_i32 s2, s13, s2
	v_lshl_add_u64 v[2:3], s[20:21], 0, v[2:3]
	s_mov_b64 s[68:69], 0x80
	v_ashrrev_i32_e32 v43, 31, v42
	v_writelane_b32 v164, s2, 22
	s_mov_b32 s2, s62
	v_lshl_add_u64 v[60:61], v[2:3], 0, s[68:69]
	v_and_b32_e32 v2, 7, v0
	v_mul_lo_u32 v44, s38, v11
	v_mul_lo_u32 v50, s14, v11
	v_writelane_b32 v164, s2, 23
	v_lshlrev_b32_e32 v62, 4, v2
	v_lshl_add_u64 v[2:3], v[42:43], 2, v[40:41]
	v_lshl_add_u32 v46, s38, 5, v44
	v_lshl_add_u32 v52, s14, 5, v50
	v_bfe_u32 v112, v4, 4, 2
	v_writelane_b32 v164, s3, 24
	s_lshl_b64 s[12:13], s[62:63], 1
	v_lshl_add_u64 v[2:3], s[18:19], 0, v[2:3]
	s_mov_b32 s10, 0x10001
	v_ashrrev_i32_e32 v45, 31, v44
	v_ashrrev_i32_e32 v47, 31, v46
	;; [unrolled: 1-line block ×4, first 2 shown]
	v_writelane_b32 v164, s12, 25
	v_lshl_add_u64 v[64:65], v[2:3], 0, s[68:69]
	v_and_b32_e32 v135, 3, v67
	v_mul_lo_u32 v2, s53, v112
	v_cmp_gt_u32_e64 s[4:5], 4, v67
	v_cmp_gt_u32_e64 s[6:7], 16, v4
	v_mul_u32_u24_e32 v116, 0xd0, v8
	v_lshrrev_b32_e32 v117, 2, v9
	v_mul_u32_u24_e32 v118, 0xd0, v12
	v_mul_u32_u24_e32 v119, 0xd0, v14
	v_lshrrev_b32_e32 v120, 2, v15
	v_mul_u32_u24_e32 v121, 0xd0, v16
	;; [unrolled: 3-line block ×3, first 2 shown]
	v_mul_u32_u24_e32 v125, 0xd0, v22
	v_mul_u32_u24_e32 v126, 0xd0, v23
	v_lshrrev_b32_e32 v127, 2, v24
	v_mul_u32_u24_e32 v128, 0xd0, v25
	v_lshrrev_b32_e32 v129, 2, v26
	v_mul_u32_u24_e32 v130, 0xd0, v27
	v_lshrrev_b32_e32 v131, 2, v29
	v_writelane_b32 v164, s13, 26
	s_lshl_b64 s[70:71], s[14:15], 8
	v_mov_b32_e32 v63, v41
	s_lshl_b64 s[72:73], s[38:39], 8
	s_mov_b32 s45, 0x3fb8aa3b
	s_mov_b32 s2, 0xc2ce8ed0
	;; [unrolled: 1-line block ×5, first 2 shown]
	v_mul_lo_u32 v134, v1, s10
	v_add3_u32 v66, v2, v32, 32
	v_add_u32_e32 v136, 0x1a00, v75
	v_lshrrev_b32_e32 v137, 2, v6
	v_and_b32_e32 v68, 3, v6
	v_lshrrev_b32_e32 v138, 2, v67
	v_mul_u32_u24_e32 v139, 0xd0, v67
	v_lshrrev_b32_e32 v140, 2, v5
	v_and_b32_e32 v70, 3, v5
	v_lshrrev_b32_e32 v141, 2, v7
	v_and_b32_e32 v72, 3, v7
	;; [unrolled: 2-line block ×5, first 2 shown]
	v_mbcnt_hi_u32_b32 v145, -1, v57
	v_mov_b32_e32 v146, 0x7f800000
	v_mad_u64_u32 v[80:81], s[8:9], s53, v135, v[30:31]
	v_lshl_add_u64 v[82:83], v[50:51], 2, s[20:21]
	v_lshl_add_u64 v[84:85], v[52:53], 2, s[20:21]
	;; [unrolled: 1-line block ×4, first 2 shown]
	v_writelane_b32 v164, s53, 27
	s_branch .LBB14_12
.LBB14_10:                              ;   in Loop: Header=BB14_12 Depth=1
	s_or_b64 exec, exec, s[76:77]
	s_barrier
.LBB14_11:                              ;   in Loop: Header=BB14_12 Depth=1
	s_add_i32 s8, s54, s94
	s_abs_i32 s10, s8
	s_mul_hi_u32 s11, s10, s52
	s_mul_i32 s11, s11, s95
	s_sub_i32 s10, s10, s11
	s_ashr_i32 s9, s8, 31
	s_sub_i32 s11, s10, s95
	s_cmp_ge_u32 s10, s95
	s_cselect_b32 s10, s11, s10
	s_sub_i32 s11, s10, s95
	s_cmp_ge_u32 s10, s95
	s_cselect_b32 s10, s11, s10
	s_xor_b32 s10, s10, s9
	s_sub_i32 s9, s9, s10
	s_add_i32 s54, s8, s9
	s_sub_i32 s10, s58, s54
	s_min_i32 s66, s94, s10
	s_cmp_gt_i32 s58, s54
	s_cselect_b64 s[8:9], -1, 0
	s_cmp_le_i32 s94, s10
	s_cselect_b64 s[10:11], -1, 0
	s_and_b64 s[10:11], s[10:11], s[8:9]
	s_mov_b32 s84, 0
	s_and_b64 vcc, exec, s[10:11]
	s_cbranch_vccz .LBB14_185
.LBB14_12:                              ; =>This Loop Header: Depth=1
                                        ;     Child Loop BB14_117 Depth 2
                                        ;     Child Loop BB14_30 Depth 2
	s_ashr_i32 s8, s54, 31
	v_readlane_b32 s9, v164, 16
	s_xor_b32 s8, s8, s9
	s_abs_i32 s9, s54
	v_readlane_b32 s10, v164, 17
	s_mul_hi_u32 s10, s9, s10
	s_mul_i32 s11, s10, s57
	s_sub_i32 s9, s9, s11
	s_add_i32 s11, s10, 1
	s_sub_i32 s12, s9, s57
	s_cmp_ge_u32 s9, s57
	s_cselect_b32 s10, s11, s10
	s_cselect_b32 s9, s12, s9
	s_add_i32 s11, s10, 1
	s_cmp_ge_u32 s9, s57
	s_cselect_b32 s9, s11, s10
	s_xor_b32 s9, s9, s8
	s_sub_i32 s8, s9, s8
	s_mul_i32 s9, s8, s93
	s_sub_i32 s10, s54, s9
	s_ashr_i32 s9, s10, 31
	v_readlane_b32 s11, v164, 18
	s_xor_b32 s9, s9, s11
	s_abs_i32 s11, s10
	v_readlane_b32 s12, v164, 19
	s_mul_hi_u32 s12, s11, s12
	s_mul_i32 s13, s12, s96
	s_sub_i32 s11, s11, s13
	s_add_i32 s13, s12, 1
	s_sub_i32 s33, s11, s96
	s_cmp_ge_u32 s11, s96
	s_cselect_b32 s12, s13, s12
	s_cselect_b32 s11, s33, s11
	s_add_i32 s13, s12, 1
	s_cmp_ge_u32 s11, s96
	s_cselect_b32 s11, s13, s12
	s_xor_b32 s11, s11, s9
	s_sub_i32 s9, s11, s9
	v_readlane_b32 s11, v164, 2
	s_mul_i32 s11, s9, s11
	s_sub_i32 s11, s10, s11
	s_ashr_i32 s10, s11, 31
	v_readlane_b32 s12, v164, 20
	s_xor_b32 s10, s10, s12
	s_abs_i32 s12, s11
	v_readlane_b32 s13, v164, 21
	s_mul_hi_u32 s13, s12, s13
	s_mul_i32 s33, s13, s97
	s_sub_i32 s12, s12, s33
	s_add_i32 s33, s13, 1
	s_sub_i32 s42, s12, s97
	s_cmp_ge_u32 s12, s97
	s_cselect_b32 s13, s33, s13
	s_cselect_b32 s12, s42, s12
	s_add_i32 s33, s13, 1
	s_cmp_ge_u32 s12, s97
	s_cselect_b32 s12, s33, s13
	s_xor_b32 s12, s12, s10
	s_sub_i32 s10, s12, s10
	v_readlane_b32 s12, v164, 1
	s_mul_i32 s12, s10, s12
	s_sub_i32 s11, s11, s12
	s_ashr_i32 s12, s11, 31
	v_readlane_b32 s13, v164, 5
	s_abs_i32 s11, s11
	s_xor_b32 s12, s12, s13
	s_mul_hi_u32 s13, s11, s52
	s_mul_i32 s33, s13, s95
	s_sub_i32 s11, s11, s33
	s_add_i32 s33, s13, 1
	s_sub_i32 s42, s11, s95
	s_cmp_ge_u32 s11, s95
	s_cselect_b32 s13, s33, s13
	s_cselect_b32 s11, s42, s11
	s_add_i32 s33, s13, 1
	s_cmp_ge_u32 s11, s95
	s_cselect_b32 s11, s33, s13
	v_readlane_b32 s64, v164, 9
	s_xor_b32 s11, s11, s12
	v_readlane_b32 s65, v164, 10
	s_andn2_b64 vcc, exec, s[64:65]
	s_sub_i32 s91, s11, s12
	s_cbranch_vccnz .LBB14_14
; %bb.13:                               ;   in Loop: Header=BB14_12 Depth=1
	v_readlane_b32 s11, v164, 0
	s_mul_i32 s11, s8, s11
	s_add_i32 s12, s91, s11
	s_ashr_i32 s13, s12, 31
	s_lshl_b64 s[12:13], s[12:13], 2
	s_add_u32 s12, s26, s12
	s_addc_u32 s13, s27, s13
	global_load_dword v2, v41, s[12:13]
	s_waitcnt vmcnt(0)
	v_readfirstlane_b32 s11, v2
	s_ashr_i32 s12, s11, 31
	s_lshr_b32 s12, s12, 26
	s_add_i32 s11, s11, s12
	s_ashr_i32 s11, s11, 6
	s_min_i32 s66, s66, s11
.LBB14_14:                              ;   in Loop: Header=BB14_12 Depth=1
	s_mul_i32 s11, s9, s3
	s_lshl_b32 s65, s10, 2
	s_mul_i32 s10, s8, s47
	s_add_i32 s12, s65, s11
	s_ashr_i32 s11, s10, 31
	s_add_u32 s10, s16, s10
	s_mul_i32 s13, s12, s46
	s_addc_u32 s11, s17, s11
	s_ashr_i32 s33, s13, 31
	s_add_u32 s80, s10, s13
	s_addc_u32 s81, s11, s33
	s_ashr_i32 s13, s8, 31
	s_mul_hi_u32 s10, s40, s8
	s_mul_i32 s11, s40, s13
	s_add_i32 s10, s10, s11
	s_mul_i32 s11, s41, s8
	v_readlane_b32 s74, v164, 3
	s_add_i32 s67, s10, s11
	s_mul_i32 s33, s40, s8
	v_readlane_b32 s75, v164, 4
	s_add_u32 s10, s18, s33
	s_mul_i32 s90, s9, s75
	s_addc_u32 s11, s19, s67
	s_ashr_i32 s53, s90, 31
	s_add_u32 s59, s10, s90
	s_addc_u32 s56, s11, s53
	s_abs_i32 s10, s8
	v_readlane_b32 s11, v164, 22
	s_mul_hi_u32 s11, s10, s11
	s_mul_i32 s11, s11, s98
	s_sub_i32 s10, s10, s11
	s_sub_i32 s11, s10, s98
	s_cmp_ge_u32 s10, s98
	s_cselect_b32 s10, s11, s10
	s_sub_i32 s11, s10, s98
	s_cmp_ge_u32 s10, s98
	s_cselect_b32 s10, s11, s10
	s_xor_b32 s10, s10, s13
	s_sub_i32 s10, s10, s13
	s_ashr_i32 s11, s10, 31
	s_mul_i32 s11, s50, s11
	s_mul_hi_u32 s42, s50, s10
	s_add_i32 s11, s42, s11
	s_mul_i32 s42, s51, s10
	s_add_i32 s83, s11, s42
	s_mul_i32 s82, s50, s10
	s_mul_i32 s10, s36, s37
	s_add_u32 s78, s22, s82
	s_mul_i32 s10, s10, s8
	s_addc_u32 s79, s23, s83
	s_add_i32 s10, s12, s10
	s_mul_i32 s60, s10, 48
	s_lshl_b64 s[10:11], s[60:61], 3
	s_add_u32 s74, s28, s10
	s_addc_u32 s75, s29, s11
	s_mul_hi_u32 s10, s48, s8
	s_mul_i32 s11, s48, s13
	s_add_i32 s10, s10, s11
	s_mul_i32 s11, s49, s8
	s_add_i32 s60, s10, s11
	s_mul_i32 s64, s48, s8
	s_add_u32 s8, s20, s64
	s_mul_i32 s10, s9, s43
	s_addc_u32 s13, s21, s60
	s_ashr_i32 s11, s10, 31
	s_add_u32 s99, s8, s10
	s_addc_u32 s42, s13, s11
	s_ashr_i32 s13, s12, 31
	s_lshl_b64 s[8:9], s[12:13], 2
	s_add_u32 s12, s24, s8
	s_addc_u32 s13, s25, s9
	v_readlane_b32 s8, v164, 7
	v_readlane_b32 s9, v164, 8
	s_and_b64 s[8:9], s[8:9], exec
	s_cselect_b32 s77, 0, s13
	s_cselect_b32 s76, 0, s12
	s_cmp_lg_u32 s84, 0
	v_or_b32_e32 v20, s65, v135
	s_cbranch_scc0 .LBB14_32
; %bb.15:                               ;   in Loop: Header=BB14_12 Depth=1
	s_lshl_b32 s92, s91, 2
	v_add_u32_e32 v2, s92, v138
	v_cmp_le_i32_e64 s[8:9], s3, v20
	v_cmp_le_i32_e64 s[12:13], s36, v2
	v_cmp_gt_i32_e32 vcc, s3, v20
	s_or_b64 s[8:9], s[12:13], s[8:9]
	s_and_saveexec_b64 s[12:13], s[8:9]
	s_xor_b64 s[8:9], exec, s[12:13]
; %bb.16:                               ;   in Loop: Header=BB14_12 Depth=1
	v_add_u32_e32 v2, v133, v139
	ds_write_b32 v2, v41
                                        ; implicit-def: $vgpr2
; %bb.17:                               ;   in Loop: Header=BB14_12 Depth=1
	s_andn2_saveexec_b64 s[8:9], s[8:9]
	s_cbranch_execz .LBB14_19
; %bb.18:                               ;   in Loop: Header=BB14_12 Depth=1
	v_mad_u64_u32 v[2:3], s[12:13], v2, s55, v[80:81]
	v_ashrrev_i32_e32 v3, 31, v2
	v_lshl_add_u64 v[2:3], v[2:3], 3, s[80:81]
	global_load_dwordx2 v[2:3], v[2:3], off
	s_waitcnt vmcnt(0)
	v_cvt_pk_f16_f32 v2, v2, v3
	v_pk_mul_f16 v2, v2, v134
	v_add_u32_e32 v3, v133, v139
	ds_write_b32 v3, v2
.LBB14_19:                              ;   in Loop: Header=BB14_12 Depth=1
	s_or_b64 exec, exec, s[8:9]
	v_add_u32_e32 v2, s92, v114
	v_cmp_le_i32_e64 s[8:9], s36, v2
	s_xor_b64 s[12:13], vcc, -1
	s_or_b64 s[8:9], s[8:9], s[12:13]
	s_and_saveexec_b64 s[12:13], s[8:9]
	s_xor_b64 s[8:9], exec, s[12:13]
; %bb.20:                               ;   in Loop: Header=BB14_12 Depth=1
	v_add_u32_e32 v2, v133, v139
	ds_write_b32 v2, v41 offset:1664
                                        ; implicit-def: $vgpr2
; %bb.21:                               ;   in Loop: Header=BB14_12 Depth=1
	s_andn2_saveexec_b64 s[8:9], s[8:9]
	s_cbranch_execz .LBB14_23
; %bb.22:                               ;   in Loop: Header=BB14_12 Depth=1
	v_mad_u64_u32 v[2:3], s[12:13], v2, s55, v[80:81]
	v_ashrrev_i32_e32 v3, 31, v2
	v_lshl_add_u64 v[2:3], v[2:3], 3, s[80:81]
	global_load_dwordx2 v[2:3], v[2:3], off
	s_waitcnt vmcnt(0)
	v_cvt_pk_f16_f32 v2, v2, v3
	v_pk_mul_f16 v2, v2, v134
	v_add_u32_e32 v3, v133, v139
	ds_write_b32 v3, v2 offset:1664
.LBB14_23:                              ;   in Loop: Header=BB14_12 Depth=1
	s_or_b64 exec, exec, s[8:9]
	v_add_u32_e32 v2, s92, v33
	v_or_b32_e32 v3, s65, v112
	v_cmp_le_i32_e32 vcc, s36, v2
	v_cmp_le_i32_e64 s[8:9], s3, v3
	s_or_b64 s[8:9], vcc, s[8:9]
	s_and_saveexec_b64 s[12:13], s[8:9]
	s_xor_b64 s[8:9], exec, s[12:13]
; %bb.24:                               ;   in Loop: Header=BB14_12 Depth=1
	ds_write_b32 v111, v41 offset:128
                                        ; implicit-def: $vgpr2
; %bb.25:                               ;   in Loop: Header=BB14_12 Depth=1
	s_andn2_saveexec_b64 s[8:9], s[8:9]
	s_cbranch_execz .LBB14_27
; %bb.26:                               ;   in Loop: Header=BB14_12 Depth=1
	v_mad_u64_u32 v[2:3], s[12:13], v2, s55, v[66:67]
	v_ashrrev_i32_e32 v3, 31, v2
	v_lshl_add_u64 v[2:3], v[2:3], 3, s[80:81]
	global_load_dwordx2 v[2:3], v[2:3], off
	s_waitcnt vmcnt(0)
	v_cvt_pk_f16_f32 v2, v2, v3
	v_pk_mul_f16 v2, v2, v134
	ds_write_b32 v111, v2 offset:128
.LBB14_27:                              ;   in Loop: Header=BB14_12 Depth=1
	s_or_b64 exec, exec, s[8:9]
	s_waitcnt lgkmcnt(0)
	s_barrier
	ds_read2_b64 v[10:13], v69 offset1:4
	ds_read2_b64 v[6:9], v69 offset0:8 offset1:12
	ds_read2_b64 v[2:5], v69 offset0:16 offset1:20
	s_add_i32 s85, s66, -1
	s_cmp_ge_i32 s84, s85
	s_waitcnt lgkmcnt(0)
	s_barrier
	s_cbranch_scc1 .LBB14_33
; %bb.28:                               ;   in Loop: Header=BB14_12 Depth=1
	v_add_u32_e32 v14, s92, v67
	v_mul_hi_u32 v15, s34, v14
	v_and_b32_e32 v16, 64, v145
	v_add_u32_e32 v15, v14, v15
	v_add_u32_e32 v16, 64, v16
	v_xor_b32_e32 v17, 32, v145
	v_lshrrev_b32_e32 v15, s35, v15
	v_cmp_lt_i32_e32 vcc, v17, v16
	v_mul_lo_u32 v15, v15, s36
	v_readlane_b32 s8, v164, 23
	v_cndmask_b32_e32 v17, v145, v17, vcc
	v_sub_u32_e32 v14, v14, v15
	v_readlane_b32 s9, v164, 24
	v_lshlrev_b32_e32 v18, 2, v17
	v_xor_b32_e32 v17, 16, v145
	v_mad_i64_i32 v[14:15], s[8:9], v14, s8, 0
	v_cmp_lt_i32_e32 vcc, v17, v16
	v_lshl_add_u64 v[14:15], v[14:15], 1, s[78:79]
	v_lshlrev_b32_e32 v40, 1, v34
	v_cndmask_b32_e32 v16, v145, v17, vcc
	v_lshl_add_u64 v[14:15], v[14:15], 0, v[40:41]
	v_lshlrev_b32_e32 v90, 2, v16
	s_lshl_b32 s8, s84, 6
	v_mov_b32_e32 v19, 0
	v_mov_b32_e32 v92, 0xfeffffff
	v_mov_b32_e32 v91, 0
	v_mov_b32_e32 v23, 0
	v_mov_b32_e32 v25, 0
	v_mov_b32_e32 v24, 0
	v_mov_b32_e32 v27, 0
	v_mov_b32_e32 v26, 0
	v_mov_b32_e32 v29, 0
	v_mov_b32_e32 v28, 0
	v_mov_b32_e32 v22, 0
	v_mov_b32_e32 v21, 0
	v_mov_b32_e32 v17, 0
	v_mov_b32_e32 v16, 0
	s_ashr_i32 s9, s8, 31
	s_and_saveexec_b64 s[12:13], s[4:5]
	s_cbranch_execz .LBB14_30
.LBB14_29:                              ;   in Loop: Header=BB14_12 Depth=1
	v_lshl_add_u64 v[94:95], s[8:9], 1, v[14:15]
	global_load_dword v40, v[94:95], off
	s_waitcnt vmcnt(0)
	ds_write_b32 v71, v40 offset:13312
.LBB14_30:                              ;   Parent Loop BB14_12 Depth=1
                                        ; =>  This Inner Loop Header: Depth=2
	s_or_b64 exec, exec, s[12:13]
	s_mul_hi_i32 s13, s8, s38
	s_mul_i32 s12, s8, s38
	s_lshl_b64 s[12:13], s[12:13], 2
	s_add_u32 s12, s59, s12
	s_addc_u32 s13, s56, s13
	v_lshl_add_u64 v[96:97], v[44:45], 2, s[12:13]
	v_lshlrev_b32_e32 v148, 2, v38
	v_mov_b32_e32 v149, v41
	v_lshl_add_u64 v[94:95], v[42:43], 2, s[12:13]
	v_lshlrev_b32_e32 v40, 2, v36
	v_lshl_add_u64 v[98:99], v[96:97], 0, v[148:149]
	v_lshl_add_u64 v[96:97], v[46:47], 2, s[12:13]
	;; [unrolled: 1-line block ×4, first 2 shown]
	global_load_dwordx4 v[94:97], v[94:95], off offset:128
	s_nop 0
	global_load_dwordx4 v[98:101], v[98:99], off
	s_nop 0
	global_load_dwordx4 v[102:105], v[102:103], off
	v_add_u32_e32 v81, 0x3400, v79
	s_mul_hi_i32 s13, s8, s14
	s_mul_i32 s12, s8, s14
	s_lshl_b64 s[12:13], s[12:13], 2
	s_add_u32 s12, s99, s12
	s_addc_u32 s13, s42, s13
	s_add_i32 s84, s84, 1
	s_add_i32 s8, s8, 64
	s_cmp_lt_i32 s84, s85
	s_waitcnt vmcnt(2)
	ds_write_b128 v73, v[94:97]
	s_waitcnt vmcnt(1)
	ds_write_b128 v75, v[98:101]
	;; [unrolled: 2-line block ×3, first 2 shown]
	s_waitcnt lgkmcnt(0)
	s_barrier
	ds_read2_b64 v[94:97], v77 offset1:4
	ds_read2_b64 v[98:101], v77 offset0:8 offset1:12
	s_waitcnt lgkmcnt(1)
	v_mfma_f32_16x16x16_f16 v[102:105], v[94:95], v[10:11], 0
	v_mfma_f32_16x16x16_f16 v[94:97], v[96:97], v[12:13], v[102:105]
	s_nop 6
	ds_read2_b64 v[102:105], v77 offset0:16 offset1:20
	s_waitcnt lgkmcnt(1)
	v_mfma_f32_16x16x16_f16 v[94:97], v[98:99], v[6:7], v[94:97]
	s_waitcnt lgkmcnt(0)
	s_barrier
	v_mfma_f32_16x16x16_f16 v[94:97], v[100:101], v[8:9], v[94:97]
	ds_read2_b32 v[98:99], v81 offset1:1
	v_lshl_add_u64 v[100:101], v[48:49], 2, s[12:13]
	s_waitcnt lgkmcnt(0)
	v_cvt_f32_f16_e32 v81, v98
	v_mfma_f32_16x16x16_f16 v[94:97], v[102:103], v[2:3], v[94:97]
	v_cvt_f32_f16_sdwa v93, v98 dst_sel:DWORD dst_unused:UNUSED_PAD src0_sel:WORD_1
	v_cvt_f32_f16_e32 v98, v99
	v_cvt_f32_f16_sdwa v99, v99 dst_sel:DWORD dst_unused:UNUSED_PAD src0_sel:WORD_1
	v_mfma_f32_16x16x16_f16 v[94:97], v[104:105], v[4:5], v[94:97]
	s_nop 7
	v_add_f32_e32 v147, v94, v81
	v_add_f32_e32 v93, v95, v93
	;; [unrolled: 1-line block ×8, first 2 shown]
	v_max3_f32 v81, v92, v81, v94
	v_max3_f32 v81, v81, v95, v96
	ds_bpermute_b32 v102, v18, v81
	v_lshl_add_u64 v[94:95], v[50:51], 2, s[12:13]
	v_lshl_add_u64 v[96:97], v[52:53], 2, s[12:13]
	;; [unrolled: 1-line block ×4, first 2 shown]
	s_waitcnt lgkmcnt(0)
	v_max_f32_e32 v40, v102, v102
	v_lshl_add_u64 v[102:103], v[96:97], 0, v[148:149]
	global_load_dwordx4 v[94:97], v[98:99], off offset:128
	s_nop 0
	global_load_dwordx4 v[98:101], v[100:101], off
	s_nop 0
	global_load_dwordx4 v[102:105], v[102:103], off
	v_max_f32_e32 v40, v81, v40
	ds_bpermute_b32 v81, v90, v40
	s_waitcnt vmcnt(2)
	ds_write_b128 v73, v[94:97]
	s_waitcnt vmcnt(1)
	ds_write_b128 v75, v[98:101]
	;; [unrolled: 2-line block ×3, first 2 shown]
	s_waitcnt lgkmcnt(3)
	v_max_f32_e32 v81, v81, v81
	v_max_f32_e32 v81, v40, v81
	v_sub_f32_e32 v40, v147, v81
	v_sub_f32_e32 v93, v93, v81
	v_mul_f32_e32 v149, 0x3fb8aa3b, v40
	v_sub_f32_e32 v147, v150, v81
	v_mul_f32_e32 v150, 0x3fb8aa3b, v93
	v_fma_f32 v154, v40, s45, -v149
	v_rndne_f32_e32 v155, v149
	v_sub_f32_e32 v148, v151, v81
	v_mul_f32_e32 v151, 0x3fb8aa3b, v147
	v_fma_f32 v156, v93, s45, -v150
	v_rndne_f32_e32 v157, v150
	v_fmac_f32_e32 v154, 0x32a5705f, v40
	v_sub_f32_e32 v149, v149, v155
	v_sub_f32_e32 v92, v92, v81
	v_mul_f32_e32 v152, 0x3fb8aa3b, v148
	v_fma_f32 v158, v147, s45, -v151
	v_rndne_f32_e32 v159, v151
	v_fmac_f32_e32 v156, 0x32a5705f, v93
	v_sub_f32_e32 v150, v150, v157
	v_add_f32_e32 v149, v149, v154
	v_mul_f32_e32 v153, 0x3fb8aa3b, v92
	v_fma_f32 v160, v148, s45, -v152
	v_rndne_f32_e32 v161, v152
	v_cvt_i32_f32_e32 v155, v155
	v_fmac_f32_e32 v158, 0x32a5705f, v147
	v_sub_f32_e32 v151, v151, v159
	v_add_f32_e32 v150, v150, v156
	v_exp_f32_e32 v149, v149
	v_fma_f32 v162, v92, s45, -v153
	v_rndne_f32_e32 v163, v153
	v_cvt_i32_f32_e32 v157, v157
	v_fmac_f32_e32 v160, 0x32a5705f, v148
	v_sub_f32_e32 v152, v152, v161
	v_add_f32_e32 v151, v151, v158
	v_exp_f32_e32 v150, v150
	v_cvt_i32_f32_e32 v159, v159
	v_fmac_f32_e32 v162, 0x32a5705f, v92
	v_sub_f32_e32 v153, v153, v163
	v_add_f32_e32 v152, v152, v160
	v_exp_f32_e32 v151, v151
	v_cvt_i32_f32_e32 v161, v161
	v_add_f32_e32 v153, v153, v162
	v_exp_f32_e32 v152, v152
	v_cvt_i32_f32_e32 v163, v163
	v_exp_f32_e32 v153, v153
	v_ldexp_f32 v149, v149, v155
	v_cmp_ngt_f32_e32 vcc, s2, v40
	v_ldexp_f32 v150, v150, v157
	v_ldexp_f32 v151, v151, v159
	v_cndmask_b32_e32 v149, 0, v149, vcc
	v_cmp_ngt_f32_e32 vcc, s2, v93
	v_ldexp_f32 v152, v152, v161
	v_ldexp_f32 v153, v153, v163
	v_cndmask_b32_e32 v150, 0, v150, vcc
	v_cmp_ngt_f32_e32 vcc, s2, v147
	s_waitcnt lgkmcnt(0)
	s_barrier
	v_cndmask_b32_e32 v151, 0, v151, vcc
	v_cmp_ngt_f32_e32 vcc, s2, v148
	s_nop 1
	v_cndmask_b32_e32 v152, 0, v152, vcc
	v_cmp_ngt_f32_e32 vcc, s2, v92
	s_nop 1
	v_cndmask_b32_e32 v153, 0, v153, vcc
	v_cmp_nlt_f32_e32 vcc, s44, v40
	s_nop 1
	v_cndmask_b32_e32 v40, v146, v149, vcc
	v_cmp_nlt_f32_e32 vcc, s44, v92
	;; [unrolled: 3-line block ×3, first 2 shown]
	s_nop 1
	v_cndmask_b32_e32 v150, v146, v150, vcc
	v_cmp_le_f32_e32 vcc, s62, v92
	s_nop 1
	v_cndmask_b32_e32 v154, 0, v149, vcc
	v_cvt_f16_f32_e32 v92, v154
	v_cmp_nlt_f32_e32 vcc, s44, v147
	s_nop 1
	v_cndmask_b32_e32 v147, v146, v151, vcc
	v_cmp_nlt_f32_e32 vcc, s44, v148
	v_mul_u32_u24_e32 v148, 0x10001, v92
	v_pk_mul_f16 v93, v29, v148
	v_pk_mul_f16 v149, v28, v148
	ds_read_u16 v28, v107
	ds_read_u16 v98, v107 offset:32
	ds_read_u16 v99, v107 offset:64
	;; [unrolled: 1-line block ×4, first 2 shown]
	ds_read_u16 v29, v108
	ds_read_u16 v100, v108 offset:32
	ds_read_u16 v101, v108 offset:64
	;; [unrolled: 1-line block ×6, first 2 shown]
	s_waitcnt lgkmcnt(6)
	v_perm_b32 v29, v29, v28, s63
	ds_read_u16 v28, v106 offset:208
	ds_read_u16 v92, v106
	ds_read_u16 v104, v106 offset:32
	ds_read_u16 v105, v106 offset:240
	;; [unrolled: 1-line block ×6, first 2 shown]
	s_waitcnt lgkmcnt(6)
	v_perm_b32 v28, v28, v92, s63
	v_cvt_f32_f16_e32 v92, v93
	v_cvt_f32_f16_sdwa v93, v93 dst_sel:DWORD dst_unused:UNUSED_PAD src0_sel:WORD_1
	v_cvt_f32_f16_e32 v94, v149
	v_cvt_f32_f16_sdwa v95, v149 dst_sel:DWORD dst_unused:UNUSED_PAD src0_sel:WORD_1
	v_cndmask_b32_e32 v155, v146, v152, vcc
	v_cvt_pk_f16_f32 v153, v147, v155
	v_cvt_pk_f16_f32 v152, v40, v150
	v_pk_mul_f16 v27, v27, v148
	v_pk_mul_f16 v149, v26, v148
	v_mfma_f32_16x16x16_f16 v[94:97], v[28:29], v[152:153], v[92:95]
	v_cvt_f32_f16_e32 v26, v27
	v_cvt_f32_f16_sdwa v27, v27 dst_sel:DWORD dst_unused:UNUSED_PAD src0_sel:WORD_1
	v_cvt_f32_f16_e32 v28, v149
	v_perm_b32 v93, v100, v98, s63
	ds_read_u16 v98, v106 offset:272
	s_waitcnt lgkmcnt(5)
	v_perm_b32 v92, v105, v104, s63
	v_cvt_f32_f16_sdwa v29, v149 dst_sel:DWORD dst_unused:UNUSED_PAD src0_sel:WORD_1
	v_pk_mul_f16 v100, v25, v148
	v_pk_mul_f16 v104, v24, v148
	v_perm_b32 v25, v101, v99, s63
	s_waitcnt lgkmcnt(0)
	v_perm_b32 v24, v98, v159, s63
	v_mfma_f32_16x16x16_f16 v[26:29], v[92:93], v[152:153], v[26:29]
	ds_read_u16 v92, v106 offset:304
	ds_read_u16 v149, v106 offset:336
	v_cvt_f32_f16_e32 v98, v100
	v_cvt_f32_f16_sdwa v99, v100 dst_sel:DWORD dst_unused:UNUSED_PAD src0_sel:WORD_1
	v_cvt_f32_f16_e32 v100, v104
	v_cvt_f32_f16_sdwa v101, v104 dst_sel:DWORD dst_unused:UNUSED_PAD src0_sel:WORD_1
	ds_read_u16 v93, v107 offset:128
	v_pk_mul_f16 v19, v19, v148
	v_pk_mul_f16 v23, v23, v148
	v_mfma_f32_16x16x16_f16 v[98:101], v[24:25], v[152:153], v[98:101]
	v_perm_b32 v25, v103, v102, s63
	s_waitcnt lgkmcnt(2)
	v_perm_b32 v24, v92, v160, s63
	v_cvt_f32_f16_e32 v102, v19
	v_cvt_f32_f16_sdwa v103, v19 dst_sel:DWORD dst_unused:UNUSED_PAD src0_sel:WORD_1
	v_cvt_f32_f16_e32 v104, v23
	v_cvt_f32_f16_sdwa v105, v23 dst_sel:DWORD dst_unused:UNUSED_PAD src0_sel:WORD_1
	v_pk_mul_f16 v19, v22, v148
	v_pk_mul_f16 v21, v21, v148
	v_mfma_f32_16x16x16_f16 v[22:25], v[24:25], v[152:153], v[102:105]
	s_waitcnt lgkmcnt(0)
	v_perm_b32 v93, v156, v93, s63
	v_perm_b32 v92, v149, v161, s63
	v_cvt_f32_f16_e32 v102, v19
	v_cvt_f32_f16_sdwa v103, v19 dst_sel:DWORD dst_unused:UNUSED_PAD src0_sel:WORD_1
	v_cvt_f32_f16_e32 v104, v21
	v_cvt_f32_f16_sdwa v105, v21 dst_sel:DWORD dst_unused:UNUSED_PAD src0_sel:WORD_1
	v_add_f32_e32 v19, v40, v150
	v_pk_mul_f16 v21, v17, v148
	v_pk_mul_f16 v40, v16, v148
	v_perm_b32 v17, v157, v158, s63
	v_perm_b32 v16, v151, v162, s63
	v_cvt_f32_f16_e32 v148, v21
	v_cvt_f32_f16_sdwa v149, v21 dst_sel:DWORD dst_unused:UNUSED_PAD src0_sel:WORD_1
	v_cvt_f32_f16_e32 v150, v40
	v_cvt_f32_f16_sdwa v151, v40 dst_sel:DWORD dst_unused:UNUSED_PAD src0_sel:WORD_1
	v_mfma_f32_16x16x16_f16 v[102:105], v[92:93], v[152:153], v[102:105]
	v_add_f32_e32 v19, v147, v19
	v_add_f32_e32 v92, v155, v19
	v_fmac_f32_e32 v92, v91, v154
	v_mfma_f32_16x16x16_f16 v[148:151], v[16:17], v[152:153], v[148:151]
	v_cvt_pk_f16_f32 v19, v22, v23
	v_cvt_pk_f16_f32 v23, v24, v25
	;; [unrolled: 1-line block ×12, first 2 shown]
	s_barrier
	s_cbranch_scc0 .LBB14_34
; %bb.31:                               ;   in Loop: Header=BB14_30 Depth=2
	v_mov_b32_e32 v91, v92
	v_mov_b32_e32 v92, v81
	s_ashr_i32 s9, s8, 31
	s_and_saveexec_b64 s[12:13], s[4:5]
	s_cbranch_execnz .LBB14_29
	s_branch .LBB14_30
.LBB14_32:                              ;   in Loop: Header=BB14_12 Depth=1
	s_cbranch_execz .LBB14_11
	s_branch .LBB14_102
.LBB14_33:                              ;   in Loop: Header=BB14_12 Depth=1
	v_mov_b32_e32 v81, 0xfeffffff
	v_mov_b32_e32 v92, 0
	;; [unrolled: 1-line block ×14, first 2 shown]
.LBB14_34:                              ;   in Loop: Header=BB14_12 Depth=1
	s_lshl_b32 s8, s84, 6
	s_ashr_i32 s9, s8, 31
	s_and_saveexec_b64 s[12:13], s[4:5]
	s_cbranch_execz .LBB14_36
; %bb.35:                               ;   in Loop: Header=BB14_12 Depth=1
	v_or_b32_e32 v14, s92, v67
	v_mul_hi_u32 v15, s34, v14
	v_add_u32_e32 v15, v14, v15
	v_lshrrev_b32_e32 v15, s35, v15
	s_lshl_b64 s[84:85], s[8:9], 1
	v_mul_lo_u32 v15, v15, s36
	v_readlane_b32 s86, v164, 23
	s_add_u32 s84, s78, s84
	v_sub_u32_e32 v14, v14, v15
	v_readlane_b32 s87, v164, 24
	s_addc_u32 s85, s79, s85
	v_mad_i64_i32 v[14:15], s[86:87], v14, s86, 0
	v_lshl_add_u64 v[14:15], v[14:15], 1, s[84:85]
	v_lshlrev_b32_e32 v40, 1, v34
	v_lshl_add_u64 v[14:15], v[14:15], 0, v[40:41]
	global_load_dword v14, v[14:15], off
	s_waitcnt vmcnt(0)
	ds_write_b32 v71, v14 offset:13312
.LBB14_36:                              ;   in Loop: Header=BB14_12 Depth=1
	s_or_b64 exec, exec, s[12:13]
	s_mul_hi_i32 s13, s8, s38
	s_mul_i32 s12, s8, s38
	s_lshl_b64 s[12:13], s[12:13], 2
	s_add_u32 s12, s59, s12
	s_addc_u32 s13, s56, s13
	v_lshl_add_u64 v[14:15], v[42:43], 2, s[12:13]
	v_lshlrev_b32_e32 v40, 2, v36
	v_lshlrev_b32_e32 v148, 2, v38
	v_mov_b32_e32 v149, v41
	v_lshl_add_u64 v[94:95], v[46:47], 2, s[12:13]
	v_lshl_add_u64 v[14:15], v[14:15], 0, v[40:41]
	;; [unrolled: 1-line block ×5, first 2 shown]
	global_load_dwordx4 v[94:97], v[14:15], off offset:128
	global_load_dwordx4 v[98:101], v[90:91], off
	s_nop 0
	global_load_dwordx4 v[102:105], v[102:103], off
	v_and_b32_e32 v15, 64, v145
	v_xor_b32_e32 v18, 32, v145
	v_add_u32_e32 v15, 64, v15
	v_xor_b32_e32 v90, 16, v145
	v_cmp_lt_i32_e32 vcc, v18, v15
	v_add_u32_e32 v14, 0x3400, v79
	s_mul_hi_i32 s9, s8, s14
	v_cndmask_b32_e32 v18, v145, v18, vcc
	v_cmp_lt_i32_e32 vcc, v90, v15
	v_lshlrev_b32_e32 v91, 2, v18
	s_mul_i32 s8, s8, s14
	v_cndmask_b32_e32 v15, v145, v90, vcc
	v_lshlrev_b32_e32 v90, 2, v15
	s_lshl_b64 s[8:9], s[8:9], 2
	s_add_u32 s8, s99, s8
	s_addc_u32 s9, s42, s9
	s_cmp_lg_u64 s[76:77], 0
	s_waitcnt vmcnt(2)
	ds_write_b128 v73, v[94:97]
	s_waitcnt vmcnt(1)
	ds_write_b128 v75, v[98:101]
	;; [unrolled: 2-line block ×3, first 2 shown]
	s_waitcnt lgkmcnt(0)
	s_barrier
	ds_read2_b64 v[94:97], v77 offset1:4
	ds_read2_b64 v[98:101], v77 offset0:8 offset1:12
	s_waitcnt lgkmcnt(1)
	v_mfma_f32_16x16x16_f16 v[102:105], v[94:95], v[10:11], 0
	v_mfma_f32_16x16x16_f16 v[10:13], v[96:97], v[12:13], v[102:105]
	ds_read2_b64 v[94:97], v77 offset0:16 offset1:20
	s_waitcnt lgkmcnt(0)
	s_barrier
	v_mfma_f32_16x16x16_f16 v[10:13], v[98:99], v[6:7], v[10:13]
	ds_read2_b32 v[14:15], v14 offset1:1
	v_mfma_f32_16x16x16_f16 v[6:9], v[100:101], v[8:9], v[10:13]
	v_mfma_f32_16x16x16_f16 v[6:9], v[94:95], v[2:3], v[6:9]
	s_waitcnt lgkmcnt(0)
	s_nop 3
	v_cvt_f32_f16_e32 v12, v14
	v_cvt_f32_f16_sdwa v13, v14 dst_sel:DWORD dst_unused:UNUSED_PAD src0_sel:WORD_1
	v_cvt_f32_f16_e32 v14, v15
	v_mfma_f32_16x16x16_f16 v[2:5], v[96:97], v[4:5], v[6:9]
	v_cvt_f32_f16_sdwa v15, v15 dst_sel:DWORD dst_unused:UNUSED_PAD src0_sel:WORD_1
	v_lshl_add_u64 v[10:11], v[48:49], 2, s[8:9]
	s_nop 0
	v_lshl_add_u64 v[6:7], v[10:11], 0, v[40:41]
	s_nop 3
	v_add_f32_e32 v93, v2, v12
	v_add_f32_e32 v94, v3, v13
	;; [unrolled: 1-line block ×8, first 2 shown]
	v_max3_f32 v2, v81, v2, v3
	v_max3_f32 v12, v2, v4, v5
	ds_bpermute_b32 v13, v91, v12
	v_lshl_add_u64 v[2:3], v[50:51], 2, s[8:9]
	v_lshl_add_u64 v[4:5], v[52:53], 2, s[8:9]
	;; [unrolled: 1-line block ×4, first 2 shown]
	s_waitcnt lgkmcnt(0)
	v_max_f32_e32 v2, v13, v13
	v_max_f32_e32 v18, v12, v2
	global_load_dwordx4 v[2:5], v[6:7], off offset:128
	s_nop 0
	global_load_dwordx4 v[6:9], v[8:9], off
	s_nop 0
	global_load_dwordx4 v[10:13], v[10:11], off
	ds_bpermute_b32 v40, v90, v18
	s_cselect_b64 s[8:9], -1, 0
	s_and_b64 s[12:13], s[0:1], s[8:9]
	s_waitcnt vmcnt(2)
	ds_write_b128 v73, v[2:5]
	s_waitcnt vmcnt(1)
	ds_write_b128 v75, v[6:9]
	;; [unrolled: 2-line block ×3, first 2 shown]
	s_waitcnt lgkmcnt(3)
	v_max_f32_e32 v40, v40, v40
	v_max_f32_e32 v18, v18, v40
	v_sub_f32_e32 v40, v93, v18
	v_sub_f32_e32 v93, v94, v18
	v_mul_f32_e32 v94, 0x3fb8aa3b, v40
	v_sub_f32_e32 v14, v14, v18
	v_mul_f32_e32 v95, 0x3fb8aa3b, v93
	v_fma_f32 v99, v40, s45, -v94
	v_rndne_f32_e32 v100, v94
	v_sub_f32_e32 v15, v15, v18
	v_mul_f32_e32 v96, 0x3fb8aa3b, v14
	v_fma_f32 v101, v93, s45, -v95
	v_rndne_f32_e32 v102, v95
	v_fmac_f32_e32 v99, 0x32a5705f, v40
	v_sub_f32_e32 v94, v94, v100
	v_sub_f32_e32 v81, v81, v18
	v_mul_f32_e32 v97, 0x3fb8aa3b, v15
	v_fma_f32 v103, v14, s45, -v96
	v_rndne_f32_e32 v104, v96
	v_fmac_f32_e32 v101, 0x32a5705f, v93
	v_sub_f32_e32 v95, v95, v102
	v_add_f32_e32 v94, v94, v99
	v_mul_f32_e32 v98, 0x3fb8aa3b, v81
	v_fma_f32 v105, v15, s45, -v97
	v_rndne_f32_e32 v147, v97
	v_cvt_i32_f32_e32 v100, v100
	v_fmac_f32_e32 v103, 0x32a5705f, v14
	v_sub_f32_e32 v96, v96, v104
	v_add_f32_e32 v95, v95, v101
	v_exp_f32_e32 v94, v94
	v_fma_f32 v148, v81, s45, -v98
	v_rndne_f32_e32 v149, v98
	v_cvt_i32_f32_e32 v102, v102
	v_fmac_f32_e32 v105, 0x32a5705f, v15
	v_sub_f32_e32 v97, v97, v147
	v_add_f32_e32 v96, v96, v103
	v_exp_f32_e32 v95, v95
	v_cvt_i32_f32_e32 v104, v104
	v_fmac_f32_e32 v148, 0x32a5705f, v81
	v_sub_f32_e32 v98, v98, v149
	v_add_f32_e32 v97, v97, v105
	v_exp_f32_e32 v96, v96
	v_cvt_i32_f32_e32 v147, v147
	v_add_f32_e32 v98, v98, v148
	v_exp_f32_e32 v97, v97
	v_cvt_i32_f32_e32 v149, v149
	v_exp_f32_e32 v98, v98
	v_ldexp_f32 v94, v94, v100
	v_cmp_ngt_f32_e32 vcc, s2, v40
	v_ldexp_f32 v95, v95, v102
	v_ldexp_f32 v96, v96, v104
	v_cndmask_b32_e32 v94, 0, v94, vcc
	v_cmp_ngt_f32_e32 vcc, s2, v93
	v_ldexp_f32 v97, v97, v147
	v_ldexp_f32 v98, v98, v149
	v_cndmask_b32_e32 v95, 0, v95, vcc
	v_cmp_ngt_f32_e32 vcc, s2, v14
	s_waitcnt lgkmcnt(0)
	s_barrier
	v_cndmask_b32_e32 v96, 0, v96, vcc
	v_cmp_ngt_f32_e32 vcc, s2, v15
	s_nop 1
	v_cndmask_b32_e32 v97, 0, v97, vcc
	v_cmp_ngt_f32_e32 vcc, s2, v81
	s_nop 1
	v_cndmask_b32_e32 v98, 0, v98, vcc
	v_cmp_nlt_f32_e32 vcc, s44, v40
	s_nop 1
	v_cndmask_b32_e32 v40, v146, v94, vcc
	v_cmp_nlt_f32_e32 vcc, s44, v93
	s_nop 1
	v_cndmask_b32_e32 v93, v146, v95, vcc
	v_cmp_nlt_f32_e32 vcc, s44, v14
	v_add_f32_e32 v95, v40, v93
	s_nop 0
	v_cndmask_b32_e32 v14, v146, v96, vcc
	v_cmp_nlt_f32_e32 vcc, s44, v81
	v_add_f32_e32 v95, v14, v95
	s_nop 0
	v_cndmask_b32_e32 v94, v146, v98, vcc
	v_cmp_le_f32_e32 vcc, s62, v81
	s_nop 1
	v_cndmask_b32_e32 v81, 0, v94, vcc
	v_cvt_f16_f32_e32 v94, v81
	v_cmp_nlt_f32_e32 vcc, s44, v15
	s_nop 1
	v_cndmask_b32_e32 v15, v146, v97, vcc
	v_add_f32_e32 v95, v15, v95
	v_fmac_f32_e32 v95, v92, v81
	v_mul_u32_u24_e32 v81, 0x10001, v94
	v_pk_mul_f16 v96, v22, v81
	v_pk_mul_f16 v98, v17, v81
	ds_read_u16 v2, v107
	ds_read_u16 v12, v107 offset:32
	ds_read_u16 v17, v106 offset:272
	ds_read_u16 v22, v107 offset:64
	ds_read_u16 v99, v106 offset:304
	ds_read_u16 v100, v107 offset:96
	ds_read_u16 v101, v106 offset:336
	ds_read_u16 v102, v106 offset:368
	ds_read_u16 v3, v108
	ds_read_u16 v13, v108 offset:32
	ds_read_u16 v103, v108 offset:64
	;; [unrolled: 1-line block ×7, first 2 shown]
	v_pk_mul_f16 v29, v29, v81
	v_pk_mul_f16 v28, v28, v81
	;; [unrolled: 1-line block ×3, first 2 shown]
	s_waitcnt lgkmcnt(7)
	v_perm_b32 v7, v3, v2, s63
	ds_read_u16 v2, v106 offset:208
	ds_read_u16 v3, v106
	ds_read_u16 v21, v106 offset:32
	ds_read_u16 v150, v106 offset:240
	;; [unrolled: 1-line block ×6, first 2 shown]
	s_waitcnt lgkmcnt(6)
	v_perm_b32 v6, v2, v3, s63
	v_cvt_f32_f16_e32 v2, v29
	v_cvt_f32_f16_sdwa v3, v29 dst_sel:DWORD dst_unused:UNUSED_PAD src0_sel:WORD_1
	v_cvt_f32_f16_e32 v4, v28
	v_cvt_f32_f16_sdwa v5, v28 dst_sel:DWORD dst_unused:UNUSED_PAD src0_sel:WORD_1
	v_pk_mul_f16 v92, v25, v81
	v_pk_mul_f16 v94, v24, v81
	v_cvt_pk_f16_f32 v25, v14, v15
	v_cvt_pk_f16_f32 v24, v40, v93
	v_pk_mul_f16 v27, v27, v81
	v_pk_mul_f16 v26, v26, v81
	v_mfma_f32_16x16x16_f16 v[8:11], v[6:7], v[24:25], v[2:5]
	v_perm_b32 v7, v13, v12, s63
	s_waitcnt lgkmcnt(4)
	v_perm_b32 v6, v150, v21, s63
	v_pk_mul_f16 v19, v19, v81
	v_cvt_f32_f16_e32 v2, v27
	v_cvt_f32_f16_sdwa v3, v27 dst_sel:DWORD dst_unused:UNUSED_PAD src0_sel:WORD_1
	s_nop 1
	v_cvt_f16_f32_e32 v10, v10
	v_cvt_f16_f32_e32 v11, v11
	v_cvt_f32_f16_e32 v4, v26
	v_cvt_f32_f16_sdwa v5, v26 dst_sel:DWORD dst_unused:UNUSED_PAD src0_sel:WORD_1
	v_pk_mul_f16 v23, v23, v81
	v_perm_b32 v21, v11, v10, s63
	v_mfma_f32_16x16x16_f16 v[10:13], v[6:7], v[24:25], v[2:5]
	v_perm_b32 v7, v103, v22, s63
	s_waitcnt lgkmcnt(3)
	v_perm_b32 v6, v17, v151, s63
	v_cvt_f32_f16_e32 v2, v92
	v_cvt_f32_f16_sdwa v3, v92 dst_sel:DWORD dst_unused:UNUSED_PAD src0_sel:WORD_1
	s_nop 2
	v_cvt_f16_f32_e32 v12, v12
	v_cvt_f16_f32_e32 v13, v13
	v_cvt_f32_f16_e32 v4, v94
	v_cvt_f32_f16_sdwa v5, v94 dst_sel:DWORD dst_unused:UNUSED_PAD src0_sel:WORD_1
	v_pk_mul_f16 v28, v16, v81
	v_perm_b32 v22, v13, v12, s63
	v_mfma_f32_16x16x16_f16 v[12:15], v[6:7], v[24:25], v[2:5]
	v_perm_b32 v7, v104, v100, s63
	s_waitcnt lgkmcnt(2)
	v_perm_b32 v6, v99, v152, s63
	v_cvt_f32_f16_e32 v2, v19
	v_cvt_f32_f16_sdwa v3, v19 dst_sel:DWORD dst_unused:UNUSED_PAD src0_sel:WORD_1
	s_nop 2
	v_cvt_f16_f32_e32 v14, v14
	v_cvt_f16_f32_e32 v15, v15
	v_cvt_f32_f16_e32 v4, v23
	v_cvt_f32_f16_sdwa v5, v23 dst_sel:DWORD dst_unused:UNUSED_PAD src0_sel:WORD_1
	v_perm_b32 v27, v148, v149, s63
	v_perm_b32 v23, v15, v14, s63
	v_mfma_f32_16x16x16_f16 v[14:17], v[6:7], v[24:25], v[2:5]
	v_perm_b32 v7, v147, v105, s63
	s_waitcnt lgkmcnt(1)
	v_perm_b32 v6, v101, v153, s63
	v_cvt_f32_f16_e32 v2, v96
	v_cvt_f32_f16_sdwa v3, v96 dst_sel:DWORD dst_unused:UNUSED_PAD src0_sel:WORD_1
	v_cvt_f32_f16_e32 v4, v97
	v_cvt_f32_f16_sdwa v5, v97 dst_sel:DWORD dst_unused:UNUSED_PAD src0_sel:WORD_1
	s_nop 0
	v_cvt_f16_f32_e32 v16, v16
	v_cvt_f16_f32_e32 v17, v17
	v_mfma_f32_16x16x16_f16 v[2:5], v[6:7], v[24:25], v[2:5]
	s_waitcnt lgkmcnt(0)
	v_perm_b32 v26, v102, v154, s63
	v_perm_b32 v16, v17, v16, s63
	v_cvt_f32_f16_e32 v6, v28
	v_cvt_f32_f16_sdwa v7, v28 dst_sel:DWORD dst_unused:UNUSED_PAD src0_sel:WORD_1
	s_nop 2
	v_cvt_f16_f32_e32 v17, v4
	v_cvt_f16_f32_e32 v19, v5
	v_cvt_f32_f16_e32 v4, v98
	v_cvt_f32_f16_sdwa v5, v98 dst_sel:DWORD dst_unused:UNUSED_PAD src0_sel:WORD_1
	v_cvt_f16_f32_e32 v29, v8
	v_perm_b32 v17, v19, v17, s63
	ds_bpermute_b32 v19, v91, v95
	v_mfma_f32_16x16x16_f16 v[4:7], v[26:27], v[24:25], v[4:7]
	v_cvt_f16_f32_e32 v40, v9
	v_cvt_f16_f32_e32 v81, v10
	;; [unrolled: 1-line block ×3, first 2 shown]
	s_waitcnt lgkmcnt(0)
	v_add_f32_e32 v19, v95, v19
	ds_bpermute_b32 v24, v90, v19
	v_cvt_f16_f32_e32 v93, v12
	v_cvt_f16_f32_e32 v94, v13
	;; [unrolled: 1-line block ×10, first 2 shown]
	s_waitcnt lgkmcnt(0)
	v_add_f32_e32 v19, v19, v24
	v_perm_b32 v24, v94, v93, s63
	v_perm_b32 v6, v7, v6, s63
	;; [unrolled: 1-line block ×7, first 2 shown]
	s_barrier
	s_and_saveexec_b64 s[8:9], s[12:13]
	s_cbranch_execz .LBB14_38
; %bb.37:                               ;   in Loop: Header=BB14_12 Depth=1
	v_lshlrev_b32_e32 v7, 2, v56
	global_load_dword v7, v7, s[76:77]
	v_cvt_pk_f16_f32 v24, v8, v9
	v_max_f32_e32 v8, v18, v18
	v_cvt_pk_f16_f32 v10, v10, v11
	v_cvt_pk_f16_f32 v11, v12, v13
	;; [unrolled: 1-line block ×5, first 2 shown]
	s_waitcnt vmcnt(0)
	v_max_f32_e32 v9, v7, v7
	v_max_f32_e32 v8, v8, v9
	v_sub_f32_e32 v9, v18, v8
	v_sub_f32_e32 v7, v7, v8
	v_mul_f32_e32 v13, 0x3fb8aa3b, v9
	v_mul_f32_e32 v14, 0x3fb8aa3b, v7
	v_fma_f32 v15, v9, s45, -v13
	v_rndne_f32_e32 v18, v13
	v_fma_f32 v25, v7, s45, -v14
	v_rndne_f32_e32 v26, v14
	v_fmac_f32_e32 v15, 0x32a5705f, v9
	v_sub_f32_e32 v13, v13, v18
	v_fmac_f32_e32 v25, 0x32a5705f, v7
	v_sub_f32_e32 v14, v14, v26
	v_add_f32_e32 v13, v13, v15
	v_cvt_i32_f32_e32 v18, v18
	v_add_f32_e32 v14, v14, v25
	v_exp_f32_e32 v13, v13
	v_cvt_i32_f32_e32 v26, v26
	v_exp_f32_e32 v14, v14
	v_cmp_ngt_f32_e32 vcc, s2, v9
	v_ldexp_f32 v4, v13, v18
	v_ldexp_f32 v5, v14, v26
	v_cndmask_b32_e32 v4, 0, v4, vcc
	v_cmp_ngt_f32_e32 vcc, s2, v7
	s_nop 1
	v_cndmask_b32_e32 v5, 0, v5, vcc
	v_cmp_nlt_f32_e32 vcc, s44, v9
	s_nop 1
	v_cndmask_b32_e32 v4, v146, v4, vcc
	v_cmp_le_f32_e32 vcc, s62, v9
	s_nop 1
	v_cndmask_b32_e32 v4, 0, v4, vcc
	v_cvt_f16_f32_e32 v13, v4
	v_cmp_nlt_f32_e32 vcc, s44, v7
	s_nop 1
	v_cndmask_b32_e32 v9, v146, v5, vcc
	v_fmac_f32_e32 v9, v19, v4
	v_mul_u32_u24_e32 v4, 0x10001, v13
	v_pk_mul_f16 v26, v24, v4
	v_pk_mul_f16 v21, v21, v4
	;; [unrolled: 1-line block ×12, first 2 shown]
	v_mov_b64_e32 v[18:19], v[8:9]
.LBB14_38:                              ;   in Loop: Header=BB14_12 Depth=1
	s_or_b64 exec, exec, s[8:9]
	s_and_saveexec_b64 s[8:9], s[6:7]
; %bb.39:                               ;   in Loop: Header=BB14_12 Depth=1
	v_add_u32_e32 v2, 0, v113
	ds_write2_b32 v2, v18, v19 offset0:48 offset1:49
; %bb.40:                               ;   in Loop: Header=BB14_12 Depth=1
	s_or_b64 exec, exec, s[8:9]
	s_waitcnt lgkmcnt(0)
	s_barrier
	s_mov_b64 s[8:9], exec
	v_readlane_b32 s12, v164, 11
	v_readlane_b32 s13, v164, 12
	s_and_b64 s[12:13], s[8:9], s[12:13]
	s_xor_b64 s[8:9], s[12:13], s[8:9]
	s_mov_b64 exec, s[12:13]
	s_cbranch_execz .LBB14_42
; %bb.41:                               ;   in Loop: Header=BB14_12 Depth=1
	s_barrier
                                        ; implicit-def: $vgpr91
                                        ; implicit-def: $vgpr90
.LBB14_42:                              ;   in Loop: Header=BB14_12 Depth=1
	s_andn2_saveexec_b64 s[8:9], s[8:9]
	s_cbranch_execz .LBB14_46
; %bb.43:                               ;   in Loop: Header=BB14_12 Depth=1
	v_add_u32_e32 v3, 0, v113
	ds_read_b64 v[4:5], v3 offset:192
	s_waitcnt lgkmcnt(0)
	s_barrier
	ds_bpermute_b32 v2, v91, v4
	v_max_f32_e32 v8, v4, v4
	s_waitcnt lgkmcnt(0)
	v_max_f32_e32 v2, v2, v2
	v_max_f32_e32 v2, v8, v2
	ds_bpermute_b32 v8, v90, v2
	s_waitcnt lgkmcnt(0)
	v_max_f32_e32 v8, v8, v8
	v_max_f32_e32 v2, v2, v8
	v_sub_f32_e32 v4, v4, v2
	v_mul_f32_e32 v8, 0x3fb8aa3b, v4
	v_fma_f32 v9, v4, s45, -v8
	v_rndne_f32_e32 v10, v8
	v_fmac_f32_e32 v9, 0x32a5705f, v4
	v_sub_f32_e32 v8, v8, v10
	v_add_f32_e32 v8, v8, v9
	v_cvt_i32_f32_e32 v10, v10
	v_exp_f32_e32 v8, v8
	v_cmp_ngt_f32_e32 vcc, s2, v4
	v_ldexp_f32 v8, v8, v10
	s_nop 0
	v_cndmask_b32_e32 v8, 0, v8, vcc
	v_cmp_nlt_f32_e32 vcc, s44, v4
	s_nop 1
	v_cndmask_b32_e32 v4, v146, v8, vcc
	v_mul_f32_e32 v8, v5, v4
	ds_bpermute_b32 v8, v91, v8
	s_waitcnt lgkmcnt(0)
	v_fmac_f32_e32 v8, v5, v4
	ds_bpermute_b32 v5, v90, v8
	s_waitcnt lgkmcnt(0)
	v_add_f32_e32 v5, v8, v5
	ds_write_b64 v3, v[4:5] offset:192
	s_and_saveexec_b64 s[12:13], s[6:7]
	s_cbranch_execz .LBB14_45
; %bb.44:                               ;   in Loop: Header=BB14_12 Depth=1
	v_mov_b32_e32 v3, v5
	global_store_dwordx2 v[58:59], v[2:3], off
.LBB14_45:                              ;   in Loop: Header=BB14_12 Depth=1
	s_or_b64 exec, exec, s[12:13]
.LBB14_46:                              ;   in Loop: Header=BB14_12 Depth=1
	s_or_b64 exec, exec, s[8:9]
	ds_write2_b32 v109, v26, v21 offset1:1
	ds_write2_b32 v109, v25, v22 offset0:8 offset1:9
	ds_write2_b32 v109, v24, v23 offset0:16 offset1:17
	ds_write2_b32 v109, v7, v16 offset0:24 offset1:25
	ds_write2_b32 v109, v27, v17 offset0:32 offset1:33
	ds_write2_b32 v109, v28, v6 offset0:40 offset1:41
	s_waitcnt lgkmcnt(0)
	s_barrier
	s_and_saveexec_b64 s[84:85], s[0:1]
	s_cbranch_execz .LBB14_101
; %bb.47:                               ;   in Loop: Header=BB14_12 Depth=1
	v_add_u32_e32 v3, s92, v140
	v_or_b32_e32 v2, s65, v70
	v_cmp_gt_i32_e64 s[8:9], s36, v3
	v_cmp_gt_i32_e32 vcc, s3, v2
	s_and_b64 s[12:13], s[8:9], vcc
	v_mov_b32_e32 v2, 0x47
	s_and_saveexec_b64 s[8:9], s[12:13]
	s_cbranch_execz .LBB14_49
; %bb.48:                               ;   in Loop: Header=BB14_12 Depth=1
	v_mad_u64_u32 v[2:3], s[12:13], v3, s37, v[70:71]
	v_add_u32_e32 v10, v133, v115
	v_add_u32_e32 v3, 0, v115
	ds_read2st64_b32 v[4:5], v10 offset1:13
	v_add_u32_e32 v3, 0xc0, v3
	ds_read2st64_b32 v[6:7], v3 offset1:13
	ds_read2st64_b32 v[8:9], v3 offset0:26 offset1:39
	ds_read2st64_b32 v[10:11], v10 offset0:26 offset1:39
	v_mad_u64_u32 v[2:3], s[12:13], v2, 48, v[30:31]
	s_waitcnt lgkmcnt(3)
	v_cvt_f32_f16_e32 v12, v4
	v_cvt_f32_f16_sdwa v13, v4 dst_sel:DWORD dst_unused:UNUSED_PAD src0_sel:WORD_1
	v_cvt_f32_f16_e32 v4, v5
	v_cvt_f32_f16_sdwa v5, v5 dst_sel:DWORD dst_unused:UNUSED_PAD src0_sel:WORD_1
	s_waitcnt lgkmcnt(0)
	v_cvt_f32_f16_e32 v14, v10
	v_cvt_f32_f16_sdwa v15, v10 dst_sel:DWORD dst_unused:UNUSED_PAD src0_sel:WORD_1
	v_cvt_f32_f16_e32 v10, v11
	v_cvt_f32_f16_sdwa v11, v11 dst_sel:DWORD dst_unused:UNUSED_PAD src0_sel:WORD_1
	v_pk_fma_f32 v[12:13], v[6:7], v[12:13], 0 op_sel_hi:[0,1,0]
	v_mov_b32_e32 v6, v7
	v_pk_fma_f32 v[4:5], v[6:7], v[4:5], v[12:13] op_sel_hi:[0,1,1]
	v_ashrrev_i32_e32 v3, 31, v2
	v_pk_fma_f32 v[4:5], v[8:9], v[14:15], v[4:5] op_sel_hi:[0,1,1]
	v_mov_b32_e32 v6, v9
	v_lshl_add_u64 v[2:3], v[2:3], 3, s[74:75]
	v_pk_fma_f32 v[4:5], v[6:7], v[10:11], v[4:5] op_sel_hi:[0,1,1]
	global_store_dwordx2 v[2:3], v[4:5], off
	v_mov_b32_e32 v2, 0
.LBB14_49:                              ;   in Loop: Header=BB14_12 Depth=1
	s_or_b64 exec, exec, s[8:9]
	s_movk_i32 s8, 0x47
	v_cmp_gt_i32_e64 s[8:9], s8, v2
	s_mov_b64 s[12:13], -1
	s_and_saveexec_b64 s[86:87], s[8:9]
; %bb.50:                               ;   in Loop: Header=BB14_12 Depth=1
	v_cmp_eq_u32_e64 s[8:9], 0, v2
	s_orn2_b64 s[12:13], s[8:9], exec
; %bb.51:                               ;   in Loop: Header=BB14_12 Depth=1
	s_or_b64 exec, exec, s[86:87]
	s_and_saveexec_b64 s[86:87], s[12:13]
	s_cbranch_execz .LBB14_84
; %bb.52:                               ;   in Loop: Header=BB14_12 Depth=1
	v_add_u32_e32 v3, s92, v141
	v_or_b32_e32 v2, s65, v72
	v_cmp_gt_i32_e64 s[8:9], s36, v3
	v_cmp_gt_i32_e64 s[12:13], s3, v2
	s_and_b64 s[12:13], s[8:9], s[12:13]
	v_mov_b32_e32 v2, 0x47
	s_and_saveexec_b64 s[8:9], s[12:13]
	s_cbranch_execz .LBB14_54
; %bb.53:                               ;   in Loop: Header=BB14_12 Depth=1
	v_mad_u64_u32 v[2:3], s[12:13], v3, s37, v[72:73]
	v_add_u32_e32 v10, v133, v116
	v_add_u32_e32 v3, 0, v116
	ds_read2st64_b32 v[4:5], v10 offset1:13
	v_add_u32_e32 v3, 0xc0, v3
	ds_read2st64_b32 v[6:7], v3 offset1:13
	ds_read2st64_b32 v[8:9], v3 offset0:26 offset1:39
	ds_read2st64_b32 v[10:11], v10 offset0:26 offset1:39
	v_mad_u64_u32 v[2:3], s[12:13], v2, 48, v[30:31]
	s_waitcnt lgkmcnt(3)
	v_cvt_f32_f16_e32 v12, v4
	v_cvt_f32_f16_sdwa v13, v4 dst_sel:DWORD dst_unused:UNUSED_PAD src0_sel:WORD_1
	v_cvt_f32_f16_e32 v4, v5
	v_cvt_f32_f16_sdwa v5, v5 dst_sel:DWORD dst_unused:UNUSED_PAD src0_sel:WORD_1
	s_waitcnt lgkmcnt(0)
	v_cvt_f32_f16_e32 v14, v10
	v_cvt_f32_f16_sdwa v15, v10 dst_sel:DWORD dst_unused:UNUSED_PAD src0_sel:WORD_1
	v_cvt_f32_f16_e32 v10, v11
	v_cvt_f32_f16_sdwa v11, v11 dst_sel:DWORD dst_unused:UNUSED_PAD src0_sel:WORD_1
	v_pk_fma_f32 v[12:13], v[6:7], v[12:13], 0 op_sel_hi:[0,1,0]
	v_mov_b32_e32 v6, v7
	v_pk_fma_f32 v[4:5], v[6:7], v[4:5], v[12:13] op_sel_hi:[0,1,1]
	v_ashrrev_i32_e32 v3, 31, v2
	v_pk_fma_f32 v[4:5], v[8:9], v[14:15], v[4:5] op_sel_hi:[0,1,1]
	v_mov_b32_e32 v6, v9
	v_lshl_add_u64 v[2:3], v[2:3], 3, s[74:75]
	v_pk_fma_f32 v[4:5], v[6:7], v[10:11], v[4:5] op_sel_hi:[0,1,1]
	global_store_dwordx2 v[2:3], v[4:5], off
	v_mov_b32_e32 v2, 0
.LBB14_54:                              ;   in Loop: Header=BB14_12 Depth=1
	s_or_b64 exec, exec, s[8:9]
	s_movk_i32 s8, 0x47
	v_cmp_gt_i32_e64 s[8:9], s8, v2
	s_mov_b64 s[12:13], -1
	s_and_saveexec_b64 s[88:89], s[8:9]
; %bb.55:                               ;   in Loop: Header=BB14_12 Depth=1
	v_cmp_eq_u32_e64 s[8:9], 0, v2
	s_orn2_b64 s[12:13], s[8:9], exec
; %bb.56:                               ;   in Loop: Header=BB14_12 Depth=1
	s_or_b64 exec, exec, s[88:89]
	s_and_b64 exec, exec, s[12:13]
	s_cbranch_execz .LBB14_84
; %bb.57:                               ;   in Loop: Header=BB14_12 Depth=1
	v_add_u32_e32 v3, s92, v117
	v_cmp_gt_i32_e64 s[8:9], s36, v3
	s_and_b64 s[12:13], s[8:9], vcc
	v_mov_b32_e32 v2, 0x47
	s_and_saveexec_b64 s[8:9], s[12:13]
	s_cbranch_execz .LBB14_59
; %bb.58:                               ;   in Loop: Header=BB14_12 Depth=1
	v_mad_u64_u32 v[2:3], s[12:13], v3, s37, v[70:71]
	v_add_u32_e32 v10, v133, v118
	v_add_u32_e32 v3, 0, v118
	ds_read2st64_b32 v[4:5], v10 offset1:13
	v_add_u32_e32 v3, 0xc0, v3
	ds_read2st64_b32 v[6:7], v3 offset1:13
	ds_read2st64_b32 v[8:9], v3 offset0:26 offset1:39
	ds_read2st64_b32 v[10:11], v10 offset0:26 offset1:39
	v_mad_u64_u32 v[2:3], s[12:13], v2, 48, v[30:31]
	s_waitcnt lgkmcnt(3)
	v_cvt_f32_f16_e32 v12, v4
	v_cvt_f32_f16_sdwa v13, v4 dst_sel:DWORD dst_unused:UNUSED_PAD src0_sel:WORD_1
	v_cvt_f32_f16_e32 v4, v5
	v_cvt_f32_f16_sdwa v5, v5 dst_sel:DWORD dst_unused:UNUSED_PAD src0_sel:WORD_1
	s_waitcnt lgkmcnt(0)
	v_cvt_f32_f16_e32 v14, v10
	v_cvt_f32_f16_sdwa v15, v10 dst_sel:DWORD dst_unused:UNUSED_PAD src0_sel:WORD_1
	v_cvt_f32_f16_e32 v10, v11
	v_cvt_f32_f16_sdwa v11, v11 dst_sel:DWORD dst_unused:UNUSED_PAD src0_sel:WORD_1
	v_pk_fma_f32 v[12:13], v[6:7], v[12:13], 0 op_sel_hi:[0,1,0]
	v_mov_b32_e32 v6, v7
	v_pk_fma_f32 v[4:5], v[6:7], v[4:5], v[12:13] op_sel_hi:[0,1,1]
	v_ashrrev_i32_e32 v3, 31, v2
	v_pk_fma_f32 v[4:5], v[8:9], v[14:15], v[4:5] op_sel_hi:[0,1,1]
	v_mov_b32_e32 v6, v9
	v_lshl_add_u64 v[2:3], v[2:3], 3, s[74:75]
	v_pk_fma_f32 v[4:5], v[6:7], v[10:11], v[4:5] op_sel_hi:[0,1,1]
	global_store_dwordx2 v[2:3], v[4:5], off
	v_mov_b32_e32 v2, 0
.LBB14_59:                              ;   in Loop: Header=BB14_12 Depth=1
	s_or_b64 exec, exec, s[8:9]
	s_movk_i32 s8, 0x47
	v_cmp_gt_i32_e64 s[8:9], s8, v2
	s_mov_b64 s[12:13], -1
	s_and_saveexec_b64 s[88:89], s[8:9]
; %bb.60:                               ;   in Loop: Header=BB14_12 Depth=1
	v_cmp_eq_u32_e64 s[8:9], 0, v2
	s_orn2_b64 s[12:13], s[8:9], exec
; %bb.61:                               ;   in Loop: Header=BB14_12 Depth=1
	s_or_b64 exec, exec, s[88:89]
	s_and_b64 exec, exec, s[12:13]
	s_cbranch_execz .LBB14_84
; %bb.62:                               ;   in Loop: Header=BB14_12 Depth=1
	v_add_u32_e32 v3, s92, v142
	v_or_b32_e32 v2, s65, v74
	v_cmp_gt_i32_e64 s[8:9], s36, v3
	v_cmp_gt_i32_e64 s[12:13], s3, v2
	s_and_b64 s[12:13], s[8:9], s[12:13]
	v_mov_b32_e32 v2, 0x47
	s_and_saveexec_b64 s[8:9], s[12:13]
	s_cbranch_execz .LBB14_64
; %bb.63:                               ;   in Loop: Header=BB14_12 Depth=1
	v_mad_u64_u32 v[2:3], s[12:13], v3, s37, v[74:75]
	v_add_u32_e32 v10, v133, v119
	v_add_u32_e32 v3, 0, v119
	ds_read2st64_b32 v[4:5], v10 offset1:13
	v_add_u32_e32 v3, 0xc0, v3
	ds_read2st64_b32 v[6:7], v3 offset1:13
	ds_read2st64_b32 v[8:9], v3 offset0:26 offset1:39
	ds_read2st64_b32 v[10:11], v10 offset0:26 offset1:39
	v_mad_u64_u32 v[2:3], s[12:13], v2, 48, v[30:31]
	s_waitcnt lgkmcnt(3)
	v_cvt_f32_f16_e32 v12, v4
	v_cvt_f32_f16_sdwa v13, v4 dst_sel:DWORD dst_unused:UNUSED_PAD src0_sel:WORD_1
	v_cvt_f32_f16_e32 v4, v5
	v_cvt_f32_f16_sdwa v5, v5 dst_sel:DWORD dst_unused:UNUSED_PAD src0_sel:WORD_1
	s_waitcnt lgkmcnt(0)
	v_cvt_f32_f16_e32 v14, v10
	v_cvt_f32_f16_sdwa v15, v10 dst_sel:DWORD dst_unused:UNUSED_PAD src0_sel:WORD_1
	v_cvt_f32_f16_e32 v10, v11
	v_cvt_f32_f16_sdwa v11, v11 dst_sel:DWORD dst_unused:UNUSED_PAD src0_sel:WORD_1
	v_pk_fma_f32 v[12:13], v[6:7], v[12:13], 0 op_sel_hi:[0,1,0]
	v_mov_b32_e32 v6, v7
	v_pk_fma_f32 v[4:5], v[6:7], v[4:5], v[12:13] op_sel_hi:[0,1,1]
	v_ashrrev_i32_e32 v3, 31, v2
	v_pk_fma_f32 v[4:5], v[8:9], v[14:15], v[4:5] op_sel_hi:[0,1,1]
	v_mov_b32_e32 v6, v9
	v_lshl_add_u64 v[2:3], v[2:3], 3, s[74:75]
	v_pk_fma_f32 v[4:5], v[6:7], v[10:11], v[4:5] op_sel_hi:[0,1,1]
	global_store_dwordx2 v[2:3], v[4:5], off
	v_mov_b32_e32 v2, 0
.LBB14_64:                              ;   in Loop: Header=BB14_12 Depth=1
	s_or_b64 exec, exec, s[8:9]
	s_movk_i32 s8, 0x47
	v_cmp_gt_i32_e64 s[8:9], s8, v2
	s_mov_b64 s[12:13], -1
	s_and_saveexec_b64 s[88:89], s[8:9]
; %bb.65:                               ;   in Loop: Header=BB14_12 Depth=1
	v_cmp_eq_u32_e64 s[8:9], 0, v2
	s_orn2_b64 s[12:13], s[8:9], exec
; %bb.66:                               ;   in Loop: Header=BB14_12 Depth=1
	s_or_b64 exec, exec, s[88:89]
	s_and_b64 exec, exec, s[12:13]
	s_cbranch_execz .LBB14_84
; %bb.67:                               ;   in Loop: Header=BB14_12 Depth=1
	v_add_u32_e32 v3, s92, v120
	v_cmp_gt_i32_e64 s[8:9], s36, v3
	s_and_b64 s[12:13], s[8:9], vcc
	v_mov_b32_e32 v2, 0x47
	s_and_saveexec_b64 s[8:9], s[12:13]
	s_cbranch_execz .LBB14_69
; %bb.68:                               ;   in Loop: Header=BB14_12 Depth=1
	v_mad_u64_u32 v[2:3], s[12:13], v3, s37, v[70:71]
	v_add_u32_e32 v10, v133, v121
	v_add_u32_e32 v3, 0, v121
	ds_read2st64_b32 v[4:5], v10 offset1:13
	v_add_u32_e32 v3, 0xc0, v3
	ds_read2st64_b32 v[6:7], v3 offset1:13
	ds_read2st64_b32 v[8:9], v3 offset0:26 offset1:39
	ds_read2st64_b32 v[10:11], v10 offset0:26 offset1:39
	v_mad_u64_u32 v[2:3], s[12:13], v2, 48, v[30:31]
	s_waitcnt lgkmcnt(3)
	v_cvt_f32_f16_e32 v12, v4
	v_cvt_f32_f16_sdwa v13, v4 dst_sel:DWORD dst_unused:UNUSED_PAD src0_sel:WORD_1
	v_cvt_f32_f16_e32 v4, v5
	v_cvt_f32_f16_sdwa v5, v5 dst_sel:DWORD dst_unused:UNUSED_PAD src0_sel:WORD_1
	s_waitcnt lgkmcnt(0)
	v_cvt_f32_f16_e32 v14, v10
	v_cvt_f32_f16_sdwa v15, v10 dst_sel:DWORD dst_unused:UNUSED_PAD src0_sel:WORD_1
	v_cvt_f32_f16_e32 v10, v11
	v_cvt_f32_f16_sdwa v11, v11 dst_sel:DWORD dst_unused:UNUSED_PAD src0_sel:WORD_1
	v_pk_fma_f32 v[12:13], v[6:7], v[12:13], 0 op_sel_hi:[0,1,0]
	v_mov_b32_e32 v6, v7
	v_pk_fma_f32 v[4:5], v[6:7], v[4:5], v[12:13] op_sel_hi:[0,1,1]
	v_ashrrev_i32_e32 v3, 31, v2
	v_pk_fma_f32 v[4:5], v[8:9], v[14:15], v[4:5] op_sel_hi:[0,1,1]
	v_mov_b32_e32 v6, v9
	v_lshl_add_u64 v[2:3], v[2:3], 3, s[74:75]
	v_pk_fma_f32 v[4:5], v[6:7], v[10:11], v[4:5] op_sel_hi:[0,1,1]
	global_store_dwordx2 v[2:3], v[4:5], off
	v_mov_b32_e32 v2, 0
.LBB14_69:                              ;   in Loop: Header=BB14_12 Depth=1
	s_or_b64 exec, exec, s[8:9]
	s_movk_i32 s8, 0x47
	v_cmp_gt_i32_e64 s[8:9], s8, v2
	s_mov_b64 s[12:13], -1
	s_and_saveexec_b64 s[88:89], s[8:9]
; %bb.70:                               ;   in Loop: Header=BB14_12 Depth=1
	v_cmp_eq_u32_e64 s[8:9], 0, v2
	s_orn2_b64 s[12:13], s[8:9], exec
; %bb.71:                               ;   in Loop: Header=BB14_12 Depth=1
	s_or_b64 exec, exec, s[88:89]
	s_and_b64 exec, exec, s[12:13]
	s_cbranch_execz .LBB14_84
; %bb.72:                               ;   in Loop: Header=BB14_12 Depth=1
	v_add_u32_e32 v3, s92, v143
	v_or_b32_e32 v2, s65, v76
	v_cmp_gt_i32_e64 s[8:9], s36, v3
	v_cmp_gt_i32_e64 s[12:13], s3, v2
	s_and_b64 s[12:13], s[8:9], s[12:13]
	v_mov_b32_e32 v2, 0x47
	s_and_saveexec_b64 s[8:9], s[12:13]
	s_cbranch_execz .LBB14_74
; %bb.73:                               ;   in Loop: Header=BB14_12 Depth=1
	v_mad_u64_u32 v[2:3], s[12:13], v3, s37, v[76:77]
	v_add_u32_e32 v10, v133, v122
	v_add_u32_e32 v3, 0, v122
	ds_read2st64_b32 v[4:5], v10 offset1:13
	v_add_u32_e32 v3, 0xc0, v3
	ds_read2st64_b32 v[6:7], v3 offset1:13
	ds_read2st64_b32 v[8:9], v3 offset0:26 offset1:39
	ds_read2st64_b32 v[10:11], v10 offset0:26 offset1:39
	v_mad_u64_u32 v[2:3], s[12:13], v2, 48, v[30:31]
	s_waitcnt lgkmcnt(3)
	v_cvt_f32_f16_e32 v12, v4
	v_cvt_f32_f16_sdwa v13, v4 dst_sel:DWORD dst_unused:UNUSED_PAD src0_sel:WORD_1
	v_cvt_f32_f16_e32 v4, v5
	v_cvt_f32_f16_sdwa v5, v5 dst_sel:DWORD dst_unused:UNUSED_PAD src0_sel:WORD_1
	s_waitcnt lgkmcnt(0)
	v_cvt_f32_f16_e32 v14, v10
	v_cvt_f32_f16_sdwa v15, v10 dst_sel:DWORD dst_unused:UNUSED_PAD src0_sel:WORD_1
	v_cvt_f32_f16_e32 v10, v11
	v_cvt_f32_f16_sdwa v11, v11 dst_sel:DWORD dst_unused:UNUSED_PAD src0_sel:WORD_1
	v_pk_fma_f32 v[12:13], v[6:7], v[12:13], 0 op_sel_hi:[0,1,0]
	v_mov_b32_e32 v6, v7
	v_pk_fma_f32 v[4:5], v[6:7], v[4:5], v[12:13] op_sel_hi:[0,1,1]
	v_ashrrev_i32_e32 v3, 31, v2
	v_pk_fma_f32 v[4:5], v[8:9], v[14:15], v[4:5] op_sel_hi:[0,1,1]
	v_mov_b32_e32 v6, v9
	v_lshl_add_u64 v[2:3], v[2:3], 3, s[74:75]
	v_pk_fma_f32 v[4:5], v[6:7], v[10:11], v[4:5] op_sel_hi:[0,1,1]
	global_store_dwordx2 v[2:3], v[4:5], off
	v_mov_b32_e32 v2, 0
.LBB14_74:                              ;   in Loop: Header=BB14_12 Depth=1
	s_or_b64 exec, exec, s[8:9]
	s_movk_i32 s8, 0x47
	v_cmp_gt_i32_e64 s[8:9], s8, v2
	s_mov_b64 s[12:13], -1
	s_and_saveexec_b64 s[88:89], s[8:9]
; %bb.75:                               ;   in Loop: Header=BB14_12 Depth=1
	v_cmp_eq_u32_e64 s[8:9], 0, v2
	s_orn2_b64 s[12:13], s[8:9], exec
; %bb.76:                               ;   in Loop: Header=BB14_12 Depth=1
	s_or_b64 exec, exec, s[88:89]
	s_and_b64 exec, exec, s[12:13]
	s_cbranch_execz .LBB14_84
; %bb.77:                               ;   in Loop: Header=BB14_12 Depth=1
	v_add_u32_e32 v3, s92, v123
	v_cmp_gt_i32_e64 s[8:9], s36, v3
	s_and_b64 s[12:13], s[8:9], vcc
	v_mov_b32_e32 v2, 0x47
	s_and_saveexec_b64 s[8:9], s[12:13]
	s_cbranch_execz .LBB14_79
; %bb.78:                               ;   in Loop: Header=BB14_12 Depth=1
	v_mad_u64_u32 v[2:3], s[12:13], v3, s37, v[70:71]
	v_add_u32_e32 v10, v133, v124
	v_add_u32_e32 v3, 0, v124
	ds_read2st64_b32 v[4:5], v10 offset1:13
	v_add_u32_e32 v3, 0xc0, v3
	ds_read2st64_b32 v[6:7], v3 offset1:13
	ds_read2st64_b32 v[8:9], v3 offset0:26 offset1:39
	ds_read2st64_b32 v[10:11], v10 offset0:26 offset1:39
	v_mad_u64_u32 v[2:3], s[12:13], v2, 48, v[30:31]
	s_waitcnt lgkmcnt(3)
	v_cvt_f32_f16_e32 v12, v4
	v_cvt_f32_f16_sdwa v13, v4 dst_sel:DWORD dst_unused:UNUSED_PAD src0_sel:WORD_1
	v_cvt_f32_f16_e32 v4, v5
	v_cvt_f32_f16_sdwa v5, v5 dst_sel:DWORD dst_unused:UNUSED_PAD src0_sel:WORD_1
	s_waitcnt lgkmcnt(0)
	v_cvt_f32_f16_e32 v14, v10
	v_cvt_f32_f16_sdwa v15, v10 dst_sel:DWORD dst_unused:UNUSED_PAD src0_sel:WORD_1
	v_cvt_f32_f16_e32 v10, v11
	v_cvt_f32_f16_sdwa v11, v11 dst_sel:DWORD dst_unused:UNUSED_PAD src0_sel:WORD_1
	v_pk_fma_f32 v[12:13], v[6:7], v[12:13], 0 op_sel_hi:[0,1,0]
	v_mov_b32_e32 v6, v7
	v_pk_fma_f32 v[4:5], v[6:7], v[4:5], v[12:13] op_sel_hi:[0,1,1]
	v_ashrrev_i32_e32 v3, 31, v2
	v_pk_fma_f32 v[4:5], v[8:9], v[14:15], v[4:5] op_sel_hi:[0,1,1]
	v_mov_b32_e32 v6, v9
	v_lshl_add_u64 v[2:3], v[2:3], 3, s[74:75]
	v_pk_fma_f32 v[4:5], v[6:7], v[10:11], v[4:5] op_sel_hi:[0,1,1]
	global_store_dwordx2 v[2:3], v[4:5], off
	v_mov_b32_e32 v2, 0
.LBB14_79:                              ;   in Loop: Header=BB14_12 Depth=1
	s_or_b64 exec, exec, s[8:9]
	s_movk_i32 s8, 0x47
	v_cmp_gt_i32_e32 vcc, s8, v2
	s_mov_b64 s[8:9], -1
	s_and_saveexec_b64 s[12:13], vcc
; %bb.80:                               ;   in Loop: Header=BB14_12 Depth=1
	v_cmp_eq_u32_e32 vcc, 0, v2
	s_orn2_b64 s[8:9], vcc, exec
; %bb.81:                               ;   in Loop: Header=BB14_12 Depth=1
	s_or_b64 exec, exec, s[12:13]
	s_and_b64 exec, exec, s[8:9]
	s_cbranch_execz .LBB14_84
; %bb.82:                               ;   in Loop: Header=BB14_12 Depth=1
	v_add_u32_e32 v2, s92, v144
	v_or_b32_e32 v3, s65, v78
	v_cmp_gt_i32_e32 vcc, s36, v2
	v_cmp_gt_i32_e64 s[8:9], s3, v3
	s_and_b64 s[8:9], vcc, s[8:9]
	s_and_b64 exec, exec, s[8:9]
	s_cbranch_execz .LBB14_84
; %bb.83:                               ;   in Loop: Header=BB14_12 Depth=1
	v_mad_u64_u32 v[2:3], s[8:9], v2, s37, v[78:79]
	v_add_u32_e32 v10, v133, v125
	v_add_u32_e32 v3, 0, v125
	ds_read2st64_b32 v[4:5], v10 offset1:13
	v_add_u32_e32 v3, 0xc0, v3
	ds_read2st64_b32 v[6:7], v3 offset1:13
	ds_read2st64_b32 v[8:9], v3 offset0:26 offset1:39
	ds_read2st64_b32 v[10:11], v10 offset0:26 offset1:39
	v_mad_u64_u32 v[2:3], s[8:9], v2, 48, v[30:31]
	s_waitcnt lgkmcnt(3)
	v_cvt_f32_f16_e32 v12, v4
	v_cvt_f32_f16_sdwa v13, v4 dst_sel:DWORD dst_unused:UNUSED_PAD src0_sel:WORD_1
	v_cvt_f32_f16_e32 v4, v5
	v_cvt_f32_f16_sdwa v5, v5 dst_sel:DWORD dst_unused:UNUSED_PAD src0_sel:WORD_1
	s_waitcnt lgkmcnt(0)
	v_cvt_f32_f16_e32 v14, v10
	v_cvt_f32_f16_sdwa v15, v10 dst_sel:DWORD dst_unused:UNUSED_PAD src0_sel:WORD_1
	v_cvt_f32_f16_e32 v10, v11
	v_cvt_f32_f16_sdwa v11, v11 dst_sel:DWORD dst_unused:UNUSED_PAD src0_sel:WORD_1
	v_pk_fma_f32 v[12:13], v[6:7], v[12:13], 0 op_sel_hi:[0,1,0]
	v_mov_b32_e32 v6, v7
	v_pk_fma_f32 v[4:5], v[6:7], v[4:5], v[12:13] op_sel_hi:[0,1,1]
	v_ashrrev_i32_e32 v3, 31, v2
	v_pk_fma_f32 v[4:5], v[8:9], v[14:15], v[4:5] op_sel_hi:[0,1,1]
	v_mov_b32_e32 v6, v9
	v_lshl_add_u64 v[2:3], v[2:3], 3, s[74:75]
	v_pk_fma_f32 v[4:5], v[6:7], v[10:11], v[4:5] op_sel_hi:[0,1,1]
	global_store_dwordx2 v[2:3], v[4:5], off
.LBB14_84:                              ;   in Loop: Header=BB14_12 Depth=1
	s_or_b64 exec, exec, s[86:87]
	v_add_u32_e32 v3, s92, v137
	v_or_b32_e32 v2, s65, v68
	v_cmp_gt_i32_e64 s[8:9], s36, v3
	v_cmp_gt_i32_e32 vcc, s3, v2
	s_and_b64 s[12:13], s[8:9], vcc
	v_mov_b32_e32 v2, 0x47
	s_and_saveexec_b64 s[8:9], s[12:13]
	s_cbranch_execz .LBB14_86
; %bb.85:                               ;   in Loop: Header=BB14_12 Depth=1
	v_mad_u64_u32 v[2:3], s[12:13], v3, s37, v[68:69]
	v_mul_lo_u32 v12, v2, 48
	v_add_u32_e32 v2, v110, v126
	v_add_u32_e32 v8, 0x80, v2
	v_add_u32_e32 v4, 0, v126
	ds_read2st64_b32 v[2:3], v8 offset1:13
	v_add_u32_e32 v6, 0xc0, v4
	ds_read2st64_b32 v[4:5], v6 offset1:13
	ds_read2st64_b32 v[6:7], v6 offset0:26 offset1:39
	ds_read2st64_b32 v[8:9], v8 offset0:26 offset1:39
	v_ashrrev_i32_e32 v13, 31, v12
	v_or_b32_e32 v12, v12, v32
	s_waitcnt lgkmcnt(3)
	v_cvt_f32_f16_e32 v10, v2
	v_cvt_f32_f16_sdwa v11, v2 dst_sel:DWORD dst_unused:UNUSED_PAD src0_sel:WORD_1
	v_cvt_f32_f16_e32 v2, v3
	v_cvt_f32_f16_sdwa v3, v3 dst_sel:DWORD dst_unused:UNUSED_PAD src0_sel:WORD_1
	s_waitcnt lgkmcnt(0)
	v_cvt_f32_f16_e32 v14, v8
	v_cvt_f32_f16_sdwa v15, v8 dst_sel:DWORD dst_unused:UNUSED_PAD src0_sel:WORD_1
	v_cvt_f32_f16_e32 v8, v9
	v_cvt_f32_f16_sdwa v9, v9 dst_sel:DWORD dst_unused:UNUSED_PAD src0_sel:WORD_1
	v_pk_fma_f32 v[10:11], v[4:5], v[10:11], 0 op_sel_hi:[0,1,0]
	v_mov_b32_e32 v4, v5
	v_pk_fma_f32 v[2:3], v[4:5], v[2:3], v[10:11] op_sel_hi:[0,1,1]
	v_pk_fma_f32 v[2:3], v[6:7], v[14:15], v[2:3] op_sel_hi:[0,1,1]
	v_mov_b32_e32 v4, v7
	v_lshl_add_u64 v[12:13], v[12:13], 3, s[74:75]
	v_pk_fma_f32 v[2:3], v[4:5], v[8:9], v[2:3] op_sel_hi:[0,1,1]
	global_store_dwordx2 v[12:13], v[2:3], off offset:256
	v_mov_b32_e32 v2, 0
.LBB14_86:                              ;   in Loop: Header=BB14_12 Depth=1
	s_or_b64 exec, exec, s[8:9]
	s_movk_i32 s8, 0x47
	v_cmp_gt_i32_e64 s[8:9], s8, v2
	s_mov_b64 s[12:13], -1
	s_and_saveexec_b64 s[86:87], s[8:9]
; %bb.87:                               ;   in Loop: Header=BB14_12 Depth=1
	v_cmp_eq_u32_e64 s[8:9], 0, v2
	s_orn2_b64 s[12:13], s[8:9], exec
; %bb.88:                               ;   in Loop: Header=BB14_12 Depth=1
	s_or_b64 exec, exec, s[86:87]
	s_and_b64 exec, exec, s[12:13]
	s_cbranch_execz .LBB14_101
; %bb.89:                               ;   in Loop: Header=BB14_12 Depth=1
	v_add_u32_e32 v3, s92, v127
	v_cmp_gt_i32_e64 s[8:9], s36, v3
	s_and_b64 s[12:13], s[8:9], vcc
	v_mov_b32_e32 v2, 0x47
	s_and_saveexec_b64 s[8:9], s[12:13]
	s_cbranch_execz .LBB14_91
; %bb.90:                               ;   in Loop: Header=BB14_12 Depth=1
	v_mad_u64_u32 v[2:3], s[12:13], v3, s37, v[68:69]
	v_mul_lo_u32 v12, v2, 48
	v_add_u32_e32 v2, v110, v128
	v_add_u32_e32 v8, 0x80, v2
	v_add_u32_e32 v4, 0, v128
	ds_read2st64_b32 v[2:3], v8 offset1:13
	v_add_u32_e32 v6, 0xc0, v4
	ds_read2st64_b32 v[4:5], v6 offset1:13
	ds_read2st64_b32 v[6:7], v6 offset0:26 offset1:39
	ds_read2st64_b32 v[8:9], v8 offset0:26 offset1:39
	v_ashrrev_i32_e32 v13, 31, v12
	v_or_b32_e32 v12, v12, v32
	s_waitcnt lgkmcnt(3)
	v_cvt_f32_f16_e32 v10, v2
	v_cvt_f32_f16_sdwa v11, v2 dst_sel:DWORD dst_unused:UNUSED_PAD src0_sel:WORD_1
	v_cvt_f32_f16_e32 v2, v3
	v_cvt_f32_f16_sdwa v3, v3 dst_sel:DWORD dst_unused:UNUSED_PAD src0_sel:WORD_1
	s_waitcnt lgkmcnt(0)
	v_cvt_f32_f16_e32 v14, v8
	v_cvt_f32_f16_sdwa v15, v8 dst_sel:DWORD dst_unused:UNUSED_PAD src0_sel:WORD_1
	v_cvt_f32_f16_e32 v8, v9
	v_cvt_f32_f16_sdwa v9, v9 dst_sel:DWORD dst_unused:UNUSED_PAD src0_sel:WORD_1
	v_pk_fma_f32 v[10:11], v[4:5], v[10:11], 0 op_sel_hi:[0,1,0]
	v_mov_b32_e32 v4, v5
	v_pk_fma_f32 v[2:3], v[4:5], v[2:3], v[10:11] op_sel_hi:[0,1,1]
	v_pk_fma_f32 v[2:3], v[6:7], v[14:15], v[2:3] op_sel_hi:[0,1,1]
	v_mov_b32_e32 v4, v7
	v_lshl_add_u64 v[12:13], v[12:13], 3, s[74:75]
	v_pk_fma_f32 v[2:3], v[4:5], v[8:9], v[2:3] op_sel_hi:[0,1,1]
	global_store_dwordx2 v[12:13], v[2:3], off offset:256
	v_mov_b32_e32 v2, 0
.LBB14_91:                              ;   in Loop: Header=BB14_12 Depth=1
	s_or_b64 exec, exec, s[8:9]
	s_movk_i32 s8, 0x47
	v_cmp_gt_i32_e64 s[8:9], s8, v2
	s_mov_b64 s[12:13], -1
	s_and_saveexec_b64 s[86:87], s[8:9]
; %bb.92:                               ;   in Loop: Header=BB14_12 Depth=1
	v_cmp_eq_u32_e64 s[8:9], 0, v2
	s_orn2_b64 s[12:13], s[8:9], exec
; %bb.93:                               ;   in Loop: Header=BB14_12 Depth=1
	s_or_b64 exec, exec, s[86:87]
	s_and_b64 exec, exec, s[12:13]
	s_cbranch_execz .LBB14_101
; %bb.94:                               ;   in Loop: Header=BB14_12 Depth=1
	v_add_u32_e32 v3, s92, v129
	v_cmp_gt_i32_e64 s[8:9], s36, v3
	;; [unrolled: 52-line block ×3, first 2 shown]
	s_and_b64 s[8:9], s[8:9], vcc
	s_and_b64 exec, exec, s[8:9]
	s_cbranch_execz .LBB14_101
; %bb.100:                              ;   in Loop: Header=BB14_12 Depth=1
	v_mad_u64_u32 v[2:3], s[8:9], v2, s37, v[68:69]
	v_mul_lo_u32 v12, v2, 48
	v_add_u32_e32 v2, v110, v132
	v_add_u32_e32 v8, 0x80, v2
	;; [unrolled: 1-line block ×3, first 2 shown]
	ds_read2st64_b32 v[2:3], v8 offset1:13
	v_add_u32_e32 v6, 0xc0, v4
	ds_read2st64_b32 v[4:5], v6 offset1:13
	ds_read2st64_b32 v[6:7], v6 offset0:26 offset1:39
	ds_read2st64_b32 v[8:9], v8 offset0:26 offset1:39
	v_ashrrev_i32_e32 v13, 31, v12
	v_or_b32_e32 v12, v12, v32
	s_waitcnt lgkmcnt(3)
	v_cvt_f32_f16_e32 v10, v2
	v_cvt_f32_f16_sdwa v11, v2 dst_sel:DWORD dst_unused:UNUSED_PAD src0_sel:WORD_1
	v_cvt_f32_f16_e32 v2, v3
	v_cvt_f32_f16_sdwa v3, v3 dst_sel:DWORD dst_unused:UNUSED_PAD src0_sel:WORD_1
	s_waitcnt lgkmcnt(0)
	v_cvt_f32_f16_e32 v14, v8
	v_cvt_f32_f16_sdwa v15, v8 dst_sel:DWORD dst_unused:UNUSED_PAD src0_sel:WORD_1
	v_cvt_f32_f16_e32 v8, v9
	v_cvt_f32_f16_sdwa v9, v9 dst_sel:DWORD dst_unused:UNUSED_PAD src0_sel:WORD_1
	v_pk_fma_f32 v[10:11], v[4:5], v[10:11], 0 op_sel_hi:[0,1,0]
	v_mov_b32_e32 v4, v5
	v_pk_fma_f32 v[2:3], v[4:5], v[2:3], v[10:11] op_sel_hi:[0,1,1]
	v_pk_fma_f32 v[2:3], v[6:7], v[14:15], v[2:3] op_sel_hi:[0,1,1]
	v_mov_b32_e32 v4, v7
	v_lshl_add_u64 v[12:13], v[12:13], 3, s[74:75]
	v_pk_fma_f32 v[2:3], v[4:5], v[8:9], v[2:3] op_sel_hi:[0,1,1]
	global_store_dwordx2 v[12:13], v[2:3], off offset:256
.LBB14_101:                             ;   in Loop: Header=BB14_12 Depth=1
	s_or_b64 exec, exec, s[84:85]
	s_barrier
	s_branch .LBB14_11
.LBB14_102:                             ;   in Loop: Header=BB14_12 Depth=1
	s_lshl_b32 s84, s91, 2
	v_add_u32_e32 v2, s84, v138
	v_cmp_le_i32_e64 s[8:9], s3, v20
	v_cmp_le_i32_e64 s[12:13], s36, v2
	v_cmp_gt_i32_e32 vcc, s3, v20
	s_or_b64 s[8:9], s[12:13], s[8:9]
	s_and_saveexec_b64 s[12:13], s[8:9]
	s_xor_b64 s[8:9], exec, s[12:13]
; %bb.103:                              ;   in Loop: Header=BB14_12 Depth=1
	v_add_u32_e32 v2, v133, v139
	ds_write_b32 v2, v41
                                        ; implicit-def: $vgpr2
; %bb.104:                              ;   in Loop: Header=BB14_12 Depth=1
	s_andn2_saveexec_b64 s[8:9], s[8:9]
	s_cbranch_execz .LBB14_106
; %bb.105:                              ;   in Loop: Header=BB14_12 Depth=1
	v_mad_u64_u32 v[2:3], s[12:13], v2, s55, v[80:81]
	v_ashrrev_i32_e32 v3, 31, v2
	v_lshl_add_u64 v[2:3], v[2:3], 3, s[80:81]
	global_load_dwordx2 v[2:3], v[2:3], off
	s_waitcnt vmcnt(0)
	v_cvt_pk_f16_f32 v2, v2, v3
	v_pk_mul_f16 v2, v2, v134
	v_add_u32_e32 v3, v133, v139
	ds_write_b32 v3, v2
.LBB14_106:                             ;   in Loop: Header=BB14_12 Depth=1
	s_or_b64 exec, exec, s[8:9]
	v_add_u32_e32 v2, s84, v114
	v_cmp_le_i32_e64 s[8:9], s36, v2
	s_xor_b64 s[12:13], vcc, -1
	s_or_b64 s[8:9], s[8:9], s[12:13]
	s_and_saveexec_b64 s[12:13], s[8:9]
	s_xor_b64 s[8:9], exec, s[12:13]
; %bb.107:                              ;   in Loop: Header=BB14_12 Depth=1
	v_add_u32_e32 v2, v133, v139
	ds_write_b32 v2, v41 offset:1664
                                        ; implicit-def: $vgpr2
; %bb.108:                              ;   in Loop: Header=BB14_12 Depth=1
	s_andn2_saveexec_b64 s[8:9], s[8:9]
	s_cbranch_execz .LBB14_110
; %bb.109:                              ;   in Loop: Header=BB14_12 Depth=1
	v_mad_u64_u32 v[2:3], s[12:13], v2, s55, v[80:81]
	v_ashrrev_i32_e32 v3, 31, v2
	v_lshl_add_u64 v[2:3], v[2:3], 3, s[80:81]
	global_load_dwordx2 v[2:3], v[2:3], off
	s_waitcnt vmcnt(0)
	v_cvt_pk_f16_f32 v2, v2, v3
	v_pk_mul_f16 v2, v2, v134
	v_add_u32_e32 v3, v133, v139
	ds_write_b32 v3, v2 offset:1664
.LBB14_110:                             ;   in Loop: Header=BB14_12 Depth=1
	s_or_b64 exec, exec, s[8:9]
	v_add_u32_e32 v2, s84, v33
	v_or_b32_e32 v3, s65, v112
	v_cmp_le_i32_e32 vcc, s36, v2
	v_cmp_le_i32_e64 s[8:9], s3, v3
	s_or_b64 s[8:9], vcc, s[8:9]
	s_and_saveexec_b64 s[12:13], s[8:9]
	s_xor_b64 s[8:9], exec, s[12:13]
; %bb.111:                              ;   in Loop: Header=BB14_12 Depth=1
	ds_write_b32 v111, v41 offset:128
                                        ; implicit-def: $vgpr2
; %bb.112:                              ;   in Loop: Header=BB14_12 Depth=1
	s_andn2_saveexec_b64 s[8:9], s[8:9]
	s_cbranch_execz .LBB14_114
; %bb.113:                              ;   in Loop: Header=BB14_12 Depth=1
	v_mad_u64_u32 v[2:3], s[12:13], v2, s55, v[66:67]
	v_ashrrev_i32_e32 v3, 31, v2
	v_lshl_add_u64 v[2:3], v[2:3], 3, s[80:81]
	global_load_dwordx2 v[2:3], v[2:3], off
	s_waitcnt vmcnt(0)
	v_cvt_pk_f16_f32 v2, v2, v3
	v_pk_mul_f16 v2, v2, v134
	ds_write_b32 v111, v2 offset:128
.LBB14_114:                             ;   in Loop: Header=BB14_12 Depth=1
	s_or_b64 exec, exec, s[8:9]
	s_waitcnt lgkmcnt(0)
	s_barrier
	ds_read2_b64 v[10:13], v69 offset1:4
	ds_read2_b64 v[6:9], v69 offset0:8 offset1:12
	ds_read2_b64 v[2:5], v69 offset0:16 offset1:20
	s_cmp_lt_i32 s66, 2
	s_waitcnt lgkmcnt(0)
	s_barrier
	s_cbranch_scc1 .LBB14_119
; %bb.115:                              ;   in Loop: Header=BB14_12 Depth=1
	v_add_u32_e32 v14, s84, v67
	v_mul_hi_u32 v15, s34, v14
	v_add_u32_e32 v15, v14, v15
	v_lshrrev_b32_e32 v15, s35, v15
	v_mul_lo_u32 v15, v15, s36
	v_sub_u32_e32 v16, v14, v15
	v_and_b32_e32 v14, 64, v145
	v_add_u32_e32 v14, 64, v14
	v_xor_b32_e32 v15, 32, v145
	v_cmp_lt_i32_e32 vcc, v15, v14
	v_readlane_b32 s8, v164, 25
	v_readlane_b32 s9, v164, 26
	v_cndmask_b32_e32 v15, v145, v15, vcc
	v_lshlrev_b32_e32 v40, 2, v15
	v_xor_b32_e32 v15, 16, v145
	v_cmp_lt_i32_e32 vcc, v15, v14
	s_add_i32 s12, s66, -1
	v_mov_b32_e32 v26, 0
	v_cndmask_b32_e32 v14, v145, v15, vcc
	v_lshlrev_b32_e32 v148, 2, v14
	v_mov_b64_e32 v[14:15], s[82:83]
	v_mad_i64_i32 v[14:15], s[8:9], s8, v16, v[14:15]
	s_add_u32 s8, s64, s10
	s_addc_u32 s9, s60, s11
	v_lshl_add_u64 v[92:93], v[60:61], 0, s[8:9]
	v_lshl_add_u64 v[94:95], v[82:83], 0, s[8:9]
	;; [unrolled: 1-line block ×3, first 2 shown]
	s_add_u32 s8, s33, s90
	s_addc_u32 s9, s67, s53
	v_lshl_add_u64 v[90:91], v[54:55], 0, v[14:15]
	v_lshl_add_u64 v[98:99], v[64:65], 0, s[8:9]
	v_lshl_add_u64 v[100:101], v[86:87], 0, s[8:9]
	v_lshl_add_u64 v[102:103], v[88:89], 0, s[8:9]
	v_mov_b32_e32 v105, 0xfeffffff
	v_mov_b32_e32 v16, 0
	s_mov_b32 s10, s12
	v_mov_b32_e32 v28, 0
	v_mov_b32_e32 v23, 0
	;; [unrolled: 1-line block ×11, first 2 shown]
	s_and_saveexec_b64 s[8:9], s[4:5]
	s_cbranch_execz .LBB14_117
.LBB14_116:                             ;   in Loop: Header=BB14_12 Depth=1
	global_load_dword v17, v[90:91], off
	s_waitcnt vmcnt(0)
	ds_write_b32 v71, v17 offset:13312
.LBB14_117:                             ;   Parent Loop BB14_12 Depth=1
                                        ; =>  This Inner Loop Header: Depth=2
	s_or_b64 exec, exec, s[8:9]
	global_load_dwordx4 v[150:153], v[98:99], off
	v_lshl_add_u64 v[20:21], v[100:101], 0, v[62:63]
	v_lshl_add_u64 v[154:155], v[102:103], 0, v[62:63]
	v_add_u32_e32 v17, 0x3400, v79
	s_add_i32 s10, s10, -1
	v_lshl_add_u64 v[90:91], v[90:91], 0, s[68:69]
	v_lshl_add_u64 v[98:99], v[98:99], 0, s[72:73]
	;; [unrolled: 1-line block ×4, first 2 shown]
	s_cmp_lg_u32 s10, 0
	s_waitcnt vmcnt(0)
	ds_write_b128 v73, v[150:153]
	global_load_dwordx4 v[150:153], v[20:21], off
	s_waitcnt vmcnt(0)
	ds_write_b128 v75, v[150:153]
	global_load_dwordx4 v[150:153], v[154:155], off
	s_waitcnt vmcnt(0)
	ds_write_b128 v136, v[150:153]
	s_waitcnt lgkmcnt(0)
	s_barrier
	ds_read2_b64 v[150:153], v77 offset1:4
	s_waitcnt lgkmcnt(0)
	v_mfma_f32_16x16x16_f16 v[154:157], v[150:151], v[10:11], 0
	v_mfma_f32_16x16x16_f16 v[150:153], v[152:153], v[12:13], v[154:157]
	s_nop 6
	ds_read2_b64 v[154:157], v77 offset0:8 offset1:12
	s_waitcnt lgkmcnt(0)
	v_mfma_f32_16x16x16_f16 v[150:153], v[154:155], v[6:7], v[150:153]
	v_mfma_f32_16x16x16_f16 v[150:153], v[156:157], v[8:9], v[150:153]
	ds_read2_b64 v[154:157], v77 offset0:16 offset1:20
	s_waitcnt lgkmcnt(0)
	s_barrier
	ds_read2_b32 v[20:21], v17 offset1:1
	v_mfma_f32_16x16x16_f16 v[150:153], v[154:155], v[2:3], v[150:153]
	s_waitcnt lgkmcnt(0)
	v_cvt_f32_f16_e32 v17, v20
	v_cvt_f32_f16_sdwa v20, v20 dst_sel:DWORD dst_unused:UNUSED_PAD src0_sel:WORD_1
	v_cvt_f32_f16_e32 v81, v21
	v_mfma_f32_16x16x16_f16 v[150:153], v[156:157], v[4:5], v[150:153]
	v_cvt_f32_f16_sdwa v21, v21 dst_sel:DWORD dst_unused:UNUSED_PAD src0_sel:WORD_1
	global_load_dwordx4 v[154:157], v[92:93], off
	v_lshl_add_u64 v[92:93], v[92:93], 0, s[70:71]
	s_waitcnt vmcnt(0)
	ds_write_b128 v73, v[154:157]
	s_nop 2
	v_add_f32_e32 v17, v150, v17
	v_add_f32_e32 v20, v151, v20
	;; [unrolled: 1-line block ×6, first 2 shown]
	v_max3_f32 v21, v105, v21, v147
	v_add_f32_e32 v147, 0x40051340, v81
	v_add_f32_e32 v149, 0x40051340, v104
	v_max3_f32 v21, v21, v147, v149
	ds_bpermute_b32 v147, v40, v21
	s_waitcnt lgkmcnt(0)
	v_max_f32_e32 v147, v147, v147
	v_max_f32_e32 v21, v21, v147
	ds_bpermute_b32 v147, v148, v21
	s_waitcnt lgkmcnt(0)
	v_max_f32_e32 v147, v147, v147
	v_max_f32_e32 v147, v21, v147
	v_sub_f32_e32 v17, v17, v147
	v_mul_f32_e32 v21, 0x3fb8aa3b, v17
	v_fma_f32 v149, v17, s45, -v21
	v_rndne_f32_e32 v150, v21
	v_fmac_f32_e32 v149, 0x32a5705f, v17
	v_sub_f32_e32 v21, v21, v150
	v_add_f32_e32 v21, v21, v149
	v_exp_f32_e32 v21, v21
	v_cvt_i32_f32_e32 v149, v150
	v_cmp_ngt_f32_e32 vcc, s2, v17
	v_sub_f32_e32 v20, v20, v147
	v_sub_f32_e32 v104, v104, v147
	v_ldexp_f32 v21, v21, v149
	v_cndmask_b32_e32 v21, 0, v21, vcc
	v_cmp_nlt_f32_e32 vcc, s44, v17
	v_sub_f32_e32 v105, v105, v147
	s_nop 0
	v_cndmask_b32_e32 v17, v146, v21, vcc
	v_mul_f32_e32 v21, 0x3fb8aa3b, v20
	v_fma_f32 v149, v20, s45, -v21
	v_rndne_f32_e32 v150, v21
	v_fmac_f32_e32 v149, 0x32a5705f, v20
	v_sub_f32_e32 v21, v21, v150
	v_add_f32_e32 v21, v21, v149
	v_exp_f32_e32 v21, v21
	v_cvt_i32_f32_e32 v149, v150
	v_cmp_ngt_f32_e32 vcc, s2, v20
	v_ldexp_f32 v21, v21, v149
	s_nop 0
	v_cndmask_b32_e32 v21, 0, v21, vcc
	v_cmp_nlt_f32_e32 vcc, s44, v20
	s_nop 1
	v_cndmask_b32_e32 v20, v146, v21, vcc
	v_sub_f32_e32 v21, v81, v147
	v_mul_f32_e32 v81, 0x3fb8aa3b, v21
	v_fma_f32 v150, v21, s45, -v81
	v_rndne_f32_e32 v151, v81
	v_fmac_f32_e32 v150, 0x32a5705f, v21
	v_sub_f32_e32 v81, v81, v151
	v_add_f32_e32 v81, v81, v150
	v_exp_f32_e32 v81, v81
	v_cvt_i32_f32_e32 v150, v151
	v_cmp_ngt_f32_e32 vcc, s2, v21
	v_add_f32_e32 v149, v17, v20
	v_ldexp_f32 v81, v81, v150
	v_cndmask_b32_e32 v81, 0, v81, vcc
	v_cmp_nlt_f32_e32 vcc, s44, v21
	s_nop 1
	v_cndmask_b32_e32 v21, v146, v81, vcc
	v_add_f32_e32 v81, v21, v149
	v_mul_f32_e32 v149, 0x3fb8aa3b, v104
	v_fma_f32 v150, v104, s45, -v149
	v_rndne_f32_e32 v151, v149
	v_fmac_f32_e32 v150, 0x32a5705f, v104
	v_sub_f32_e32 v149, v149, v151
	v_add_f32_e32 v149, v149, v150
	v_exp_f32_e32 v149, v149
	v_cvt_i32_f32_e32 v150, v151
	v_cmp_ngt_f32_e32 vcc, s2, v104
	v_ldexp_f32 v149, v149, v150
	s_nop 0
	v_cndmask_b32_e32 v149, 0, v149, vcc
	v_cmp_nlt_f32_e32 vcc, s44, v104
	s_nop 1
	v_cndmask_b32_e32 v104, v146, v149, vcc
	v_mul_f32_e32 v149, 0x3fb8aa3b, v105
	v_fma_f32 v150, v105, s45, -v149
	v_rndne_f32_e32 v151, v149
	v_fmac_f32_e32 v150, 0x32a5705f, v105
	v_sub_f32_e32 v149, v149, v151
	v_add_f32_e32 v149, v149, v150
	v_exp_f32_e32 v149, v149
	v_cvt_i32_f32_e32 v150, v151
	v_cmp_ngt_f32_e32 vcc, s2, v105
	v_add_f32_e32 v81, v104, v81
	v_ldexp_f32 v149, v149, v150
	v_cndmask_b32_e32 v149, 0, v149, vcc
	v_cmp_nlt_f32_e32 vcc, s44, v105
	s_nop 1
	v_cndmask_b32_e32 v149, v146, v149, vcc
	v_cmp_le_f32_e32 vcc, s62, v105
	s_nop 1
	v_cndmask_b32_e32 v105, 0, v149, vcc
	v_fmac_f32_e32 v81, v16, v105
	v_cvt_f16_f32_e32 v16, v105
	v_mul_u32_u24_e32 v105, 0x10001, v16
	v_pk_mul_f16 v151, v25, v105
	v_pk_mul_f16 v150, v24, v105
	v_lshl_add_u64 v[24:25], v[94:95], 0, v[62:63]
	global_load_dwordx4 v[154:157], v[24:25], off
	v_lshl_add_u64 v[24:25], v[96:97], 0, v[62:63]
	v_pk_mul_f16 v16, v27, v105
	v_pk_mul_f16 v15, v15, v105
	;; [unrolled: 1-line block ×10, first 2 shown]
	v_cvt_pk_f16_f32 v105, v21, v104
	v_cvt_pk_f16_f32 v104, v17, v20
	v_lshl_add_u64 v[94:95], v[94:95], 0, s[70:71]
	v_lshl_add_u64 v[96:97], v[96:97], 0, s[70:71]
	s_waitcnt vmcnt(0)
	ds_write_b128 v75, v[154:157]
	global_load_dwordx4 v[154:157], v[24:25], off
	s_waitcnt vmcnt(0)
	ds_write_b128 v136, v[154:157]
	s_waitcnt lgkmcnt(0)
	s_barrier
	ds_read_u16 v14, v106 offset:208
	ds_read_u16 v17, v107
	ds_read_u16 v24, v107 offset:32
	ds_read_u16 v20, v108
	ds_read_u16 v25, v108 offset:32
	v_cvt_f32_f16_e32 v154, v16
	v_cvt_f32_f16_sdwa v155, v16 dst_sel:DWORD dst_unused:UNUSED_PAD src0_sel:WORD_1
	v_cvt_f32_f16_e32 v156, v15
	s_waitcnt lgkmcnt(1)
	v_perm_b32 v21, v20, v17, s63
	ds_read_u16 v17, v106
	ds_read_u16 v28, v106 offset:32
	v_cvt_f32_f16_sdwa v157, v15 dst_sel:DWORD dst_unused:UNUSED_PAD src0_sel:WORD_1
	s_waitcnt lgkmcnt(1)
	v_perm_b32 v20, v14, v17, s63
	s_nop 1
	v_mfma_f32_16x16x16_f16 v[14:17], v[20:21], v[104:105], v[154:157]
	ds_read_u16 v20, v106 offset:240
	v_perm_b32 v21, v25, v24, s63
	s_nop 0
	v_cvt_f32_f16_e32 v154, v19
	v_cvt_f32_f16_sdwa v155, v19 dst_sel:DWORD dst_unused:UNUSED_PAD src0_sel:WORD_1
	v_cvt_f32_f16_e32 v156, v18
	s_waitcnt lgkmcnt(0)
	v_perm_b32 v20, v20, v28, s63
	ds_read_u16 v24, v106 offset:64
	ds_read_u16 v28, v106 offset:272
	ds_read_u16 v25, v107 offset:64
	ds_read_u16 v29, v108 offset:64
	v_cvt_f32_f16_sdwa v157, v18 dst_sel:DWORD dst_unused:UNUSED_PAD src0_sel:WORD_1
	s_waitcnt lgkmcnt(2)
	v_perm_b32 v24, v28, v24, s63
	v_mfma_f32_16x16x16_f16 v[18:21], v[20:21], v[104:105], v[154:157]
	s_waitcnt lgkmcnt(0)
	v_perm_b32 v25, v29, v25, s63
	s_nop 0
	v_cvt_f32_f16_e32 v154, v23
	v_cvt_f32_f16_sdwa v155, v23 dst_sel:DWORD dst_unused:UNUSED_PAD src0_sel:WORD_1
	v_cvt_f32_f16_e32 v156, v22
	v_cvt_f32_f16_sdwa v157, v22 dst_sel:DWORD dst_unused:UNUSED_PAD src0_sel:WORD_1
	s_nop 0
	v_cvt_pk_f16_f32 v19, v18, v19
	v_cvt_pk_f16_f32 v18, v20, v21
	v_mfma_f32_16x16x16_f16 v[22:25], v[24:25], v[104:105], v[154:157]
	ds_read_u16 v28, v106 offset:96
	ds_read_u16 v153, v106 offset:304
	;; [unrolled: 1-line block ×4, first 2 shown]
	v_cvt_f32_f16_sdwa v155, v27 dst_sel:DWORD dst_unused:UNUSED_PAD src0_sel:WORD_1
	v_cvt_f32_f16_e32 v156, v26
	s_waitcnt lgkmcnt(2)
	v_perm_b32 v28, v153, v28, s63
	v_cvt_f32_f16_sdwa v157, v26 dst_sel:DWORD dst_unused:UNUSED_PAD src0_sel:WORD_1
	s_waitcnt lgkmcnt(0)
	v_perm_b32 v29, v154, v29, s63
	v_cvt_f32_f16_e32 v154, v27
	v_cvt_pk_f16_f32 v23, v22, v23
	v_cvt_pk_f16_f32 v22, v24, v25
	v_mfma_f32_16x16x16_f16 v[26:29], v[28:29], v[104:105], v[154:157]
	ds_read_u16 v153, v106 offset:128
	s_nop 1
	ds_read_u16 v154, v106 offset:336
	ds_read_u16 v155, v107 offset:128
	ds_read_u16 v156, v108 offset:128
	v_cvt_f32_f16_sdwa v157, v151 dst_sel:DWORD dst_unused:UNUSED_PAD src0_sel:WORD_1
	s_waitcnt lgkmcnt(2)
	v_perm_b32 v158, v154, v153, s63
	v_cvt_f32_f16_e32 v154, v152
	s_waitcnt lgkmcnt(0)
	v_perm_b32 v159, v156, v155, s63
	v_cvt_f32_f16_sdwa v155, v152 dst_sel:DWORD dst_unused:UNUSED_PAD src0_sel:WORD_1
	v_cvt_f32_f16_e32 v156, v151
	v_cvt_pk_f16_f32 v26, v26, v27
	v_cvt_pk_f16_f32 v28, v28, v29
	v_mfma_f32_16x16x16_f16 v[152:155], v[158:159], v[104:105], v[154:157]
	ds_read_u16 v151, v106 offset:160
	s_nop 1
	ds_read_u16 v156, v106 offset:368
	ds_read_u16 v157, v107 offset:160
	ds_read_u16 v158, v108 offset:160
	v_cvt_f32_f16_sdwa v159, v149 dst_sel:DWORD dst_unused:UNUSED_PAD src0_sel:WORD_1
	v_cvt_pk_f16_f32 v27, v14, v15
	s_waitcnt lgkmcnt(2)
	v_perm_b32 v160, v156, v151, s63
	v_cvt_f32_f16_e32 v156, v150
	s_waitcnt lgkmcnt(0)
	v_perm_b32 v161, v158, v157, s63
	v_cvt_f32_f16_sdwa v157, v150 dst_sel:DWORD dst_unused:UNUSED_PAD src0_sel:WORD_1
	v_cvt_f32_f16_e32 v158, v149
	v_cvt_pk_f16_f32 v15, v16, v17
	v_cvt_pk_f16_f32 v29, v152, v153
	v_mfma_f32_16x16x16_f16 v[156:159], v[160:161], v[104:105], v[156:159]
	v_cvt_pk_f16_f32 v25, v154, v155
	s_barrier
	s_nop 5
	v_cvt_pk_f16_f32 v24, v156, v157
	v_cvt_pk_f16_f32 v14, v158, v159
	s_cbranch_scc0 .LBB14_120
; %bb.118:                              ;   in Loop: Header=BB14_117 Depth=2
	v_mov_b32_e32 v16, v81
	v_mov_b32_e32 v105, v147
	s_and_saveexec_b64 s[8:9], s[4:5]
	s_cbranch_execnz .LBB14_116
	s_branch .LBB14_117
.LBB14_119:                             ;   in Loop: Header=BB14_12 Depth=1
	v_mov_b32_e32 v147, 0xfeffffff
	v_mov_b32_e32 v81, 0
	s_mov_b64 s[8:9], 0
	v_mov_b32_e32 v14, 0
	v_mov_b32_e32 v24, 0
	;; [unrolled: 1-line block ×12, first 2 shown]
	s_and_saveexec_b64 s[12:13], s[4:5]
	s_cbranch_execnz .LBB14_121
	s_branch .LBB14_122
.LBB14_120:                             ;   in Loop: Header=BB14_12 Depth=1
	s_lshl_b32 s60, s12, 6
	s_mov_b64 s[8:9], s[60:61]
	s_and_saveexec_b64 s[12:13], s[4:5]
	s_cbranch_execz .LBB14_122
.LBB14_121:                             ;   in Loop: Header=BB14_12 Depth=1
	v_or_b32_e32 v16, s84, v67
	v_mul_hi_u32 v17, s34, v16
	v_add_u32_e32 v17, v16, v17
	v_lshrrev_b32_e32 v17, s35, v17
	s_lshl_b64 s[10:11], s[8:9], 1
	v_mul_lo_u32 v17, v17, s36
	v_readlane_b32 s66, v164, 23
	s_add_u32 s10, s78, s10
	v_sub_u32_e32 v16, v16, v17
	v_readlane_b32 s67, v164, 24
	s_addc_u32 s11, s79, s11
	v_mad_i64_i32 v[16:17], s[66:67], v16, s66, 0
	v_lshl_add_u64 v[16:17], v[16:17], 1, s[10:11]
	v_lshlrev_b32_e32 v40, 1, v34
	v_lshl_add_u64 v[16:17], v[16:17], 0, v[40:41]
	global_load_dword v16, v[16:17], off
	s_waitcnt vmcnt(0)
	ds_write_b32 v71, v16 offset:13312
.LBB14_122:                             ;   in Loop: Header=BB14_12 Depth=1
	s_or_b64 exec, exec, s[12:13]
	s_mul_i32 s9, s8, s39
	s_mul_hi_u32 s10, s8, s38
	s_add_i32 s11, s10, s9
	s_mul_i32 s10, s8, s38
	s_lshl_b64 s[10:11], s[10:11], 2
	s_add_u32 s10, s59, s10
	s_addc_u32 s11, s56, s11
	v_lshl_add_u64 v[16:17], v[42:43], 2, s[10:11]
	v_lshlrev_b32_e32 v40, 2, v36
	v_lshlrev_b32_e32 v104, 2, v38
	v_mov_b32_e32 v105, v41
	v_lshl_add_u64 v[90:91], v[46:47], 2, s[10:11]
	v_lshl_add_u64 v[16:17], v[16:17], 0, v[40:41]
	;; [unrolled: 1-line block ×5, first 2 shown]
	global_load_dwordx4 v[90:93], v[16:17], off offset:128
	global_load_dwordx4 v[94:97], v[20:21], off
	s_nop 0
	global_load_dwordx4 v[98:101], v[98:99], off
	v_and_b32_e32 v17, 64, v145
	v_xor_b32_e32 v20, 32, v145
	v_add_u32_e32 v17, 64, v17
	v_xor_b32_e32 v21, 16, v145
	v_cmp_lt_i32_e32 vcc, v20, v17
	v_add_u32_e32 v16, 0x3400, v79
	s_mul_i32 s9, s8, s15
	v_cndmask_b32_e32 v20, v145, v20, vcc
	v_cmp_lt_i32_e32 vcc, v21, v17
	s_mul_hi_u32 s10, s8, s14
	s_mul_i32 s8, s8, s14
	v_cndmask_b32_e32 v17, v145, v21, vcc
	s_add_i32 s9, s10, s9
	s_lshl_b64 s[8:9], s[8:9], 2
	s_add_u32 s8, s99, s8
	s_addc_u32 s9, s42, s9
	s_cmp_lg_u64 s[76:77], 0
	s_waitcnt vmcnt(2)
	ds_write_b128 v73, v[90:93]
	s_waitcnt vmcnt(1)
	ds_write_b128 v75, v[94:97]
	;; [unrolled: 2-line block ×3, first 2 shown]
	s_waitcnt lgkmcnt(0)
	s_barrier
	ds_read2_b64 v[92:95], v77 offset1:4
	ds_read2_b64 v[96:99], v77 offset0:8 offset1:12
	s_waitcnt lgkmcnt(1)
	v_mfma_f32_16x16x16_f16 v[100:103], v[92:93], v[10:11], 0
	v_lshlrev_b32_e32 v91, 2, v17
	v_lshlrev_b32_e32 v90, 2, v20
	v_mfma_f32_16x16x16_f16 v[10:13], v[94:95], v[12:13], v[100:103]
	ds_read2_b64 v[92:95], v77 offset0:16 offset1:20
	s_waitcnt lgkmcnt(0)
	s_barrier
	v_mfma_f32_16x16x16_f16 v[10:13], v[96:97], v[6:7], v[10:13]
	ds_read2_b32 v[16:17], v16 offset1:1
	v_mfma_f32_16x16x16_f16 v[6:9], v[98:99], v[8:9], v[10:13]
	v_mfma_f32_16x16x16_f16 v[6:9], v[92:93], v[2:3], v[6:9]
	s_waitcnt lgkmcnt(0)
	s_nop 3
	v_cvt_f32_f16_e32 v12, v16
	v_cvt_f32_f16_sdwa v13, v16 dst_sel:DWORD dst_unused:UNUSED_PAD src0_sel:WORD_1
	v_cvt_f32_f16_e32 v16, v17
	v_mfma_f32_16x16x16_f16 v[2:5], v[94:95], v[4:5], v[6:9]
	v_cvt_f32_f16_sdwa v17, v17 dst_sel:DWORD dst_unused:UNUSED_PAD src0_sel:WORD_1
	v_lshl_add_u64 v[10:11], v[48:49], 2, s[8:9]
	s_nop 0
	v_lshl_add_u64 v[6:7], v[10:11], 0, v[40:41]
	s_nop 3
	v_add_f32_e32 v21, v2, v12
	v_add_f32_e32 v92, v3, v13
	;; [unrolled: 1-line block ×8, first 2 shown]
	v_max3_f32 v2, v147, v2, v3
	v_max3_f32 v12, v2, v4, v5
	ds_bpermute_b32 v13, v90, v12
	v_lshl_add_u64 v[2:3], v[50:51], 2, s[8:9]
	v_lshl_add_u64 v[4:5], v[52:53], 2, s[8:9]
	;; [unrolled: 1-line block ×4, first 2 shown]
	s_waitcnt lgkmcnt(0)
	v_max_f32_e32 v2, v13, v13
	v_max_f32_e32 v20, v12, v2
	global_load_dwordx4 v[2:5], v[6:7], off offset:128
	s_nop 0
	global_load_dwordx4 v[6:9], v[8:9], off
	s_nop 0
	global_load_dwordx4 v[10:13], v[10:11], off
	ds_bpermute_b32 v40, v91, v20
	s_cselect_b64 s[8:9], -1, 0
	s_and_b64 s[10:11], s[0:1], s[8:9]
	s_waitcnt vmcnt(2)
	ds_write_b128 v73, v[2:5]
	s_waitcnt vmcnt(1)
	ds_write_b128 v75, v[6:9]
	;; [unrolled: 2-line block ×3, first 2 shown]
	s_waitcnt lgkmcnt(3)
	v_max_f32_e32 v40, v40, v40
	v_max_f32_e32 v20, v20, v40
	v_sub_f32_e32 v21, v21, v20
	v_sub_f32_e32 v40, v92, v20
	v_mul_f32_e32 v93, 0x3fb8aa3b, v21
	v_sub_f32_e32 v16, v16, v20
	v_mul_f32_e32 v94, 0x3fb8aa3b, v40
	v_fma_f32 v98, v21, s45, -v93
	v_rndne_f32_e32 v99, v93
	v_sub_f32_e32 v17, v17, v20
	v_mul_f32_e32 v95, 0x3fb8aa3b, v16
	v_fma_f32 v100, v40, s45, -v94
	v_rndne_f32_e32 v101, v94
	v_fmac_f32_e32 v98, 0x32a5705f, v21
	v_sub_f32_e32 v93, v93, v99
	v_mul_f32_e32 v96, 0x3fb8aa3b, v17
	v_fma_f32 v102, v16, s45, -v95
	v_rndne_f32_e32 v103, v95
	v_fmac_f32_e32 v100, 0x32a5705f, v40
	v_sub_f32_e32 v94, v94, v101
	v_add_f32_e32 v93, v93, v98
	v_fma_f32 v104, v17, s45, -v96
	v_rndne_f32_e32 v105, v96
	v_cvt_i32_f32_e32 v99, v99
	v_fmac_f32_e32 v102, 0x32a5705f, v16
	v_sub_f32_e32 v95, v95, v103
	v_add_f32_e32 v94, v94, v100
	v_exp_f32_e32 v93, v93
	v_cvt_i32_f32_e32 v101, v101
	v_fmac_f32_e32 v104, 0x32a5705f, v17
	v_sub_f32_e32 v96, v96, v105
	v_add_f32_e32 v95, v95, v102
	v_exp_f32_e32 v94, v94
	v_sub_f32_e32 v92, v147, v20
	v_cvt_i32_f32_e32 v103, v103
	v_add_f32_e32 v96, v96, v104
	v_exp_f32_e32 v95, v95
	v_mul_f32_e32 v97, 0x3fb8aa3b, v92
	v_cvt_i32_f32_e32 v105, v105
	v_exp_f32_e32 v96, v96
	v_fma_f32 v147, v92, s45, -v97
	v_rndne_f32_e32 v148, v97
	v_ldexp_f32 v93, v93, v99
	v_cmp_ngt_f32_e32 vcc, s2, v21
	v_fmac_f32_e32 v147, 0x32a5705f, v92
	v_sub_f32_e32 v97, v97, v148
	v_ldexp_f32 v94, v94, v101
	v_cndmask_b32_e32 v93, 0, v93, vcc
	v_cmp_ngt_f32_e32 vcc, s2, v40
	v_add_f32_e32 v97, v97, v147
	v_ldexp_f32 v95, v95, v103
	v_cndmask_b32_e32 v94, 0, v94, vcc
	v_cmp_ngt_f32_e32 vcc, s2, v16
	v_cvt_i32_f32_e32 v148, v148
	v_exp_f32_e32 v97, v97
	v_ldexp_f32 v96, v96, v105
	v_cndmask_b32_e32 v95, 0, v95, vcc
	v_cmp_ngt_f32_e32 vcc, s2, v17
	v_ldexp_f32 v97, v97, v148
	s_waitcnt lgkmcnt(0)
	v_cndmask_b32_e32 v96, 0, v96, vcc
	v_cmp_nlt_f32_e32 vcc, s44, v21
	s_barrier
	s_nop 0
	v_cndmask_b32_e32 v21, v146, v93, vcc
	v_cmp_nlt_f32_e32 vcc, s44, v40
	s_nop 1
	v_cndmask_b32_e32 v40, v146, v94, vcc
	v_cmp_nlt_f32_e32 vcc, s44, v16
	v_add_f32_e32 v93, v21, v40
	s_nop 0
	v_cndmask_b32_e32 v16, v146, v95, vcc
	v_cmp_ngt_f32_e32 vcc, s2, v92
	v_add_f32_e32 v93, v16, v93
	s_nop 0
	v_cndmask_b32_e32 v94, 0, v97, vcc
	v_cmp_nlt_f32_e32 vcc, s44, v92
	s_nop 1
	v_cndmask_b32_e32 v94, v146, v94, vcc
	v_cmp_le_f32_e32 vcc, s62, v92
	s_nop 1
	v_cndmask_b32_e32 v92, 0, v94, vcc
	v_cvt_f16_f32_e32 v94, v92
	v_cmp_nlt_f32_e32 vcc, s44, v17
	s_nop 1
	v_cndmask_b32_e32 v17, v146, v96, vcc
	v_add_f32_e32 v93, v17, v93
	v_fmac_f32_e32 v93, v81, v92
	v_mul_u32_u24_e32 v81, 0x10001, v94
	v_pk_mul_f16 v95, v24, v81
	ds_read_u16 v2, v107
	ds_read_u16 v10, v107 offset:32
	ds_read_u16 v11, v106 offset:272
	;; [unrolled: 1-line block ×7, first 2 shown]
	ds_read_u16 v3, v108
	ds_read_u16 v12, v108 offset:32
	ds_read_u16 v100, v108 offset:64
	;; [unrolled: 1-line block ×7, first 2 shown]
	v_pk_mul_f16 v27, v27, v81
	v_pk_mul_f16 v15, v15, v81
	;; [unrolled: 1-line block ×3, first 2 shown]
	s_waitcnt lgkmcnt(7)
	v_perm_b32 v7, v3, v2, s63
	ds_read_u16 v2, v106 offset:208
	ds_read_u16 v3, v106
	ds_read_u16 v13, v106 offset:32
	ds_read_u16 v22, v106 offset:240
	;; [unrolled: 1-line block ×6, first 2 shown]
	s_waitcnt lgkmcnt(6)
	v_perm_b32 v6, v2, v3, s63
	v_cvt_f32_f16_e32 v2, v27
	v_cvt_f32_f16_sdwa v3, v27 dst_sel:DWORD dst_unused:UNUSED_PAD src0_sel:WORD_1
	v_cvt_f32_f16_e32 v4, v15
	v_cvt_f32_f16_sdwa v5, v15 dst_sel:DWORD dst_unused:UNUSED_PAD src0_sel:WORD_1
	v_pk_mul_f16 v94, v26, v81
	v_cvt_pk_f16_f32 v27, v16, v17
	v_cvt_pk_f16_f32 v26, v21, v40
	v_pk_mul_f16 v19, v19, v81
	v_pk_mul_f16 v18, v18, v81
	v_mfma_f32_16x16x16_f16 v[6:9], v[6:7], v[26:27], v[2:5]
	v_pk_mul_f16 v23, v23, v81
	v_pk_mul_f16 v28, v28, v81
	;; [unrolled: 1-line block ×5, first 2 shown]
	s_nop 2
	v_cvt_f16_f32_e32 v14, v8
	v_cvt_f16_f32_e32 v15, v9
	v_perm_b32 v9, v12, v10, s63
	s_waitcnt lgkmcnt(4)
	v_perm_b32 v8, v22, v13, s63
	v_cvt_f32_f16_e32 v2, v19
	v_cvt_f32_f16_sdwa v3, v19 dst_sel:DWORD dst_unused:UNUSED_PAD src0_sel:WORD_1
	v_cvt_f32_f16_e32 v4, v18
	v_cvt_f32_f16_sdwa v5, v18 dst_sel:DWORD dst_unused:UNUSED_PAD src0_sel:WORD_1
	v_perm_b32 v22, v15, v14, s63
	v_cvt_f16_f32_e32 v40, v6
	v_mfma_f32_16x16x16_f16 v[12:15], v[8:9], v[26:27], v[2:5]
	v_perm_b32 v9, v100, v24, s63
	s_waitcnt lgkmcnt(3)
	v_perm_b32 v8, v11, v147, s63
	v_cvt_f32_f16_e32 v2, v23
	v_cvt_f32_f16_sdwa v3, v23 dst_sel:DWORD dst_unused:UNUSED_PAD src0_sel:WORD_1
	s_nop 2
	v_cvt_f16_f32_e32 v10, v14
	v_cvt_f16_f32_e32 v14, v15
	v_cvt_f32_f16_e32 v4, v92
	v_cvt_f32_f16_sdwa v5, v92 dst_sel:DWORD dst_unused:UNUSED_PAD src0_sel:WORD_1
	v_cvt_f16_f32_e32 v151, v7
	v_perm_b32 v23, v14, v10, s63
	v_mfma_f32_16x16x16_f16 v[14:17], v[8:9], v[26:27], v[2:5]
	v_perm_b32 v9, v101, v97, s63
	s_waitcnt lgkmcnt(2)
	v_perm_b32 v8, v96, v148, s63
	v_cvt_f32_f16_e32 v2, v94
	v_cvt_f32_f16_sdwa v3, v94 dst_sel:DWORD dst_unused:UNUSED_PAD src0_sel:WORD_1
	v_cvt_f32_f16_e32 v4, v28
	v_cvt_f32_f16_sdwa v5, v28 dst_sel:DWORD dst_unused:UNUSED_PAD src0_sel:WORD_1
	s_nop 0
	v_cvt_f16_f32_e32 v10, v16
	v_cvt_f16_f32_e32 v11, v17
	v_mfma_f32_16x16x16_f16 v[16:19], v[8:9], v[26:27], v[2:5]
	v_perm_b32 v9, v103, v102, s63
	s_waitcnt lgkmcnt(1)
	v_perm_b32 v8, v98, v149, s63
	v_cvt_f32_f16_e32 v2, v29
	v_cvt_f32_f16_sdwa v3, v29 dst_sel:DWORD dst_unused:UNUSED_PAD src0_sel:WORD_1
	v_cvt_f32_f16_e32 v4, v25
	v_cvt_f32_f16_sdwa v5, v25 dst_sel:DWORD dst_unused:UNUSED_PAD src0_sel:WORD_1
	v_perm_b32 v24, v11, v10, s63
	v_cvt_f16_f32_e32 v10, v18
	v_mfma_f32_16x16x16_f16 v[2:5], v[8:9], v[26:27], v[2:5]
	v_cvt_f16_f32_e32 v11, v19
	v_perm_b32 v29, v104, v105, s63
	s_waitcnt lgkmcnt(0)
	v_perm_b32 v28, v99, v150, s63
	v_cvt_f32_f16_e32 v8, v95
	s_nop 2
	v_cvt_f16_f32_e32 v4, v4
	v_cvt_f16_f32_e32 v5, v5
	v_perm_b32 v18, v11, v10, s63
	v_cvt_f32_f16_sdwa v9, v95 dst_sel:DWORD dst_unused:UNUSED_PAD src0_sel:WORD_1
	v_cvt_f32_f16_e32 v10, v81
	v_cvt_f32_f16_sdwa v11, v81 dst_sel:DWORD dst_unused:UNUSED_PAD src0_sel:WORD_1
	v_perm_b32 v4, v5, v4, s63
	ds_bpermute_b32 v5, v90, v93
	v_mfma_f32_16x16x16_f16 v[8:11], v[28:29], v[26:27], v[8:11]
	v_cvt_f16_f32_e32 v92, v12
	v_cvt_f16_f32_e32 v100, v13
	s_waitcnt lgkmcnt(0)
	v_add_f32_e32 v21, v93, v5
	ds_bpermute_b32 v26, v91, v21
	v_cvt_f16_f32_e32 v94, v14
	v_cvt_f16_f32_e32 v96, v15
	;; [unrolled: 1-line block ×10, first 2 shown]
	s_waitcnt lgkmcnt(0)
	v_add_f32_e32 v21, v21, v26
	v_perm_b32 v26, v95, v81, s63
	v_perm_b32 v5, v11, v10, s63
	;; [unrolled: 1-line block ×7, first 2 shown]
	s_barrier
	s_and_saveexec_b64 s[8:9], s[10:11]
	s_cbranch_execz .LBB14_124
; %bb.123:                              ;   in Loop: Header=BB14_12 Depth=1
	v_lshlrev_b32_e32 v10, 2, v56
	global_load_dword v10, v10, s[76:77]
	v_cvt_pk_f16_f32 v11, v6, v7
	v_max_f32_e32 v6, v20, v20
	v_cvt_pk_f16_f32 v12, v12, v13
	v_cvt_pk_f16_f32 v13, v14, v15
	;; [unrolled: 1-line block ×5, first 2 shown]
	s_waitcnt vmcnt(0)
	v_max_f32_e32 v7, v10, v10
	v_max_f32_e32 v6, v6, v7
	v_sub_f32_e32 v7, v20, v6
	v_sub_f32_e32 v10, v10, v6
	v_mul_f32_e32 v15, 0x3fb8aa3b, v7
	v_mul_f32_e32 v16, 0x3fb8aa3b, v10
	v_fma_f32 v17, v7, s45, -v15
	v_rndne_f32_e32 v19, v15
	v_fma_f32 v20, v10, s45, -v16
	v_rndne_f32_e32 v25, v16
	v_fmac_f32_e32 v17, 0x32a5705f, v7
	v_sub_f32_e32 v15, v15, v19
	v_fmac_f32_e32 v20, 0x32a5705f, v10
	v_sub_f32_e32 v16, v16, v25
	v_add_f32_e32 v15, v15, v17
	v_cvt_i32_f32_e32 v19, v19
	v_add_f32_e32 v16, v16, v20
	v_exp_f32_e32 v15, v15
	v_cvt_i32_f32_e32 v25, v25
	v_exp_f32_e32 v16, v16
	v_cmp_ngt_f32_e32 vcc, s2, v7
	v_ldexp_f32 v8, v15, v19
	v_ldexp_f32 v9, v16, v25
	v_cndmask_b32_e32 v8, 0, v8, vcc
	v_cmp_ngt_f32_e32 vcc, s2, v10
	s_nop 1
	v_cndmask_b32_e32 v9, 0, v9, vcc
	v_cmp_nlt_f32_e32 vcc, s44, v7
	s_nop 1
	v_cndmask_b32_e32 v8, v146, v8, vcc
	v_cmp_le_f32_e32 vcc, s62, v7
	s_nop 1
	v_cndmask_b32_e32 v8, 0, v8, vcc
	v_cvt_f16_f32_e32 v15, v8
	v_cmp_nlt_f32_e32 vcc, s44, v10
	s_nop 1
	v_cndmask_b32_e32 v7, v146, v9, vcc
	v_fmac_f32_e32 v7, v21, v8
	v_mul_u32_u24_e32 v8, 0x10001, v15
	v_pk_mul_f16 v25, v11, v8
	v_pk_mul_f16 v22, v22, v8
	;; [unrolled: 1-line block ×12, first 2 shown]
	v_mov_b64_e32 v[20:21], v[6:7]
.LBB14_124:                             ;   in Loop: Header=BB14_12 Depth=1
	s_or_b64 exec, exec, s[8:9]
	s_and_saveexec_b64 s[8:9], s[6:7]
; %bb.125:                              ;   in Loop: Header=BB14_12 Depth=1
	v_add_u32_e32 v2, 0, v113
	ds_write2_b32 v2, v20, v21 offset0:48 offset1:49
; %bb.126:                              ;   in Loop: Header=BB14_12 Depth=1
	s_or_b64 exec, exec, s[8:9]
	s_waitcnt lgkmcnt(0)
	s_barrier
	s_mov_b64 s[8:9], exec
	v_readlane_b32 s10, v164, 11
	v_readlane_b32 s11, v164, 12
	s_and_b64 s[10:11], s[8:9], s[10:11]
	s_xor_b64 s[8:9], s[10:11], s[8:9]
	s_mov_b64 exec, s[10:11]
	s_cbranch_execz .LBB14_128
; %bb.127:                              ;   in Loop: Header=BB14_12 Depth=1
	s_barrier
                                        ; implicit-def: $vgpr90
                                        ; implicit-def: $vgpr91
.LBB14_128:                             ;   in Loop: Header=BB14_12 Depth=1
	s_andn2_saveexec_b64 s[8:9], s[8:9]
	s_cbranch_execz .LBB14_130
; %bb.129:                              ;   in Loop: Header=BB14_12 Depth=1
	v_add_u32_e32 v6, 0, v113
	ds_read_b64 v[2:3], v6 offset:192
	s_waitcnt lgkmcnt(0)
	s_barrier
	ds_bpermute_b32 v7, v90, v2
	v_max_f32_e32 v8, v2, v2
	s_waitcnt lgkmcnt(0)
	v_max_f32_e32 v7, v7, v7
	v_max_f32_e32 v7, v8, v7
	ds_bpermute_b32 v8, v91, v7
	s_waitcnt lgkmcnt(0)
	v_max_f32_e32 v8, v8, v8
	v_max_f32_e32 v7, v7, v8
	v_sub_f32_e32 v2, v2, v7
	v_mul_f32_e32 v7, 0x3fb8aa3b, v2
	v_fma_f32 v8, v2, s45, -v7
	v_rndne_f32_e32 v9, v7
	v_fmac_f32_e32 v8, 0x32a5705f, v2
	v_sub_f32_e32 v7, v7, v9
	v_add_f32_e32 v7, v7, v8
	v_cvt_i32_f32_e32 v9, v9
	v_exp_f32_e32 v7, v7
	v_cmp_ngt_f32_e32 vcc, s2, v2
	v_ldexp_f32 v7, v7, v9
	s_nop 0
	v_cndmask_b32_e32 v7, 0, v7, vcc
	v_cmp_nlt_f32_e32 vcc, s44, v2
	s_nop 1
	v_cndmask_b32_e32 v2, v146, v7, vcc
	v_mul_f32_e32 v7, v3, v2
	ds_bpermute_b32 v7, v90, v7
	s_waitcnt lgkmcnt(0)
	v_fmac_f32_e32 v7, v3, v2
	ds_bpermute_b32 v3, v91, v7
	s_waitcnt lgkmcnt(0)
	v_add_f32_e32 v3, v7, v3
	ds_write_b64 v6, v[2:3] offset:192
.LBB14_130:                             ;   in Loop: Header=BB14_12 Depth=1
	s_or_b64 exec, exec, s[8:9]
	ds_write2_b32 v109, v25, v22 offset1:1
	ds_write2_b32 v109, v19, v23 offset0:8 offset1:9
	ds_write2_b32 v109, v11, v24 offset0:16 offset1:17
	;; [unrolled: 1-line block ×5, first 2 shown]
	s_waitcnt lgkmcnt(0)
	s_barrier
	s_and_saveexec_b64 s[76:77], s[0:1]
	s_cbranch_execz .LBB14_10
; %bb.131:                              ;   in Loop: Header=BB14_12 Depth=1
	v_add_u32_e32 v3, s84, v140
	v_or_b32_e32 v2, s65, v70
	v_cmp_gt_i32_e32 vcc, s36, v3
	v_cmp_gt_i32_e64 s[8:9], s3, v2
	s_and_b64 s[10:11], vcc, s[8:9]
	v_mov_b32_e32 v2, 0x47
	s_and_saveexec_b64 s[12:13], s[10:11]
	s_cbranch_execz .LBB14_133
; %bb.132:                              ;   in Loop: Header=BB14_12 Depth=1
	v_add_u32_e32 v12, v133, v115
	v_add_u32_e32 v14, 0, v115
	ds_read2st64_b32 v[4:5], v12 offset1:13
	ds_read2_b32 v[6:7], v14 offset0:48 offset1:49
	v_mad_u64_u32 v[2:3], s[10:11], v3, s37, v[70:71]
	v_add_u32_e32 v3, 0xc0, v14
	s_waitcnt lgkmcnt(1)
	v_cvt_f32_f16_e32 v8, v4
	v_cvt_f32_f16_sdwa v9, v4 dst_sel:DWORD dst_unused:UNUSED_PAD src0_sel:WORD_1
	ds_read2st64_b32 v[10:11], v3 offset0:13 offset1:26
	ds_read2st64_b32 v[12:13], v12 offset0:26 offset1:39
	ds_read_b32 v4, v14 offset:10176
	v_cvt_f32_f16_e32 v14, v5
	v_cvt_f32_f16_sdwa v15, v5 dst_sel:DWORD dst_unused:UNUSED_PAD src0_sel:WORD_1
	s_waitcnt lgkmcnt(3)
	v_pk_fma_f32 v[8:9], v[6:7], v[8:9], 0 op_sel_hi:[0,1,0]
	s_waitcnt lgkmcnt(1)
	v_cvt_f32_f16_e32 v16, v12
	v_cvt_f32_f16_sdwa v17, v12 dst_sel:DWORD dst_unused:UNUSED_PAD src0_sel:WORD_1
	v_cvt_f32_f16_e32 v12, v13
	v_cvt_f32_f16_sdwa v13, v13 dst_sel:DWORD dst_unused:UNUSED_PAD src0_sel:WORD_1
	v_pk_fma_f32 v[8:9], v[10:11], v[14:15], v[8:9] op_sel_hi:[0,1,1]
	v_mov_b32_e32 v6, v11
	v_pk_fma_f32 v[8:9], v[6:7], v[16:17], v[8:9] op_sel_hi:[0,1,1]
	s_waitcnt lgkmcnt(0)
	v_pk_fma_f32 v[4:5], v[4:5], v[12:13], v[8:9] op_sel_hi:[0,1,1]
	v_div_scale_f32 v6, s[10:11], v7, v7, v5
	v_rcp_f32_e32 v8, v6
	v_mad_u64_u32 v[2:3], s[10:11], v2, 48, v[30:31]
	v_ashrrev_i32_e32 v3, 31, v2
	v_fma_f32 v9, -v6, v8, 1.0
	v_fmac_f32_e32 v8, v9, v8
	v_div_scale_f32 v9, vcc, v5, v7, v5
	v_mul_f32_e32 v10, v9, v8
	v_fma_f32 v11, -v6, v10, v9
	v_fmac_f32_e32 v10, v11, v8
	v_fma_f32 v6, -v6, v10, v9
	v_div_scale_f32 v9, s[10:11], v7, v7, v4
	v_rcp_f32_e32 v11, v9
	v_div_fmas_f32 v6, v6, v8, v10
	v_div_fixup_f32 v5, v6, v7, v5
	v_lshl_add_u64 v[2:3], v[2:3], 3, s[74:75]
	v_fma_f32 v6, -v9, v11, 1.0
	v_fmac_f32_e32 v11, v6, v11
	v_div_scale_f32 v6, vcc, v4, v7, v4
	v_mul_f32_e32 v8, v6, v11
	v_fma_f32 v10, -v9, v8, v6
	v_fmac_f32_e32 v8, v10, v11
	v_fma_f32 v6, -v9, v8, v6
	v_div_fmas_f32 v6, v6, v11, v8
	v_div_fixup_f32 v4, v6, v7, v4
	global_store_dwordx2 v[2:3], v[4:5], off
	v_mov_b32_e32 v2, 0
.LBB14_133:                             ;   in Loop: Header=BB14_12 Depth=1
	s_or_b64 exec, exec, s[12:13]
	s_movk_i32 s10, 0x47
	v_cmp_gt_i32_e32 vcc, s10, v2
	s_mov_b64 s[12:13], -1
	s_and_saveexec_b64 s[78:79], vcc
; %bb.134:                              ;   in Loop: Header=BB14_12 Depth=1
	v_cmp_eq_u32_e32 vcc, 0, v2
	s_orn2_b64 s[12:13], vcc, exec
; %bb.135:                              ;   in Loop: Header=BB14_12 Depth=1
	s_or_b64 exec, exec, s[78:79]
	s_and_saveexec_b64 s[78:79], s[12:13]
	s_cbranch_execz .LBB14_168
; %bb.136:                              ;   in Loop: Header=BB14_12 Depth=1
	v_add_u32_e32 v3, s84, v141
	v_or_b32_e32 v2, s65, v72
	v_cmp_gt_i32_e32 vcc, s36, v3
	v_cmp_gt_i32_e64 s[12:13], s3, v2
	s_and_b64 s[10:11], vcc, s[12:13]
	v_mov_b32_e32 v2, 0x47
	s_and_saveexec_b64 s[12:13], s[10:11]
	s_cbranch_execz .LBB14_138
; %bb.137:                              ;   in Loop: Header=BB14_12 Depth=1
	v_add_u32_e32 v12, v133, v116
	v_add_u32_e32 v14, 0, v116
	ds_read2st64_b32 v[4:5], v12 offset1:13
	ds_read2_b32 v[6:7], v14 offset0:48 offset1:49
	v_mad_u64_u32 v[2:3], s[10:11], v3, s37, v[72:73]
	v_add_u32_e32 v3, 0xc0, v14
	s_waitcnt lgkmcnt(1)
	v_cvt_f32_f16_e32 v8, v4
	v_cvt_f32_f16_sdwa v9, v4 dst_sel:DWORD dst_unused:UNUSED_PAD src0_sel:WORD_1
	ds_read2st64_b32 v[10:11], v3 offset0:13 offset1:26
	ds_read2st64_b32 v[12:13], v12 offset0:26 offset1:39
	ds_read_b32 v4, v14 offset:10176
	v_cvt_f32_f16_e32 v14, v5
	v_cvt_f32_f16_sdwa v15, v5 dst_sel:DWORD dst_unused:UNUSED_PAD src0_sel:WORD_1
	s_waitcnt lgkmcnt(3)
	v_pk_fma_f32 v[8:9], v[6:7], v[8:9], 0 op_sel_hi:[0,1,0]
	s_waitcnt lgkmcnt(1)
	v_cvt_f32_f16_e32 v16, v12
	v_cvt_f32_f16_sdwa v17, v12 dst_sel:DWORD dst_unused:UNUSED_PAD src0_sel:WORD_1
	v_cvt_f32_f16_e32 v12, v13
	v_cvt_f32_f16_sdwa v13, v13 dst_sel:DWORD dst_unused:UNUSED_PAD src0_sel:WORD_1
	v_pk_fma_f32 v[8:9], v[10:11], v[14:15], v[8:9] op_sel_hi:[0,1,1]
	v_mov_b32_e32 v6, v11
	v_pk_fma_f32 v[8:9], v[6:7], v[16:17], v[8:9] op_sel_hi:[0,1,1]
	s_waitcnt lgkmcnt(0)
	v_pk_fma_f32 v[4:5], v[4:5], v[12:13], v[8:9] op_sel_hi:[0,1,1]
	v_div_scale_f32 v6, s[10:11], v7, v7, v5
	v_rcp_f32_e32 v8, v6
	v_mad_u64_u32 v[2:3], s[10:11], v2, 48, v[30:31]
	v_ashrrev_i32_e32 v3, 31, v2
	v_fma_f32 v9, -v6, v8, 1.0
	v_fmac_f32_e32 v8, v9, v8
	v_div_scale_f32 v9, vcc, v5, v7, v5
	v_mul_f32_e32 v10, v9, v8
	v_fma_f32 v11, -v6, v10, v9
	v_fmac_f32_e32 v10, v11, v8
	v_fma_f32 v6, -v6, v10, v9
	v_div_scale_f32 v9, s[10:11], v7, v7, v4
	v_rcp_f32_e32 v11, v9
	v_div_fmas_f32 v6, v6, v8, v10
	v_div_fixup_f32 v5, v6, v7, v5
	v_lshl_add_u64 v[2:3], v[2:3], 3, s[74:75]
	v_fma_f32 v6, -v9, v11, 1.0
	v_fmac_f32_e32 v11, v6, v11
	v_div_scale_f32 v6, vcc, v4, v7, v4
	v_mul_f32_e32 v8, v6, v11
	v_fma_f32 v10, -v9, v8, v6
	v_fmac_f32_e32 v8, v10, v11
	v_fma_f32 v6, -v9, v8, v6
	v_div_fmas_f32 v6, v6, v11, v8
	v_div_fixup_f32 v4, v6, v7, v4
	global_store_dwordx2 v[2:3], v[4:5], off
	v_mov_b32_e32 v2, 0
.LBB14_138:                             ;   in Loop: Header=BB14_12 Depth=1
	s_or_b64 exec, exec, s[12:13]
	s_movk_i32 s10, 0x47
	v_cmp_gt_i32_e32 vcc, s10, v2
	s_mov_b64 s[12:13], -1
	s_and_saveexec_b64 s[80:81], vcc
; %bb.139:                              ;   in Loop: Header=BB14_12 Depth=1
	v_cmp_eq_u32_e32 vcc, 0, v2
	s_orn2_b64 s[12:13], vcc, exec
; %bb.140:                              ;   in Loop: Header=BB14_12 Depth=1
	s_or_b64 exec, exec, s[80:81]
	s_and_b64 exec, exec, s[12:13]
	s_cbranch_execz .LBB14_168
; %bb.141:                              ;   in Loop: Header=BB14_12 Depth=1
	v_add_u32_e32 v3, s84, v117
	v_cmp_gt_i32_e32 vcc, s36, v3
	s_and_b64 s[10:11], vcc, s[8:9]
	v_mov_b32_e32 v2, 0x47
	s_and_saveexec_b64 s[12:13], s[10:11]
	s_cbranch_execz .LBB14_143
; %bb.142:                              ;   in Loop: Header=BB14_12 Depth=1
	v_add_u32_e32 v12, v133, v118
	v_add_u32_e32 v14, 0, v118
	ds_read2st64_b32 v[4:5], v12 offset1:13
	ds_read2_b32 v[6:7], v14 offset0:48 offset1:49
	v_mad_u64_u32 v[2:3], s[10:11], v3, s37, v[70:71]
	v_add_u32_e32 v3, 0xc0, v14
	s_waitcnt lgkmcnt(1)
	v_cvt_f32_f16_e32 v8, v4
	v_cvt_f32_f16_sdwa v9, v4 dst_sel:DWORD dst_unused:UNUSED_PAD src0_sel:WORD_1
	ds_read2st64_b32 v[10:11], v3 offset0:13 offset1:26
	ds_read2st64_b32 v[12:13], v12 offset0:26 offset1:39
	ds_read_b32 v4, v14 offset:10176
	v_cvt_f32_f16_e32 v14, v5
	v_cvt_f32_f16_sdwa v15, v5 dst_sel:DWORD dst_unused:UNUSED_PAD src0_sel:WORD_1
	s_waitcnt lgkmcnt(3)
	v_pk_fma_f32 v[8:9], v[6:7], v[8:9], 0 op_sel_hi:[0,1,0]
	s_waitcnt lgkmcnt(1)
	v_cvt_f32_f16_e32 v16, v12
	v_cvt_f32_f16_sdwa v17, v12 dst_sel:DWORD dst_unused:UNUSED_PAD src0_sel:WORD_1
	v_cvt_f32_f16_e32 v12, v13
	v_cvt_f32_f16_sdwa v13, v13 dst_sel:DWORD dst_unused:UNUSED_PAD src0_sel:WORD_1
	v_pk_fma_f32 v[8:9], v[10:11], v[14:15], v[8:9] op_sel_hi:[0,1,1]
	v_mov_b32_e32 v6, v11
	v_pk_fma_f32 v[8:9], v[6:7], v[16:17], v[8:9] op_sel_hi:[0,1,1]
	s_waitcnt lgkmcnt(0)
	v_pk_fma_f32 v[4:5], v[4:5], v[12:13], v[8:9] op_sel_hi:[0,1,1]
	v_div_scale_f32 v6, s[10:11], v7, v7, v5
	v_rcp_f32_e32 v8, v6
	v_mad_u64_u32 v[2:3], s[10:11], v2, 48, v[30:31]
	v_ashrrev_i32_e32 v3, 31, v2
	v_fma_f32 v9, -v6, v8, 1.0
	v_fmac_f32_e32 v8, v9, v8
	v_div_scale_f32 v9, vcc, v5, v7, v5
	v_mul_f32_e32 v10, v9, v8
	v_fma_f32 v11, -v6, v10, v9
	v_fmac_f32_e32 v10, v11, v8
	v_fma_f32 v6, -v6, v10, v9
	v_div_scale_f32 v9, s[10:11], v7, v7, v4
	v_rcp_f32_e32 v11, v9
	v_div_fmas_f32 v6, v6, v8, v10
	v_div_fixup_f32 v5, v6, v7, v5
	v_lshl_add_u64 v[2:3], v[2:3], 3, s[74:75]
	v_fma_f32 v6, -v9, v11, 1.0
	v_fmac_f32_e32 v11, v6, v11
	v_div_scale_f32 v6, vcc, v4, v7, v4
	v_mul_f32_e32 v8, v6, v11
	v_fma_f32 v10, -v9, v8, v6
	v_fmac_f32_e32 v8, v10, v11
	v_fma_f32 v6, -v9, v8, v6
	v_div_fmas_f32 v6, v6, v11, v8
	v_div_fixup_f32 v4, v6, v7, v4
	global_store_dwordx2 v[2:3], v[4:5], off
	v_mov_b32_e32 v2, 0
.LBB14_143:                             ;   in Loop: Header=BB14_12 Depth=1
	s_or_b64 exec, exec, s[12:13]
	s_movk_i32 s10, 0x47
	v_cmp_gt_i32_e32 vcc, s10, v2
	s_mov_b64 s[12:13], -1
	s_and_saveexec_b64 s[80:81], vcc
; %bb.144:                              ;   in Loop: Header=BB14_12 Depth=1
	v_cmp_eq_u32_e32 vcc, 0, v2
	s_orn2_b64 s[12:13], vcc, exec
; %bb.145:                              ;   in Loop: Header=BB14_12 Depth=1
	s_or_b64 exec, exec, s[80:81]
	s_and_b64 exec, exec, s[12:13]
	s_cbranch_execz .LBB14_168
; %bb.146:                              ;   in Loop: Header=BB14_12 Depth=1
	v_add_u32_e32 v3, s84, v142
	v_or_b32_e32 v2, s65, v74
	v_cmp_gt_i32_e32 vcc, s36, v3
	v_cmp_gt_i32_e64 s[12:13], s3, v2
	s_and_b64 s[10:11], vcc, s[12:13]
	v_mov_b32_e32 v2, 0x47
	s_and_saveexec_b64 s[12:13], s[10:11]
	s_cbranch_execz .LBB14_148
; %bb.147:                              ;   in Loop: Header=BB14_12 Depth=1
	v_add_u32_e32 v12, v133, v119
	v_add_u32_e32 v14, 0, v119
	ds_read2st64_b32 v[4:5], v12 offset1:13
	ds_read2_b32 v[6:7], v14 offset0:48 offset1:49
	v_mad_u64_u32 v[2:3], s[10:11], v3, s37, v[74:75]
	v_add_u32_e32 v3, 0xc0, v14
	s_waitcnt lgkmcnt(1)
	v_cvt_f32_f16_e32 v8, v4
	v_cvt_f32_f16_sdwa v9, v4 dst_sel:DWORD dst_unused:UNUSED_PAD src0_sel:WORD_1
	ds_read2st64_b32 v[10:11], v3 offset0:13 offset1:26
	ds_read2st64_b32 v[12:13], v12 offset0:26 offset1:39
	ds_read_b32 v4, v14 offset:10176
	v_cvt_f32_f16_e32 v14, v5
	v_cvt_f32_f16_sdwa v15, v5 dst_sel:DWORD dst_unused:UNUSED_PAD src0_sel:WORD_1
	s_waitcnt lgkmcnt(3)
	v_pk_fma_f32 v[8:9], v[6:7], v[8:9], 0 op_sel_hi:[0,1,0]
	s_waitcnt lgkmcnt(1)
	v_cvt_f32_f16_e32 v16, v12
	v_cvt_f32_f16_sdwa v17, v12 dst_sel:DWORD dst_unused:UNUSED_PAD src0_sel:WORD_1
	v_cvt_f32_f16_e32 v12, v13
	v_cvt_f32_f16_sdwa v13, v13 dst_sel:DWORD dst_unused:UNUSED_PAD src0_sel:WORD_1
	v_pk_fma_f32 v[8:9], v[10:11], v[14:15], v[8:9] op_sel_hi:[0,1,1]
	v_mov_b32_e32 v6, v11
	v_pk_fma_f32 v[8:9], v[6:7], v[16:17], v[8:9] op_sel_hi:[0,1,1]
	s_waitcnt lgkmcnt(0)
	v_pk_fma_f32 v[4:5], v[4:5], v[12:13], v[8:9] op_sel_hi:[0,1,1]
	v_div_scale_f32 v6, s[10:11], v7, v7, v5
	v_rcp_f32_e32 v8, v6
	v_mad_u64_u32 v[2:3], s[10:11], v2, 48, v[30:31]
	v_ashrrev_i32_e32 v3, 31, v2
	v_fma_f32 v9, -v6, v8, 1.0
	v_fmac_f32_e32 v8, v9, v8
	v_div_scale_f32 v9, vcc, v5, v7, v5
	v_mul_f32_e32 v10, v9, v8
	v_fma_f32 v11, -v6, v10, v9
	v_fmac_f32_e32 v10, v11, v8
	v_fma_f32 v6, -v6, v10, v9
	v_div_scale_f32 v9, s[10:11], v7, v7, v4
	v_rcp_f32_e32 v11, v9
	v_div_fmas_f32 v6, v6, v8, v10
	v_div_fixup_f32 v5, v6, v7, v5
	v_lshl_add_u64 v[2:3], v[2:3], 3, s[74:75]
	v_fma_f32 v6, -v9, v11, 1.0
	v_fmac_f32_e32 v11, v6, v11
	v_div_scale_f32 v6, vcc, v4, v7, v4
	v_mul_f32_e32 v8, v6, v11
	v_fma_f32 v10, -v9, v8, v6
	v_fmac_f32_e32 v8, v10, v11
	v_fma_f32 v6, -v9, v8, v6
	v_div_fmas_f32 v6, v6, v11, v8
	v_div_fixup_f32 v4, v6, v7, v4
	global_store_dwordx2 v[2:3], v[4:5], off
	v_mov_b32_e32 v2, 0
.LBB14_148:                             ;   in Loop: Header=BB14_12 Depth=1
	s_or_b64 exec, exec, s[12:13]
	s_movk_i32 s10, 0x47
	v_cmp_gt_i32_e32 vcc, s10, v2
	s_mov_b64 s[12:13], -1
	s_and_saveexec_b64 s[80:81], vcc
; %bb.149:                              ;   in Loop: Header=BB14_12 Depth=1
	v_cmp_eq_u32_e32 vcc, 0, v2
	s_orn2_b64 s[12:13], vcc, exec
; %bb.150:                              ;   in Loop: Header=BB14_12 Depth=1
	s_or_b64 exec, exec, s[80:81]
	s_and_b64 exec, exec, s[12:13]
	s_cbranch_execz .LBB14_168
; %bb.151:                              ;   in Loop: Header=BB14_12 Depth=1
	v_add_u32_e32 v3, s84, v120
	v_cmp_gt_i32_e32 vcc, s36, v3
	s_and_b64 s[10:11], vcc, s[8:9]
	v_mov_b32_e32 v2, 0x47
	s_and_saveexec_b64 s[12:13], s[10:11]
	s_cbranch_execz .LBB14_153
; %bb.152:                              ;   in Loop: Header=BB14_12 Depth=1
	v_add_u32_e32 v12, v133, v121
	v_add_u32_e32 v14, 0, v121
	ds_read2st64_b32 v[4:5], v12 offset1:13
	ds_read2_b32 v[6:7], v14 offset0:48 offset1:49
	v_mad_u64_u32 v[2:3], s[10:11], v3, s37, v[70:71]
	v_add_u32_e32 v3, 0xc0, v14
	s_waitcnt lgkmcnt(1)
	v_cvt_f32_f16_e32 v8, v4
	v_cvt_f32_f16_sdwa v9, v4 dst_sel:DWORD dst_unused:UNUSED_PAD src0_sel:WORD_1
	ds_read2st64_b32 v[10:11], v3 offset0:13 offset1:26
	ds_read2st64_b32 v[12:13], v12 offset0:26 offset1:39
	ds_read_b32 v4, v14 offset:10176
	v_cvt_f32_f16_e32 v14, v5
	v_cvt_f32_f16_sdwa v15, v5 dst_sel:DWORD dst_unused:UNUSED_PAD src0_sel:WORD_1
	s_waitcnt lgkmcnt(3)
	v_pk_fma_f32 v[8:9], v[6:7], v[8:9], 0 op_sel_hi:[0,1,0]
	s_waitcnt lgkmcnt(1)
	v_cvt_f32_f16_e32 v16, v12
	v_cvt_f32_f16_sdwa v17, v12 dst_sel:DWORD dst_unused:UNUSED_PAD src0_sel:WORD_1
	v_cvt_f32_f16_e32 v12, v13
	v_cvt_f32_f16_sdwa v13, v13 dst_sel:DWORD dst_unused:UNUSED_PAD src0_sel:WORD_1
	v_pk_fma_f32 v[8:9], v[10:11], v[14:15], v[8:9] op_sel_hi:[0,1,1]
	v_mov_b32_e32 v6, v11
	v_pk_fma_f32 v[8:9], v[6:7], v[16:17], v[8:9] op_sel_hi:[0,1,1]
	s_waitcnt lgkmcnt(0)
	v_pk_fma_f32 v[4:5], v[4:5], v[12:13], v[8:9] op_sel_hi:[0,1,1]
	v_div_scale_f32 v6, s[10:11], v7, v7, v5
	v_rcp_f32_e32 v8, v6
	v_mad_u64_u32 v[2:3], s[10:11], v2, 48, v[30:31]
	v_ashrrev_i32_e32 v3, 31, v2
	v_fma_f32 v9, -v6, v8, 1.0
	v_fmac_f32_e32 v8, v9, v8
	v_div_scale_f32 v9, vcc, v5, v7, v5
	v_mul_f32_e32 v10, v9, v8
	v_fma_f32 v11, -v6, v10, v9
	v_fmac_f32_e32 v10, v11, v8
	v_fma_f32 v6, -v6, v10, v9
	v_div_scale_f32 v9, s[10:11], v7, v7, v4
	v_rcp_f32_e32 v11, v9
	v_div_fmas_f32 v6, v6, v8, v10
	v_div_fixup_f32 v5, v6, v7, v5
	v_lshl_add_u64 v[2:3], v[2:3], 3, s[74:75]
	v_fma_f32 v6, -v9, v11, 1.0
	v_fmac_f32_e32 v11, v6, v11
	v_div_scale_f32 v6, vcc, v4, v7, v4
	v_mul_f32_e32 v8, v6, v11
	v_fma_f32 v10, -v9, v8, v6
	v_fmac_f32_e32 v8, v10, v11
	v_fma_f32 v6, -v9, v8, v6
	v_div_fmas_f32 v6, v6, v11, v8
	v_div_fixup_f32 v4, v6, v7, v4
	global_store_dwordx2 v[2:3], v[4:5], off
	v_mov_b32_e32 v2, 0
.LBB14_153:                             ;   in Loop: Header=BB14_12 Depth=1
	s_or_b64 exec, exec, s[12:13]
	s_movk_i32 s10, 0x47
	v_cmp_gt_i32_e32 vcc, s10, v2
	s_mov_b64 s[12:13], -1
	s_and_saveexec_b64 s[80:81], vcc
; %bb.154:                              ;   in Loop: Header=BB14_12 Depth=1
	v_cmp_eq_u32_e32 vcc, 0, v2
	s_orn2_b64 s[12:13], vcc, exec
; %bb.155:                              ;   in Loop: Header=BB14_12 Depth=1
	s_or_b64 exec, exec, s[80:81]
	s_and_b64 exec, exec, s[12:13]
	s_cbranch_execz .LBB14_168
; %bb.156:                              ;   in Loop: Header=BB14_12 Depth=1
	v_add_u32_e32 v3, s84, v143
	v_or_b32_e32 v2, s65, v76
	v_cmp_gt_i32_e32 vcc, s36, v3
	v_cmp_gt_i32_e64 s[12:13], s3, v2
	s_and_b64 s[10:11], vcc, s[12:13]
	v_mov_b32_e32 v2, 0x47
	s_and_saveexec_b64 s[12:13], s[10:11]
	s_cbranch_execz .LBB14_158
; %bb.157:                              ;   in Loop: Header=BB14_12 Depth=1
	v_add_u32_e32 v12, v133, v122
	v_add_u32_e32 v14, 0, v122
	ds_read2st64_b32 v[4:5], v12 offset1:13
	ds_read2_b32 v[6:7], v14 offset0:48 offset1:49
	v_mad_u64_u32 v[2:3], s[10:11], v3, s37, v[76:77]
	v_add_u32_e32 v3, 0xc0, v14
	s_waitcnt lgkmcnt(1)
	v_cvt_f32_f16_e32 v8, v4
	v_cvt_f32_f16_sdwa v9, v4 dst_sel:DWORD dst_unused:UNUSED_PAD src0_sel:WORD_1
	ds_read2st64_b32 v[10:11], v3 offset0:13 offset1:26
	ds_read2st64_b32 v[12:13], v12 offset0:26 offset1:39
	ds_read_b32 v4, v14 offset:10176
	v_cvt_f32_f16_e32 v14, v5
	v_cvt_f32_f16_sdwa v15, v5 dst_sel:DWORD dst_unused:UNUSED_PAD src0_sel:WORD_1
	s_waitcnt lgkmcnt(3)
	v_pk_fma_f32 v[8:9], v[6:7], v[8:9], 0 op_sel_hi:[0,1,0]
	s_waitcnt lgkmcnt(1)
	v_cvt_f32_f16_e32 v16, v12
	v_cvt_f32_f16_sdwa v17, v12 dst_sel:DWORD dst_unused:UNUSED_PAD src0_sel:WORD_1
	v_cvt_f32_f16_e32 v12, v13
	v_cvt_f32_f16_sdwa v13, v13 dst_sel:DWORD dst_unused:UNUSED_PAD src0_sel:WORD_1
	v_pk_fma_f32 v[8:9], v[10:11], v[14:15], v[8:9] op_sel_hi:[0,1,1]
	v_mov_b32_e32 v6, v11
	v_pk_fma_f32 v[8:9], v[6:7], v[16:17], v[8:9] op_sel_hi:[0,1,1]
	s_waitcnt lgkmcnt(0)
	v_pk_fma_f32 v[4:5], v[4:5], v[12:13], v[8:9] op_sel_hi:[0,1,1]
	v_div_scale_f32 v6, s[10:11], v7, v7, v5
	v_rcp_f32_e32 v8, v6
	v_mad_u64_u32 v[2:3], s[10:11], v2, 48, v[30:31]
	v_ashrrev_i32_e32 v3, 31, v2
	v_fma_f32 v9, -v6, v8, 1.0
	v_fmac_f32_e32 v8, v9, v8
	v_div_scale_f32 v9, vcc, v5, v7, v5
	v_mul_f32_e32 v10, v9, v8
	v_fma_f32 v11, -v6, v10, v9
	v_fmac_f32_e32 v10, v11, v8
	v_fma_f32 v6, -v6, v10, v9
	v_div_scale_f32 v9, s[10:11], v7, v7, v4
	v_rcp_f32_e32 v11, v9
	v_div_fmas_f32 v6, v6, v8, v10
	v_div_fixup_f32 v5, v6, v7, v5
	v_lshl_add_u64 v[2:3], v[2:3], 3, s[74:75]
	v_fma_f32 v6, -v9, v11, 1.0
	v_fmac_f32_e32 v11, v6, v11
	v_div_scale_f32 v6, vcc, v4, v7, v4
	v_mul_f32_e32 v8, v6, v11
	v_fma_f32 v10, -v9, v8, v6
	v_fmac_f32_e32 v8, v10, v11
	v_fma_f32 v6, -v9, v8, v6
	v_div_fmas_f32 v6, v6, v11, v8
	v_div_fixup_f32 v4, v6, v7, v4
	global_store_dwordx2 v[2:3], v[4:5], off
	v_mov_b32_e32 v2, 0
.LBB14_158:                             ;   in Loop: Header=BB14_12 Depth=1
	s_or_b64 exec, exec, s[12:13]
	s_movk_i32 s10, 0x47
	v_cmp_gt_i32_e32 vcc, s10, v2
	s_mov_b64 s[12:13], -1
	s_and_saveexec_b64 s[80:81], vcc
; %bb.159:                              ;   in Loop: Header=BB14_12 Depth=1
	v_cmp_eq_u32_e32 vcc, 0, v2
	s_orn2_b64 s[12:13], vcc, exec
; %bb.160:                              ;   in Loop: Header=BB14_12 Depth=1
	s_or_b64 exec, exec, s[80:81]
	s_and_b64 exec, exec, s[12:13]
	s_cbranch_execz .LBB14_168
; %bb.161:                              ;   in Loop: Header=BB14_12 Depth=1
	v_add_u32_e32 v3, s84, v123
	v_cmp_gt_i32_e32 vcc, s36, v3
	s_and_b64 s[10:11], vcc, s[8:9]
	v_mov_b32_e32 v2, 0x47
	s_and_saveexec_b64 s[8:9], s[10:11]
	s_cbranch_execz .LBB14_163
; %bb.162:                              ;   in Loop: Header=BB14_12 Depth=1
	v_add_u32_e32 v12, v133, v124
	v_add_u32_e32 v14, 0, v124
	ds_read2st64_b32 v[4:5], v12 offset1:13
	ds_read2_b32 v[6:7], v14 offset0:48 offset1:49
	v_mad_u64_u32 v[2:3], s[10:11], v3, s37, v[70:71]
	v_add_u32_e32 v3, 0xc0, v14
	s_waitcnt lgkmcnt(1)
	v_cvt_f32_f16_e32 v8, v4
	v_cvt_f32_f16_sdwa v9, v4 dst_sel:DWORD dst_unused:UNUSED_PAD src0_sel:WORD_1
	ds_read2st64_b32 v[10:11], v3 offset0:13 offset1:26
	ds_read2st64_b32 v[12:13], v12 offset0:26 offset1:39
	ds_read_b32 v4, v14 offset:10176
	v_cvt_f32_f16_e32 v14, v5
	v_cvt_f32_f16_sdwa v15, v5 dst_sel:DWORD dst_unused:UNUSED_PAD src0_sel:WORD_1
	s_waitcnt lgkmcnt(3)
	v_pk_fma_f32 v[8:9], v[6:7], v[8:9], 0 op_sel_hi:[0,1,0]
	s_waitcnt lgkmcnt(1)
	v_cvt_f32_f16_e32 v16, v12
	v_cvt_f32_f16_sdwa v17, v12 dst_sel:DWORD dst_unused:UNUSED_PAD src0_sel:WORD_1
	v_cvt_f32_f16_e32 v12, v13
	v_cvt_f32_f16_sdwa v13, v13 dst_sel:DWORD dst_unused:UNUSED_PAD src0_sel:WORD_1
	v_pk_fma_f32 v[8:9], v[10:11], v[14:15], v[8:9] op_sel_hi:[0,1,1]
	v_mov_b32_e32 v6, v11
	v_pk_fma_f32 v[8:9], v[6:7], v[16:17], v[8:9] op_sel_hi:[0,1,1]
	s_waitcnt lgkmcnt(0)
	v_pk_fma_f32 v[4:5], v[4:5], v[12:13], v[8:9] op_sel_hi:[0,1,1]
	v_div_scale_f32 v6, s[10:11], v7, v7, v5
	v_rcp_f32_e32 v8, v6
	v_mad_u64_u32 v[2:3], s[10:11], v2, 48, v[30:31]
	v_ashrrev_i32_e32 v3, 31, v2
	v_fma_f32 v9, -v6, v8, 1.0
	v_fmac_f32_e32 v8, v9, v8
	v_div_scale_f32 v9, vcc, v5, v7, v5
	v_mul_f32_e32 v10, v9, v8
	v_fma_f32 v11, -v6, v10, v9
	v_fmac_f32_e32 v10, v11, v8
	v_fma_f32 v6, -v6, v10, v9
	v_div_scale_f32 v9, s[10:11], v7, v7, v4
	v_rcp_f32_e32 v11, v9
	v_div_fmas_f32 v6, v6, v8, v10
	v_div_fixup_f32 v5, v6, v7, v5
	v_lshl_add_u64 v[2:3], v[2:3], 3, s[74:75]
	v_fma_f32 v6, -v9, v11, 1.0
	v_fmac_f32_e32 v11, v6, v11
	v_div_scale_f32 v6, vcc, v4, v7, v4
	v_mul_f32_e32 v8, v6, v11
	v_fma_f32 v10, -v9, v8, v6
	v_fmac_f32_e32 v8, v10, v11
	v_fma_f32 v6, -v9, v8, v6
	v_div_fmas_f32 v6, v6, v11, v8
	v_div_fixup_f32 v4, v6, v7, v4
	global_store_dwordx2 v[2:3], v[4:5], off
	v_mov_b32_e32 v2, 0
.LBB14_163:                             ;   in Loop: Header=BB14_12 Depth=1
	s_or_b64 exec, exec, s[8:9]
	s_movk_i32 s8, 0x47
	v_cmp_gt_i32_e32 vcc, s8, v2
	s_mov_b64 s[8:9], -1
	s_and_saveexec_b64 s[12:13], vcc
; %bb.164:                              ;   in Loop: Header=BB14_12 Depth=1
	v_cmp_eq_u32_e32 vcc, 0, v2
	s_orn2_b64 s[8:9], vcc, exec
; %bb.165:                              ;   in Loop: Header=BB14_12 Depth=1
	s_or_b64 exec, exec, s[12:13]
	s_and_b64 exec, exec, s[8:9]
	s_cbranch_execz .LBB14_168
; %bb.166:                              ;   in Loop: Header=BB14_12 Depth=1
	v_add_u32_e32 v2, s84, v144
	v_or_b32_e32 v3, s65, v78
	v_cmp_gt_i32_e32 vcc, s36, v2
	v_cmp_gt_i32_e64 s[8:9], s3, v3
	s_and_b64 s[8:9], vcc, s[8:9]
	s_and_b64 exec, exec, s[8:9]
	s_cbranch_execz .LBB14_168
; %bb.167:                              ;   in Loop: Header=BB14_12 Depth=1
	v_add_u32_e32 v12, v133, v125
	v_add_u32_e32 v14, 0, v125
	ds_read2st64_b32 v[4:5], v12 offset1:13
	ds_read2_b32 v[6:7], v14 offset0:48 offset1:49
	v_mad_u64_u32 v[2:3], s[8:9], v2, s37, v[78:79]
	v_add_u32_e32 v3, 0xc0, v14
	s_waitcnt lgkmcnt(1)
	v_cvt_f32_f16_e32 v8, v4
	v_cvt_f32_f16_sdwa v9, v4 dst_sel:DWORD dst_unused:UNUSED_PAD src0_sel:WORD_1
	ds_read2st64_b32 v[10:11], v3 offset0:13 offset1:26
	ds_read2st64_b32 v[12:13], v12 offset0:26 offset1:39
	ds_read_b32 v4, v14 offset:10176
	v_cvt_f32_f16_e32 v14, v5
	v_cvt_f32_f16_sdwa v15, v5 dst_sel:DWORD dst_unused:UNUSED_PAD src0_sel:WORD_1
	s_waitcnt lgkmcnt(3)
	v_pk_fma_f32 v[8:9], v[6:7], v[8:9], 0 op_sel_hi:[0,1,0]
	s_waitcnt lgkmcnt(1)
	v_cvt_f32_f16_e32 v16, v12
	v_cvt_f32_f16_sdwa v17, v12 dst_sel:DWORD dst_unused:UNUSED_PAD src0_sel:WORD_1
	v_cvt_f32_f16_e32 v12, v13
	v_cvt_f32_f16_sdwa v13, v13 dst_sel:DWORD dst_unused:UNUSED_PAD src0_sel:WORD_1
	v_pk_fma_f32 v[8:9], v[10:11], v[14:15], v[8:9] op_sel_hi:[0,1,1]
	v_mov_b32_e32 v6, v11
	v_pk_fma_f32 v[8:9], v[6:7], v[16:17], v[8:9] op_sel_hi:[0,1,1]
	s_waitcnt lgkmcnt(0)
	v_pk_fma_f32 v[4:5], v[4:5], v[12:13], v[8:9] op_sel_hi:[0,1,1]
	v_div_scale_f32 v6, s[8:9], v7, v7, v5
	v_rcp_f32_e32 v8, v6
	v_mad_u64_u32 v[2:3], s[8:9], v2, 48, v[30:31]
	v_ashrrev_i32_e32 v3, 31, v2
	v_fma_f32 v9, -v6, v8, 1.0
	v_fmac_f32_e32 v8, v9, v8
	v_div_scale_f32 v9, vcc, v5, v7, v5
	v_mul_f32_e32 v10, v9, v8
	v_fma_f32 v11, -v6, v10, v9
	v_fmac_f32_e32 v10, v11, v8
	v_fma_f32 v6, -v6, v10, v9
	v_div_scale_f32 v9, s[8:9], v7, v7, v4
	v_rcp_f32_e32 v11, v9
	v_div_fmas_f32 v6, v6, v8, v10
	v_div_fixup_f32 v5, v6, v7, v5
	v_lshl_add_u64 v[2:3], v[2:3], 3, s[74:75]
	v_fma_f32 v6, -v9, v11, 1.0
	v_fmac_f32_e32 v11, v6, v11
	v_div_scale_f32 v6, vcc, v4, v7, v4
	v_mul_f32_e32 v8, v6, v11
	v_fma_f32 v10, -v9, v8, v6
	v_fmac_f32_e32 v8, v10, v11
	v_fma_f32 v6, -v9, v8, v6
	v_div_fmas_f32 v6, v6, v11, v8
	v_div_fixup_f32 v4, v6, v7, v4
	global_store_dwordx2 v[2:3], v[4:5], off
.LBB14_168:                             ;   in Loop: Header=BB14_12 Depth=1
	s_or_b64 exec, exec, s[78:79]
	v_add_u32_e32 v3, s84, v137
	v_or_b32_e32 v2, s65, v68
	v_cmp_gt_i32_e32 vcc, s36, v3
	v_cmp_gt_i32_e64 s[8:9], s3, v2
	s_and_b64 s[10:11], vcc, s[8:9]
	v_mov_b32_e32 v2, 0x47
	s_and_saveexec_b64 s[12:13], s[10:11]
	s_cbranch_execz .LBB14_170
; %bb.169:                              ;   in Loop: Header=BB14_12 Depth=1
	v_add_u32_e32 v2, v110, v126
	v_add_u32_e32 v10, 0x80, v2
	ds_read2st64_b32 v[6:7], v10 offset1:13
	v_add_u32_e32 v12, 0, v126
	v_mad_u64_u32 v[2:3], s[10:11], v3, s37, v[68:69]
	v_add_u32_e32 v8, 0xc0, v12
	ds_read2_b32 v[4:5], v12 offset0:48 offset1:49
	v_mul_lo_u32 v16, v2, 48
	s_waitcnt lgkmcnt(1)
	v_cvt_f32_f16_e32 v2, v6
	v_cvt_f32_f16_sdwa v3, v6 dst_sel:DWORD dst_unused:UNUSED_PAD src0_sel:WORD_1
	ds_read2st64_b32 v[8:9], v8 offset0:13 offset1:26
	ds_read2st64_b32 v[10:11], v10 offset0:26 offset1:39
	ds_read_b32 v6, v12 offset:10176
	v_cvt_f32_f16_e32 v12, v7
	v_cvt_f32_f16_sdwa v13, v7 dst_sel:DWORD dst_unused:UNUSED_PAD src0_sel:WORD_1
	s_waitcnt lgkmcnt(3)
	v_pk_fma_f32 v[2:3], v[4:5], v[2:3], 0 op_sel_hi:[0,1,0]
	s_waitcnt lgkmcnt(1)
	v_cvt_f32_f16_e32 v14, v10
	v_cvt_f32_f16_sdwa v15, v10 dst_sel:DWORD dst_unused:UNUSED_PAD src0_sel:WORD_1
	v_cvt_f32_f16_e32 v10, v11
	v_cvt_f32_f16_sdwa v11, v11 dst_sel:DWORD dst_unused:UNUSED_PAD src0_sel:WORD_1
	v_pk_fma_f32 v[2:3], v[8:9], v[12:13], v[2:3] op_sel_hi:[0,1,1]
	v_mov_b32_e32 v4, v9
	v_pk_fma_f32 v[2:3], v[4:5], v[14:15], v[2:3] op_sel_hi:[0,1,1]
	s_waitcnt lgkmcnt(0)
	v_pk_fma_f32 v[2:3], v[6:7], v[10:11], v[2:3] op_sel_hi:[0,1,1]
	v_div_scale_f32 v4, s[10:11], v5, v5, v3
	v_rcp_f32_e32 v8, v4
	v_ashrrev_i32_e32 v7, 31, v16
	v_or_b32_e32 v6, v16, v32
	v_lshl_add_u64 v[6:7], v[6:7], 3, s[74:75]
	v_fma_f32 v9, -v4, v8, 1.0
	v_fmac_f32_e32 v8, v9, v8
	v_div_scale_f32 v9, vcc, v3, v5, v3
	v_mul_f32_e32 v10, v9, v8
	v_fma_f32 v11, -v4, v10, v9
	v_fmac_f32_e32 v10, v11, v8
	v_fma_f32 v4, -v4, v10, v9
	v_div_scale_f32 v9, s[10:11], v5, v5, v2
	v_rcp_f32_e32 v11, v9
	v_div_fmas_f32 v4, v4, v8, v10
	v_div_fixup_f32 v3, v4, v5, v3
	v_fma_f32 v4, -v9, v11, 1.0
	v_fmac_f32_e32 v11, v4, v11
	v_div_scale_f32 v4, vcc, v2, v5, v2
	v_mul_f32_e32 v8, v4, v11
	v_fma_f32 v10, -v9, v8, v4
	v_fmac_f32_e32 v8, v10, v11
	v_fma_f32 v4, -v9, v8, v4
	v_div_fmas_f32 v4, v4, v11, v8
	v_div_fixup_f32 v2, v4, v5, v2
	global_store_dwordx2 v[6:7], v[2:3], off offset:256
	v_mov_b32_e32 v2, 0
.LBB14_170:                             ;   in Loop: Header=BB14_12 Depth=1
	s_or_b64 exec, exec, s[12:13]
	s_movk_i32 s10, 0x47
	v_cmp_gt_i32_e32 vcc, s10, v2
	s_mov_b64 s[12:13], -1
	s_and_saveexec_b64 s[78:79], vcc
; %bb.171:                              ;   in Loop: Header=BB14_12 Depth=1
	v_cmp_eq_u32_e32 vcc, 0, v2
	s_orn2_b64 s[12:13], vcc, exec
; %bb.172:                              ;   in Loop: Header=BB14_12 Depth=1
	s_or_b64 exec, exec, s[78:79]
	s_and_b64 exec, exec, s[12:13]
	s_cbranch_execz .LBB14_10
; %bb.173:                              ;   in Loop: Header=BB14_12 Depth=1
	v_add_u32_e32 v3, s84, v127
	v_cmp_gt_i32_e32 vcc, s36, v3
	s_and_b64 s[10:11], vcc, s[8:9]
	v_mov_b32_e32 v2, 0x47
	s_and_saveexec_b64 s[12:13], s[10:11]
	s_cbranch_execz .LBB14_175
; %bb.174:                              ;   in Loop: Header=BB14_12 Depth=1
	v_add_u32_e32 v2, v110, v128
	v_add_u32_e32 v10, 0x80, v2
	ds_read2st64_b32 v[6:7], v10 offset1:13
	v_add_u32_e32 v12, 0, v128
	v_mad_u64_u32 v[2:3], s[10:11], v3, s37, v[68:69]
	v_add_u32_e32 v8, 0xc0, v12
	ds_read2_b32 v[4:5], v12 offset0:48 offset1:49
	v_mul_lo_u32 v16, v2, 48
	s_waitcnt lgkmcnt(1)
	v_cvt_f32_f16_e32 v2, v6
	v_cvt_f32_f16_sdwa v3, v6 dst_sel:DWORD dst_unused:UNUSED_PAD src0_sel:WORD_1
	ds_read2st64_b32 v[8:9], v8 offset0:13 offset1:26
	ds_read2st64_b32 v[10:11], v10 offset0:26 offset1:39
	ds_read_b32 v6, v12 offset:10176
	v_cvt_f32_f16_e32 v12, v7
	v_cvt_f32_f16_sdwa v13, v7 dst_sel:DWORD dst_unused:UNUSED_PAD src0_sel:WORD_1
	s_waitcnt lgkmcnt(3)
	v_pk_fma_f32 v[2:3], v[4:5], v[2:3], 0 op_sel_hi:[0,1,0]
	s_waitcnt lgkmcnt(1)
	v_cvt_f32_f16_e32 v14, v10
	v_cvt_f32_f16_sdwa v15, v10 dst_sel:DWORD dst_unused:UNUSED_PAD src0_sel:WORD_1
	v_cvt_f32_f16_e32 v10, v11
	v_cvt_f32_f16_sdwa v11, v11 dst_sel:DWORD dst_unused:UNUSED_PAD src0_sel:WORD_1
	v_pk_fma_f32 v[2:3], v[8:9], v[12:13], v[2:3] op_sel_hi:[0,1,1]
	v_mov_b32_e32 v4, v9
	v_pk_fma_f32 v[2:3], v[4:5], v[14:15], v[2:3] op_sel_hi:[0,1,1]
	s_waitcnt lgkmcnt(0)
	v_pk_fma_f32 v[2:3], v[6:7], v[10:11], v[2:3] op_sel_hi:[0,1,1]
	v_div_scale_f32 v4, s[10:11], v5, v5, v3
	v_rcp_f32_e32 v8, v4
	v_ashrrev_i32_e32 v7, 31, v16
	v_or_b32_e32 v6, v16, v32
	v_lshl_add_u64 v[6:7], v[6:7], 3, s[74:75]
	v_fma_f32 v9, -v4, v8, 1.0
	v_fmac_f32_e32 v8, v9, v8
	v_div_scale_f32 v9, vcc, v3, v5, v3
	v_mul_f32_e32 v10, v9, v8
	v_fma_f32 v11, -v4, v10, v9
	v_fmac_f32_e32 v10, v11, v8
	v_fma_f32 v4, -v4, v10, v9
	v_div_scale_f32 v9, s[10:11], v5, v5, v2
	v_rcp_f32_e32 v11, v9
	v_div_fmas_f32 v4, v4, v8, v10
	v_div_fixup_f32 v3, v4, v5, v3
	v_fma_f32 v4, -v9, v11, 1.0
	v_fmac_f32_e32 v11, v4, v11
	v_div_scale_f32 v4, vcc, v2, v5, v2
	v_mul_f32_e32 v8, v4, v11
	v_fma_f32 v10, -v9, v8, v4
	v_fmac_f32_e32 v8, v10, v11
	v_fma_f32 v4, -v9, v8, v4
	v_div_fmas_f32 v4, v4, v11, v8
	v_div_fixup_f32 v2, v4, v5, v2
	global_store_dwordx2 v[6:7], v[2:3], off offset:256
	v_mov_b32_e32 v2, 0
.LBB14_175:                             ;   in Loop: Header=BB14_12 Depth=1
	s_or_b64 exec, exec, s[12:13]
	s_movk_i32 s10, 0x47
	v_cmp_gt_i32_e32 vcc, s10, v2
	s_mov_b64 s[12:13], -1
	s_and_saveexec_b64 s[78:79], vcc
; %bb.176:                              ;   in Loop: Header=BB14_12 Depth=1
	v_cmp_eq_u32_e32 vcc, 0, v2
	s_orn2_b64 s[12:13], vcc, exec
; %bb.177:                              ;   in Loop: Header=BB14_12 Depth=1
	s_or_b64 exec, exec, s[78:79]
	s_and_b64 exec, exec, s[12:13]
	s_cbranch_execz .LBB14_10
; %bb.178:                              ;   in Loop: Header=BB14_12 Depth=1
	v_add_u32_e32 v3, s84, v129
	v_cmp_gt_i32_e32 vcc, s36, v3
	s_and_b64 s[10:11], vcc, s[8:9]
	v_mov_b32_e32 v2, 0x47
	s_and_saveexec_b64 s[12:13], s[10:11]
	s_cbranch_execz .LBB14_180
; %bb.179:                              ;   in Loop: Header=BB14_12 Depth=1
	v_add_u32_e32 v2, v110, v130
	v_add_u32_e32 v10, 0x80, v2
	ds_read2st64_b32 v[6:7], v10 offset1:13
	v_add_u32_e32 v12, 0, v130
	v_mad_u64_u32 v[2:3], s[10:11], v3, s37, v[68:69]
	v_add_u32_e32 v8, 0xc0, v12
	ds_read2_b32 v[4:5], v12 offset0:48 offset1:49
	v_mul_lo_u32 v16, v2, 48
	s_waitcnt lgkmcnt(1)
	v_cvt_f32_f16_e32 v2, v6
	v_cvt_f32_f16_sdwa v3, v6 dst_sel:DWORD dst_unused:UNUSED_PAD src0_sel:WORD_1
	ds_read2st64_b32 v[8:9], v8 offset0:13 offset1:26
	ds_read2st64_b32 v[10:11], v10 offset0:26 offset1:39
	ds_read_b32 v6, v12 offset:10176
	v_cvt_f32_f16_e32 v12, v7
	v_cvt_f32_f16_sdwa v13, v7 dst_sel:DWORD dst_unused:UNUSED_PAD src0_sel:WORD_1
	s_waitcnt lgkmcnt(3)
	v_pk_fma_f32 v[2:3], v[4:5], v[2:3], 0 op_sel_hi:[0,1,0]
	s_waitcnt lgkmcnt(1)
	v_cvt_f32_f16_e32 v14, v10
	v_cvt_f32_f16_sdwa v15, v10 dst_sel:DWORD dst_unused:UNUSED_PAD src0_sel:WORD_1
	v_cvt_f32_f16_e32 v10, v11
	v_cvt_f32_f16_sdwa v11, v11 dst_sel:DWORD dst_unused:UNUSED_PAD src0_sel:WORD_1
	v_pk_fma_f32 v[2:3], v[8:9], v[12:13], v[2:3] op_sel_hi:[0,1,1]
	v_mov_b32_e32 v4, v9
	v_pk_fma_f32 v[2:3], v[4:5], v[14:15], v[2:3] op_sel_hi:[0,1,1]
	s_waitcnt lgkmcnt(0)
	v_pk_fma_f32 v[2:3], v[6:7], v[10:11], v[2:3] op_sel_hi:[0,1,1]
	v_div_scale_f32 v4, s[10:11], v5, v5, v3
	v_rcp_f32_e32 v8, v4
	v_ashrrev_i32_e32 v7, 31, v16
	v_or_b32_e32 v6, v16, v32
	v_lshl_add_u64 v[6:7], v[6:7], 3, s[74:75]
	v_fma_f32 v9, -v4, v8, 1.0
	v_fmac_f32_e32 v8, v9, v8
	v_div_scale_f32 v9, vcc, v3, v5, v3
	v_mul_f32_e32 v10, v9, v8
	v_fma_f32 v11, -v4, v10, v9
	v_fmac_f32_e32 v10, v11, v8
	v_fma_f32 v4, -v4, v10, v9
	v_div_scale_f32 v9, s[10:11], v5, v5, v2
	v_rcp_f32_e32 v11, v9
	v_div_fmas_f32 v4, v4, v8, v10
	v_div_fixup_f32 v3, v4, v5, v3
	v_fma_f32 v4, -v9, v11, 1.0
	v_fmac_f32_e32 v11, v4, v11
	v_div_scale_f32 v4, vcc, v2, v5, v2
	v_mul_f32_e32 v8, v4, v11
	v_fma_f32 v10, -v9, v8, v4
	v_fmac_f32_e32 v8, v10, v11
	v_fma_f32 v4, -v9, v8, v4
	v_div_fmas_f32 v4, v4, v11, v8
	v_div_fixup_f32 v2, v4, v5, v2
	global_store_dwordx2 v[6:7], v[2:3], off offset:256
	v_mov_b32_e32 v2, 0
.LBB14_180:                             ;   in Loop: Header=BB14_12 Depth=1
	s_or_b64 exec, exec, s[12:13]
	s_movk_i32 s10, 0x47
	v_cmp_gt_i32_e32 vcc, s10, v2
	s_mov_b64 s[12:13], -1
	s_and_saveexec_b64 s[78:79], vcc
; %bb.181:                              ;   in Loop: Header=BB14_12 Depth=1
	v_cmp_eq_u32_e32 vcc, 0, v2
	s_orn2_b64 s[12:13], vcc, exec
; %bb.182:                              ;   in Loop: Header=BB14_12 Depth=1
	s_or_b64 exec, exec, s[78:79]
	s_and_b64 exec, exec, s[12:13]
	s_cbranch_execz .LBB14_10
; %bb.183:                              ;   in Loop: Header=BB14_12 Depth=1
	v_add_u32_e32 v2, s84, v131
	v_cmp_gt_i32_e32 vcc, s36, v2
	s_and_b64 s[8:9], vcc, s[8:9]
	s_and_b64 exec, exec, s[8:9]
	s_cbranch_execz .LBB14_10
; %bb.184:                              ;   in Loop: Header=BB14_12 Depth=1
	v_add_u32_e32 v3, v110, v132
	v_add_u32_e32 v10, 0x80, v3
	ds_read2st64_b32 v[6:7], v10 offset1:13
	v_add_u32_e32 v12, 0, v132
	v_mad_u64_u32 v[2:3], s[8:9], v2, s37, v[68:69]
	v_add_u32_e32 v8, 0xc0, v12
	ds_read2_b32 v[4:5], v12 offset0:48 offset1:49
	v_mul_lo_u32 v16, v2, 48
	s_waitcnt lgkmcnt(1)
	v_cvt_f32_f16_e32 v2, v6
	v_cvt_f32_f16_sdwa v3, v6 dst_sel:DWORD dst_unused:UNUSED_PAD src0_sel:WORD_1
	ds_read2st64_b32 v[8:9], v8 offset0:13 offset1:26
	ds_read2st64_b32 v[10:11], v10 offset0:26 offset1:39
	ds_read_b32 v6, v12 offset:10176
	v_cvt_f32_f16_e32 v12, v7
	v_cvt_f32_f16_sdwa v13, v7 dst_sel:DWORD dst_unused:UNUSED_PAD src0_sel:WORD_1
	s_waitcnt lgkmcnt(3)
	v_pk_fma_f32 v[2:3], v[4:5], v[2:3], 0 op_sel_hi:[0,1,0]
	s_waitcnt lgkmcnt(1)
	v_cvt_f32_f16_e32 v14, v10
	v_cvt_f32_f16_sdwa v15, v10 dst_sel:DWORD dst_unused:UNUSED_PAD src0_sel:WORD_1
	v_cvt_f32_f16_e32 v10, v11
	v_cvt_f32_f16_sdwa v11, v11 dst_sel:DWORD dst_unused:UNUSED_PAD src0_sel:WORD_1
	v_pk_fma_f32 v[2:3], v[8:9], v[12:13], v[2:3] op_sel_hi:[0,1,1]
	v_mov_b32_e32 v4, v9
	v_pk_fma_f32 v[2:3], v[4:5], v[14:15], v[2:3] op_sel_hi:[0,1,1]
	s_waitcnt lgkmcnt(0)
	v_pk_fma_f32 v[2:3], v[6:7], v[10:11], v[2:3] op_sel_hi:[0,1,1]
	v_div_scale_f32 v4, s[8:9], v5, v5, v3
	v_rcp_f32_e32 v8, v4
	v_ashrrev_i32_e32 v7, 31, v16
	v_or_b32_e32 v6, v16, v32
	v_lshl_add_u64 v[6:7], v[6:7], 3, s[74:75]
	v_fma_f32 v9, -v4, v8, 1.0
	v_fmac_f32_e32 v8, v9, v8
	v_div_scale_f32 v9, vcc, v3, v5, v3
	v_mul_f32_e32 v10, v9, v8
	v_fma_f32 v11, -v4, v10, v9
	v_fmac_f32_e32 v10, v11, v8
	v_fma_f32 v4, -v4, v10, v9
	v_div_scale_f32 v9, s[8:9], v5, v5, v2
	v_rcp_f32_e32 v11, v9
	v_div_fmas_f32 v4, v4, v8, v10
	v_div_fixup_f32 v3, v4, v5, v3
	v_fma_f32 v4, -v9, v11, 1.0
	v_fmac_f32_e32 v11, v4, v11
	v_div_scale_f32 v4, vcc, v2, v5, v2
	v_mul_f32_e32 v8, v4, v11
	v_fma_f32 v10, -v9, v8, v4
	v_fmac_f32_e32 v8, v10, v11
	v_fma_f32 v4, -v9, v8, v4
	v_div_fmas_f32 v4, v4, v11, v8
	v_div_fixup_f32 v2, v4, v5, v2
	global_store_dwordx2 v[6:7], v[2:3], off offset:256
	s_branch .LBB14_10
.LBB14_185:
	v_readlane_b32 s33, v164, 13
	v_readlane_b32 s44, v164, 6
	;; [unrolled: 1-line block ×7, first 2 shown]
	s_andn2_b64 vcc, exec, s[8:9]
	s_cbranch_vccnz .LBB14_8
.LBB14_186:
	s_abs_i32 s0, s93
	v_cvt_f32_u32_e32 v2, s0
	s_sub_i32 s4, 0, s0
	s_abs_i32 s2, s54
	s_xor_b32 s1, s54, s93
	v_rcp_iflag_f32_e32 v2, v2
	s_ashr_i32 s1, s1, 31
	v_readlane_b32 s9, v164, 2
	v_readlane_b32 s10, v164, 1
	v_mul_f32_e32 v2, 0x4f7ffffe, v2
	v_cvt_u32_f32_e32 v2, v2
	v_mov_b32_e32 v12, s66
	v_readfirstlane_b32 s5, v2
	s_mul_i32 s4, s4, s5
	s_mul_hi_u32 s4, s5, s4
	s_add_i32 s5, s5, s4
	s_mul_hi_u32 s4, s2, s5
	s_mul_i32 s5, s4, s0
	s_sub_i32 s2, s2, s5
	s_add_i32 s6, s4, 1
	s_sub_i32 s5, s2, s0
	s_cmp_ge_u32 s2, s0
	s_cselect_b32 s4, s6, s4
	s_cselect_b32 s2, s5, s2
	s_add_i32 s5, s4, 1
	s_cmp_ge_u32 s2, s0
	s_cselect_b32 s0, s5, s4
	s_abs_i32 s4, s9
	v_cvt_f32_u32_e32 v2, s4
	s_xor_b32 s0, s0, s1
	s_sub_i32 s5, 0, s4
	s_sub_i32 s2, s0, s1
	v_rcp_iflag_f32_e32 v2, v2
	s_mul_i32 s0, s2, s93
	s_sub_i32 s0, s54, s0
	s_abs_i32 s6, s0
	v_mul_f32_e32 v2, 0x4f7ffffe, v2
	v_cvt_u32_f32_e32 v2, v2
	s_xor_b32 s1, s0, s9
	s_ashr_i32 s1, s1, 31
	v_readfirstlane_b32 s7, v2
	s_mul_i32 s5, s5, s7
	s_mul_hi_u32 s5, s7, s5
	s_add_i32 s7, s7, s5
	s_mul_hi_u32 s5, s6, s7
	s_mul_i32 s7, s5, s4
	s_sub_i32 s6, s6, s7
	s_add_i32 s8, s5, 1
	s_sub_i32 s7, s6, s4
	s_cmp_ge_u32 s6, s4
	s_cselect_b32 s5, s8, s5
	s_cselect_b32 s6, s7, s6
	s_add_i32 s7, s5, 1
	s_cmp_ge_u32 s6, s4
	s_cselect_b32 s4, s7, s5
	s_abs_i32 s5, s10
	v_cvt_f32_u32_e32 v2, s5
	s_xor_b32 s4, s4, s1
	s_sub_i32 s6, 0, s5
	s_sub_i32 s8, s4, s1
	v_rcp_iflag_f32_e32 v2, v2
	s_mul_i32 s1, s8, s9
	s_sub_i32 s1, s0, s1
	s_abs_i32 s4, s1
	v_mul_f32_e32 v2, 0x4f7ffffe, v2
	v_cvt_u32_f32_e32 v2, v2
	s_xor_b32 s0, s1, s10
	s_ashr_i32 s0, s0, 31
	v_readfirstlane_b32 s7, v2
	s_mul_i32 s6, s6, s7
	s_mul_hi_u32 s6, s7, s6
	s_add_i32 s7, s7, s6
	s_mul_hi_u32 s6, s4, s7
	s_mul_i32 s7, s6, s5
	s_sub_i32 s4, s4, s7
	s_add_i32 s9, s6, 1
	s_sub_i32 s7, s4, s5
	s_cmp_ge_u32 s4, s5
	s_cselect_b32 s6, s9, s6
	s_cselect_b32 s4, s7, s4
	s_add_i32 s7, s6, 1
	s_cmp_ge_u32 s4, s5
	s_cselect_b32 s4, s7, s6
	s_xor_b32 s4, s4, s0
	s_sub_i32 s0, s4, s0
	s_mul_i32 s4, s0, s10
	s_sub_i32 s1, s1, s4
	s_ashr_i32 s4, s1, 31
	v_readlane_b32 s5, v164, 5
	s_abs_i32 s1, s1
	s_xor_b32 s4, s4, s5
	s_mul_hi_u32 s5, s1, s52
	s_mul_i32 s6, s5, s95
	s_sub_i32 s1, s1, s6
	s_add_i32 s6, s5, 1
	s_sub_i32 s7, s1, s95
	s_cmp_ge_u32 s1, s95
	s_cselect_b32 s5, s6, s5
	s_cselect_b32 s1, s7, s1
	s_add_i32 s6, s5, 1
	s_cmp_ge_u32 s1, s95
	s_cselect_b32 s1, s6, s5
	s_abs_i32 s9, s12
	v_cvt_f32_u32_e32 v2, s9
	s_xor_b32 s1, s1, s4
	s_sub_i32 s1, s1, s4
	s_cmp_eq_u64 s[26:27], 0
	v_rcp_iflag_f32_e32 v2, v2
	s_nop 0
	v_mul_f32_e32 v2, 0x4f7ffffe, v2
	v_cvt_u32_f32_e32 v2, v2
	s_nop 0
	v_readfirstlane_b32 s12, v2
	s_cbranch_scc1 .LBB14_188
; %bb.187:
	v_readlane_b32 s4, v164, 0
	s_mul_i32 s4, s2, s4
	s_add_i32 s4, s1, s4
	s_ashr_i32 s5, s4, 31
	s_lshl_b64 s[4:5], s[4:5], 2
	s_add_u32 s4, s26, s4
	s_addc_u32 s5, s27, s5
	v_mov_b32_e32 v2, 0
	global_load_dword v2, v2, s[4:5]
	s_waitcnt vmcnt(0)
	v_ashrrev_i32_e32 v3, 31, v2
	v_lshrrev_b32_e32 v3, 26, v3
	v_add_u32_e32 v2, v2, v3
	v_ashrrev_i32_e32 v2, 6, v2
	v_min_i32_e32 v12, s66, v2
.LBB14_188:
	s_mul_i32 s4, s8, s3
	s_lshl_b32 s11, s0, 2
	s_add_i32 s0, s11, s4
	s_mul_i32 s4, s2, s47
	s_sub_i32 s13, 0, s9
	s_ashr_i32 s5, s4, 31
	s_add_u32 s4, s16, s4
	s_mul_i32 s0, s0, s46
	s_addc_u32 s5, s17, s5
	s_ashr_i32 s7, s0, 31
	v_and_b32_e32 v2, 3, v67
	s_add_u32 s6, s4, s0
	v_or_b32_e32 v3, s11, v2
	s_addc_u32 s7, s5, s7
	s_lshl_b32 s10, s1, 2
	v_cmp_gt_i32_e32 vcc, s3, v3
	v_cmp_le_i32_e64 s[0:1], s3, v3
	v_mad_u64_u32 v[2:3], s[4:5], s53, v2, v[30:31]
	v_lshrrev_b32_e32 v3, 2, v67
	v_add_u32_e32 v3, s10, v3
	v_cmp_le_i32_e64 s[4:5], s36, v3
	s_mov_b32 s15, 0x10001
	v_lshl_add_u32 v25, v30, 2, 0
	s_or_b64 s[0:1], s[4:5], s[0:1]
	s_and_saveexec_b64 s[4:5], s[0:1]
	s_xor_b64 s[0:1], exec, s[4:5]
; %bb.189:
	s_movk_i32 s4, 0xd0
	v_mad_u32_u24 v3, v67, s4, v25
	v_mov_b32_e32 v4, 0
	ds_write_b32 v3, v4
                                        ; implicit-def: $vgpr3
; %bb.190:
	s_or_saveexec_b64 s[0:1], s[0:1]
	s_mul_i32 s13, s13, s12
	v_mul_lo_u32 v1, v1, s15
	s_xor_b64 exec, exec, s[0:1]
	s_cbranch_execz .LBB14_192
; %bb.191:
	v_mad_u64_u32 v[4:5], s[4:5], v3, s55, v[2:3]
	v_ashrrev_i32_e32 v5, 31, v4
	v_lshl_add_u64 v[4:5], v[4:5], 3, s[6:7]
	global_load_dwordx2 v[4:5], v[4:5], off
	s_movk_i32 s4, 0xd0
	s_waitcnt vmcnt(0)
	v_cvt_pk_f16_f32 v3, v4, v5
	v_pk_mul_f16 v3, v3, v1
	v_mad_u32_u24 v4, v67, s4, v25
	ds_write_b32 v4, v3
.LBB14_192:
	s_or_b64 exec, exec, s[0:1]
	v_add_u32_e32 v3, 8, v67
	v_lshrrev_b32_e32 v4, 2, v3
	v_add_u32_e32 v4, s10, v4
	v_cmp_le_i32_e64 s[0:1], s36, v4
	s_xor_b64 s[16:17], vcc, -1
	s_mul_hi_u32 s5, s12, s13
	s_or_b64 s[0:1], s[0:1], s[16:17]
	s_and_saveexec_b64 s[16:17], s[0:1]
	s_xor_b64 s[0:1], exec, s[16:17]
; %bb.193:
	s_movk_i32 s4, 0xd0
	v_mad_u32_u24 v2, v3, s4, v25
	v_mov_b32_e32 v3, 0
	ds_write_b32 v2, v3
                                        ; implicit-def: $vgpr2_vgpr3
                                        ; implicit-def: $vgpr4
                                        ; implicit-def: $vgpr3
; %bb.194:
	s_or_saveexec_b64 s[0:1], s[0:1]
	s_abs_i32 s4, s2
	s_add_i32 s12, s12, s5
	v_and_b32_e32 v36, 0x3ff, v0
	s_xor_b64 exec, exec, s[0:1]
	s_cbranch_execz .LBB14_196
; %bb.195:
	v_mad_u64_u32 v[4:5], s[16:17], v4, s55, v[2:3]
	v_ashrrev_i32_e32 v5, 31, v4
	v_lshl_add_u64 v[4:5], v[4:5], 3, s[6:7]
	global_load_dwordx2 v[4:5], v[4:5], off
	s_movk_i32 s5, 0xd0
	v_mad_u32_u24 v2, v3, s5, v25
	s_waitcnt vmcnt(0)
	v_cvt_pk_f16_f32 v0, v4, v5
	v_pk_mul_f16 v0, v0, v1
	ds_write_b32 v2, v0
.LBB14_196:
	s_or_b64 exec, exec, s[0:1]
	v_lshrrev_b32_e32 v34, 4, v36
	v_add_u32_e32 v0, v39, v34
	v_lshrrev_b32_e32 v3, 2, v0
	v_and_b32_e32 v2, 3, v34
	v_add_u32_e32 v3, s10, v3
	v_or_b32_e32 v4, s11, v2
	v_cmp_le_i32_e32 vcc, s36, v3
	v_cmp_le_i32_e64 s[0:1], s3, v4
	s_mul_hi_u32 s5, s4, s12
	s_or_b64 s[0:1], vcc, s[0:1]
                                        ; implicit-def: $vgpr24
	s_and_saveexec_b64 s[12:13], s[0:1]
	s_xor_b64 s[0:1], exec, s[12:13]
	s_cbranch_execz .LBB14_198
; %bb.197:
	v_and_b32_e32 v24, 15, v36
	v_mul_u32_u24_e32 v0, 0xd0, v0
	v_lshlrev_b32_e32 v1, 2, v24
	v_add3_u32 v0, 0, v0, v1
	v_mov_b32_e32 v1, 0
	ds_write_b32 v0, v1 offset:128
                                        ; implicit-def: $vgpr3
                                        ; implicit-def: $vgpr0
                                        ; implicit-def: $vgpr2
                                        ; implicit-def: $vgpr1
.LBB14_198:
	s_or_saveexec_b64 s[0:1], s[0:1]
	s_ashr_i32 s3, s2, 31
	s_xor_b64 exec, exec, s[0:1]
	s_cbranch_execz .LBB14_200
; %bb.199:
	v_and_b32_e32 v24, 15, v36
	v_mul_lo_u32 v4, v3, s55
	v_mad_u64_u32 v[2:3], s[12:13], s53, v2, v[24:25]
	v_add3_u32 v2, v2, v4, 32
	v_ashrrev_i32_e32 v3, 31, v2
	v_lshl_add_u64 v[2:3], v[2:3], 3, s[6:7]
	global_load_dwordx2 v[2:3], v[2:3], off
	v_mul_u32_u24_e32 v0, 0xd0, v0
	v_lshlrev_b32_e32 v4, 2, v24
	v_add3_u32 v0, 0, v0, v4
	s_waitcnt vmcnt(0)
	v_cvt_pk_f16_f32 v2, v2, v3
	v_pk_mul_f16 v1, v2, v1
	ds_write_b32 v0, v1 offset:128
.LBB14_200:
	s_or_b64 exec, exec, s[0:1]
	s_mul_hi_u32 s0, s40, s2
	s_mul_i32 s1, s40, s3
	s_add_i32 s0, s0, s1
	s_mul_i32 s1, s41, s2
	v_readlane_b32 s6, v164, 3
	s_add_i32 s0, s0, s1
	s_mul_i32 s1, s40, s2
	v_readlane_b32 s7, v164, 4
	s_add_u32 s1, s18, s1
	s_mul_i32 s6, s8, s7
	s_addc_u32 s0, s19, s0
	s_ashr_i32 s7, s6, 31
	s_add_u32 s11, s1, s6
	s_mul_i32 s5, s5, s9
	s_addc_u32 s12, s0, s7
	s_sub_i32 s0, s4, s5
	s_sub_i32 s1, s0, s9
	s_cmp_ge_u32 s0, s9
	s_cselect_b32 s0, s1, s0
	s_sub_i32 s1, s0, s9
	s_cmp_ge_u32 s0, s9
	s_cselect_b32 s0, s1, s0
	s_xor_b32 s0, s0, s3
	s_sub_i32 s0, s0, s3
	s_ashr_i32 s1, s0, 31
	s_mul_i32 s1, s50, s1
	s_mul_hi_u32 s4, s50, s0
	s_add_i32 s1, s4, s1
	s_mul_i32 s4, s51, s0
	v_lshrrev_b32_e32 v14, 3, v36
	s_add_i32 s1, s1, s4
	s_mul_i32 s0, s50, s0
	v_and_b32_e32 v13, 0xff0, v39
	s_movk_i32 s6, 0xd0
	v_and_b32_e32 v1, 0x7e, v14
	s_add_u32 s4, s22, s0
	v_mad_u32_u24 v0, v13, s6, 0
	v_mul_u32_u24_e32 v51, 0xd0, v24
	v_lshlrev_b32_e32 v38, 2, v1
	s_addc_u32 s5, s23, s1
	s_mul_hi_u32 s0, s48, s2
	s_mul_i32 s1, s48, s3
	v_add3_u32 v0, v0, v51, v38
	s_add_i32 s0, s0, s1
	s_mul_i32 s1, s49, s2
	s_waitcnt lgkmcnt(0)
	s_barrier
	ds_read2_b64 v[8:11], v0 offset1:4
	ds_read2_b64 v[4:7], v0 offset0:8 offset1:12
	ds_read2_b64 v[0:3], v0 offset0:16 offset1:20
	s_add_i32 s0, s0, s1
	s_mul_i32 s1, s48, s2
	s_add_u32 s1, s20, s1
	s_mul_i32 s8, s8, s43
	s_addc_u32 s0, s21, s0
	s_ashr_i32 s2, s8, 31
	v_add_u32_e32 v60, -1, v12
	s_add_u32 s3, s1, s8
	v_cmp_ge_i32_e32 vcc, s84, v60
	s_addc_u32 s2, s0, s2
	s_and_b64 vcc, exec, vcc
	v_cmp_gt_u32_e64 s[0:1], 4, v67
	v_lshrrev_b32_e32 v56, 2, v36
	v_lshl_add_u32 v52, v31, 3, v14
	v_and_or_b32 v58, v36, 12, v13
	v_lshlrev_b32_e32 v43, 1, v14
	v_lshlrev_b32_e32 v41, 1, v24
	s_waitcnt lgkmcnt(0)
	s_barrier
	s_cbranch_vccnz .LBB14_207
; %bb.201:
	v_add_u32_e32 v12, s10, v67
	v_mul_hi_u32 v13, s34, v12
	v_and_b32_e32 v23, 48, v37
	v_and_b32_e32 v27, 0xfc, v56
	v_add_u32_e32 v13, v12, v13
	v_mad_u32_u24 v33, v23, s6, 0
	v_add_u16_e32 v23, v23, v27
	v_lshrrev_b32_e32 v13, s35, v13
	v_lshrrev_b32_e32 v26, 2, v58
	v_lshrrev_b16_e32 v23, 1, v23
	v_mul_lo_u32 v13, v13, s36
	v_lshlrev_b32_e32 v18, 2, v36
	v_mul_u32_u24_e32 v26, 0x90, v26
	v_lshlrev_b32_e32 v23, 2, v23
	v_sub_u32_e32 v13, v12, v13
	v_mul_u32_u24_e32 v14, 0x90, v67
	v_and_b32_e32 v12, 0x7c, v18
	v_add3_u32 v40, 0, v26, v23
	v_mbcnt_hi_u32_b32 v23, -1, v57
	v_add3_u32 v61, 0, v14, v12
	v_mad_i64_i32 v[14:15], s[8:9], v13, s62, 0
	v_and_b32_e32 v26, 64, v23
	v_lshl_add_u64 v[14:15], v[14:15], 1, s[4:5]
	v_mov_b32_e32 v13, 0
	v_add_u32_e32 v26, 64, v26
	v_xor_b32_e32 v27, 32, v23
	v_lshl_add_u64 v[14:15], v[14:15], 0, v[12:13]
	v_add_u32_e32 v22, v37, v56
	v_and_b32_e32 v12, 12, v18
	v_cmp_lt_i32_e32 vcc, v27, v26
	v_mad_u32_u24 v19, v22, s6, 0
	v_lshlrev_b32_e32 v20, 2, v12
	s_movk_i32 s7, 0x80
	v_and_b32_e32 v32, 28, v18
	v_cndmask_b32_e32 v27, v23, v27, vcc
	v_add3_u32 v62, v19, v20, s7
	v_mul_u32_u24_e32 v19, 0xd0, v52
	v_lshlrev_b32_e32 v18, 2, v32
	v_lshlrev_b32_e32 v66, 2, v27
	v_xor_b32_e32 v27, 16, v23
	v_add3_u32 v63, 0, v19, v18
	v_mul_lo_u32 v18, s38, v52
	v_cmp_lt_i32_e32 vcc, v27, v26
	v_mul_lo_u32 v26, s14, v52
	v_and_b32_e32 v42, 0xfc, v43
	v_or_b32_e32 v44, 2, v43
	v_or_b32_e32 v45, 3, v43
	v_mul_lo_u32 v16, s38, v22
	v_lshl_add_u32 v20, s38, 5, v18
	v_cndmask_b32_e32 v23, v23, v27, vcc
	v_mul_lo_u32 v22, s14, v22
	v_lshl_add_u32 v28, s14, 5, v26
	v_mul_u32_u24_e32 v42, 0xd0, v42
	v_mul_u32_u24_e32 v44, 0xd0, v44
	;; [unrolled: 1-line block ×3, first 2 shown]
	v_ashrrev_i32_e32 v17, 31, v16
	v_ashrrev_i32_e32 v19, 31, v18
	v_add_u32_e32 v64, 0x1a00, v63
	v_ashrrev_i32_e32 v21, 31, v20
	v_add3_u32 v65, v33, v51, v38
	v_lshlrev_b32_e32 v68, 2, v23
	v_ashrrev_i32_e32 v23, 31, v22
	v_ashrrev_i32_e32 v27, 31, v26
	;; [unrolled: 1-line block ×3, first 2 shown]
	v_add3_u32 v69, v33, v42, v41
	v_add3_u32 v70, v33, v44, v41
	;; [unrolled: 1-line block ×3, first 2 shown]
	s_lshl_b32 s6, s84, 6
	v_mov_b32_e32 v59, 0xfeffffff
	v_lshlrev_b32_e32 v12, 2, v12
	v_lshlrev_b32_e32 v32, 2, v32
	v_add_u32_e32 v72, 0x3400, v40
	s_mov_b32 s13, 0x3fb8aa3b
	s_mov_b32 s15, 0xc2ce8ed0
	s_mov_b32 s16, 0x42b17218
	s_mov_b32 s17, 0xc1a00000
	s_mov_b32 s18, 0x5040100
	v_mov_b32_e32 v73, 0x7f800000
	v_mov_b32_e32 v74, v13
	;; [unrolled: 1-line block ×14, first 2 shown]
	s_ashr_i32 s7, s6, 31
	s_and_saveexec_b64 s[8:9], s[0:1]
	s_cbranch_execz .LBB14_203
.LBB14_202:
	v_lshl_add_u64 v[76:77], s[6:7], 1, v[14:15]
	global_load_dword v33, v[76:77], off
	s_waitcnt vmcnt(0)
	ds_write_b32 v61, v33 offset:13312
.LBB14_203:                             ; =>This Inner Loop Header: Depth=1
	s_or_b64 exec, exec, s[8:9]
	s_mul_hi_i32 s9, s6, s38
	s_mul_i32 s8, s6, s38
	s_lshl_b64 s[8:9], s[8:9], 2
	s_add_u32 s8, s11, s8
	s_addc_u32 s9, s12, s9
	v_lshl_add_u64 v[76:77], v[16:17], 2, s[8:9]
	v_lshl_add_u64 v[88:89], v[76:77], 0, v[12:13]
	;; [unrolled: 1-line block ×3, first 2 shown]
	v_mov_b32_e32 v33, v13
	v_lshl_add_u64 v[90:91], v[76:77], 0, v[32:33]
	v_lshl_add_u64 v[76:77], v[20:21], 2, s[8:9]
	;; [unrolled: 1-line block ×3, first 2 shown]
	global_load_dwordx4 v[76:79], v[88:89], off offset:128
	global_load_dwordx4 v[80:83], v[90:91], off
	global_load_dwordx4 v[84:87], v[92:93], off
	s_mul_hi_i32 s9, s6, s14
	s_mul_i32 s8, s6, s14
	s_lshl_b64 s[8:9], s[8:9], 2
	s_add_u32 s8, s3, s8
	s_addc_u32 s9, s2, s9
	s_add_i32 s84, s84, 1
	s_add_i32 s6, s6, 64
	s_waitcnt vmcnt(2)
	ds_write_b128 v62, v[76:79]
	s_waitcnt vmcnt(1)
	ds_write_b128 v63, v[80:83]
	;; [unrolled: 2-line block ×3, first 2 shown]
	s_waitcnt lgkmcnt(0)
	s_barrier
	ds_read2_b64 v[76:79], v65 offset1:4
	ds_read2_b64 v[80:83], v65 offset0:8 offset1:12
	s_waitcnt lgkmcnt(1)
	v_mfma_f32_16x16x16_f16 v[84:87], v[76:77], v[8:9], 0
	v_mfma_f32_16x16x16_f16 v[76:79], v[78:79], v[10:11], v[84:87]
	s_nop 6
	ds_read2_b64 v[84:87], v65 offset0:16 offset1:20
	s_waitcnt lgkmcnt(1)
	v_mfma_f32_16x16x16_f16 v[76:79], v[80:81], v[4:5], v[76:79]
	s_waitcnt lgkmcnt(0)
	s_barrier
	v_mfma_f32_16x16x16_f16 v[76:79], v[82:83], v[6:7], v[76:79]
	ds_read2_b32 v[80:81], v72 offset1:1
	v_lshl_add_u64 v[82:83], v[22:23], 2, s[8:9]
	v_lshl_add_u64 v[88:89], v[82:83], 0, v[12:13]
	v_mfma_f32_16x16x16_f16 v[76:79], v[84:85], v[0:1], v[76:79]
	s_waitcnt lgkmcnt(0)
	v_cvt_f32_f16_e32 v75, v80
	v_cvt_f32_f16_sdwa v80, v80 dst_sel:DWORD dst_unused:UNUSED_PAD src0_sel:WORD_1
	v_mfma_f32_16x16x16_f16 v[76:79], v[86:87], v[2:3], v[76:79]
	v_cvt_f32_f16_e32 v84, v81
	v_cvt_f32_f16_sdwa v81, v81 dst_sel:DWORD dst_unused:UNUSED_PAD src0_sel:WORD_1
	s_nop 5
	v_add_f32_e32 v75, v76, v75
	v_add_f32_e32 v94, v77, v80
	v_add_f32_e32 v95, v78, v84
	v_add_f32_e32 v96, v79, v81
	v_add_f32_e32 v76, 0x40051340, v75
	v_add_f32_e32 v77, 0x40051340, v94
	v_add_f32_e32 v78, 0x40051340, v95
	v_add_f32_e32 v79, 0x40051340, v96
	v_max3_f32 v76, v59, v76, v77
	v_max3_f32 v80, v76, v78, v79
	ds_bpermute_b32 v81, v66, v80
	v_lshl_add_u64 v[76:77], v[26:27], 2, s[8:9]
	v_lshl_add_u64 v[78:79], v[28:29], 2, s[8:9]
	v_lshl_add_u64 v[90:91], v[76:77], 0, v[32:33]
	v_lshl_add_u64 v[92:93], v[78:79], 0, v[32:33]
	s_waitcnt lgkmcnt(0)
	v_max_f32_e32 v76, v81, v81
	v_max_f32_e32 v97, v80, v76
	global_load_dwordx4 v[76:79], v[88:89], off offset:128
	global_load_dwordx4 v[80:83], v[90:91], off
	global_load_dwordx4 v[84:87], v[92:93], off
	ds_bpermute_b32 v98, v68, v97
	s_waitcnt vmcnt(2)
	ds_write_b128 v62, v[76:79]
	s_waitcnt vmcnt(1)
	ds_write_b128 v63, v[80:83]
	;; [unrolled: 2-line block ×3, first 2 shown]
	s_waitcnt lgkmcnt(3)
	v_max_f32_e32 v33, v98, v98
	v_max_f32_e32 v33, v97, v33
	v_sub_f32_e32 v75, v75, v33
	v_sub_f32_e32 v88, v94, v33
	v_mul_f32_e32 v91, 0x3fb8aa3b, v75
	v_sub_f32_e32 v89, v95, v33
	v_sub_f32_e32 v90, v96, v33
	v_mul_f32_e32 v92, 0x3fb8aa3b, v88
	v_fma_f32 v96, v75, s13, -v91
	v_rndne_f32_e32 v97, v91
	v_mul_f32_e32 v93, 0x3fb8aa3b, v89
	v_fma_f32 v98, v88, s13, -v92
	v_rndne_f32_e32 v99, v92
	v_fmac_f32_e32 v96, 0x32a5705f, v75
	v_sub_f32_e32 v91, v91, v97
	v_sub_f32_e32 v59, v59, v33
	v_mul_f32_e32 v94, 0x3fb8aa3b, v90
	v_fma_f32 v100, v89, s13, -v93
	v_rndne_f32_e32 v101, v93
	v_fmac_f32_e32 v98, 0x32a5705f, v88
	v_sub_f32_e32 v92, v92, v99
	v_add_f32_e32 v91, v91, v96
	v_mul_f32_e32 v95, 0x3fb8aa3b, v59
	v_fma_f32 v102, v90, s13, -v94
	v_rndne_f32_e32 v103, v94
	v_cvt_i32_f32_e32 v97, v97
	v_fmac_f32_e32 v100, 0x32a5705f, v89
	v_sub_f32_e32 v93, v93, v101
	v_add_f32_e32 v92, v92, v98
	v_exp_f32_e32 v91, v91
	v_fma_f32 v104, v59, s13, -v95
	v_rndne_f32_e32 v105, v95
	v_cvt_i32_f32_e32 v99, v99
	v_fmac_f32_e32 v102, 0x32a5705f, v90
	v_sub_f32_e32 v94, v94, v103
	v_add_f32_e32 v93, v93, v100
	v_exp_f32_e32 v92, v92
	v_cvt_i32_f32_e32 v101, v101
	v_fmac_f32_e32 v104, 0x32a5705f, v59
	v_sub_f32_e32 v95, v95, v105
	v_add_f32_e32 v94, v94, v102
	v_exp_f32_e32 v93, v93
	v_cvt_i32_f32_e32 v103, v103
	v_add_f32_e32 v95, v95, v104
	v_exp_f32_e32 v94, v94
	v_cvt_i32_f32_e32 v105, v105
	v_exp_f32_e32 v95, v95
	v_ldexp_f32 v91, v91, v97
	v_cmp_ngt_f32_e32 vcc, s15, v75
	v_ldexp_f32 v92, v92, v99
	v_ldexp_f32 v93, v93, v101
	v_cndmask_b32_e32 v91, 0, v91, vcc
	v_cmp_ngt_f32_e32 vcc, s15, v88
	v_ldexp_f32 v94, v94, v103
	v_ldexp_f32 v95, v95, v105
	v_cndmask_b32_e32 v92, 0, v92, vcc
	v_cmp_ngt_f32_e32 vcc, s15, v89
	s_waitcnt lgkmcnt(0)
	s_barrier
	v_cndmask_b32_e32 v93, 0, v93, vcc
	v_cmp_ngt_f32_e32 vcc, s15, v90
	s_nop 1
	v_cndmask_b32_e32 v94, 0, v94, vcc
	v_cmp_ngt_f32_e32 vcc, s15, v59
	s_nop 1
	v_cndmask_b32_e32 v95, 0, v95, vcc
	v_cmp_nlt_f32_e32 vcc, s16, v75
	s_nop 1
	v_cndmask_b32_e32 v75, v73, v91, vcc
	v_cmp_nlt_f32_e32 vcc, s16, v88
	;; [unrolled: 3-line block ×3, first 2 shown]
	v_cvt_pk_f16_f32 v96, v75, v92
	s_nop 0
	v_cndmask_b32_e32 v88, v73, v95, vcc
	v_cmp_le_f32_e32 vcc, s17, v59
	s_nop 1
	v_cndmask_b32_e32 v98, 0, v88, vcc
	v_cvt_f16_f32_e32 v59, v98
	v_cmp_nlt_f32_e32 vcc, s16, v89
	v_mul_u32_u24_e32 v59, 0x10001, v59
	s_nop 0
	v_cndmask_b32_e32 v99, v73, v93, vcc
	v_cmp_nlt_f32_e32 vcc, s16, v90
	v_pk_mul_f16 v88, v55, v59
	v_pk_mul_f16 v89, v54, v59
	v_cndmask_b32_e32 v100, v73, v94, vcc
	ds_read_u16 v54, v69 offset:208
	ds_read_u16 v76, v69
	ds_read_u16 v80, v69 offset:32
	ds_read_u16 v81, v69 offset:240
	;; [unrolled: 1-line block ×6, first 2 shown]
	ds_read_u16 v55, v70
	ds_read_u16 v82, v70 offset:32
	ds_read_u16 v85, v70 offset:64
	;; [unrolled: 1-line block ×4, first 2 shown]
	ds_read_u16 v77, v71
	ds_read_u16 v83, v71 offset:32
	ds_read_u16 v86, v71 offset:64
	;; [unrolled: 1-line block ×6, first 2 shown]
	s_waitcnt lgkmcnt(6)
	v_perm_b32 v55, v77, v55, s18
	v_perm_b32 v54, v54, v76, s18
	v_cvt_f32_f16_e32 v76, v88
	v_cvt_f32_f16_sdwa v77, v88 dst_sel:DWORD dst_unused:UNUSED_PAD src0_sel:WORD_1
	v_cvt_f32_f16_e32 v78, v89
	v_cvt_f32_f16_sdwa v79, v89 dst_sel:DWORD dst_unused:UNUSED_PAD src0_sel:WORD_1
	v_pk_mul_f16 v53, v53, v59
	v_pk_mul_f16 v50, v50, v59
	v_cvt_pk_f16_f32 v97, v99, v100
	v_pk_mul_f16 v89, v48, v59
	v_pk_mul_f16 v87, v49, v59
	v_mfma_f32_16x16x16_f16 v[76:79], v[54:55], v[96:97], v[76:79]
	s_waitcnt lgkmcnt(5)
	v_perm_b32 v55, v83, v82, s18
	v_perm_b32 v54, v81, v80, s18
	v_cvt_f32_f16_e32 v80, v53
	v_cvt_f32_f16_sdwa v81, v53 dst_sel:DWORD dst_unused:UNUSED_PAD src0_sel:WORD_1
	v_cvt_f32_f16_e32 v82, v50
	v_cvt_f32_f16_sdwa v83, v50 dst_sel:DWORD dst_unused:UNUSED_PAD src0_sel:WORD_1
	ds_read_u16 v50, v69 offset:272
	ds_read_u16 v53, v69 offset:304
	;; [unrolled: 1-line block ×3, first 2 shown]
	s_waitcnt lgkmcnt(7)
	v_perm_b32 v49, v86, v85, s18
	v_cvt_f32_f16_sdwa v85, v87 dst_sel:DWORD dst_unused:UNUSED_PAD src0_sel:WORD_1
	s_waitcnt lgkmcnt(2)
	v_perm_b32 v48, v50, v84, s18
	ds_read_u16 v50, v70 offset:128
	v_cvt_f32_f16_e32 v84, v87
	v_cvt_f32_f16_e32 v86, v89
	v_cvt_f32_f16_sdwa v87, v89 dst_sel:DWORD dst_unused:UNUSED_PAD src0_sel:WORD_1
	v_mfma_f32_16x16x16_f16 v[80:83], v[54:55], v[96:97], v[80:83]
	v_pk_mul_f16 v89, v46, v59
	v_perm_b32 v55, v101, v94, s18
	s_waitcnt lgkmcnt(2)
	v_perm_b32 v54, v53, v90, s18
	v_pk_mul_f16 v53, v45, v59
	v_pk_mul_f16 v94, v44, v59
	s_waitcnt lgkmcnt(0)
	v_perm_b32 v45, v102, v50, s18
	v_perm_b32 v44, v88, v91, s18
	v_mfma_f32_16x16x16_f16 v[84:87], v[48:49], v[96:97], v[84:87]
	v_cvt_f32_f16_e32 v48, v89
	v_cvt_f32_f16_sdwa v49, v89 dst_sel:DWORD dst_unused:UNUSED_PAD src0_sel:WORD_1
	v_cvt_f32_f16_e32 v88, v53
	v_cvt_f32_f16_sdwa v89, v53 dst_sel:DWORD dst_unused:UNUSED_PAD src0_sel:WORD_1
	v_cvt_f32_f16_e32 v90, v94
	v_cvt_f32_f16_sdwa v91, v94 dst_sel:DWORD dst_unused:UNUSED_PAD src0_sel:WORD_1
	v_pk_mul_f16 v47, v47, v59
	v_pk_mul_f16 v42, v42, v59
	;; [unrolled: 1-line block ×3, first 2 shown]
	v_mfma_f32_16x16x16_f16 v[88:91], v[44:45], v[96:97], v[88:91]
	v_perm_b32 v45, v103, v104, s18
	v_perm_b32 v44, v95, v93, s18
	v_cvt_f32_f16_e32 v46, v47
	v_cvt_f32_f16_sdwa v47, v47 dst_sel:DWORD dst_unused:UNUSED_PAD src0_sel:WORD_1
	v_add_f32_e32 v50, v75, v92
	v_cvt_f32_f16_e32 v92, v42
	v_cvt_f32_f16_sdwa v93, v42 dst_sel:DWORD dst_unused:UNUSED_PAD src0_sel:WORD_1
	v_cvt_f32_f16_e32 v94, v40
	v_cvt_f32_f16_sdwa v95, v40 dst_sel:DWORD dst_unused:UNUSED_PAD src0_sel:WORD_1
	v_mfma_f32_16x16x16_f16 v[46:49], v[54:55], v[96:97], v[46:49]
	v_add_f32_e32 v40, v99, v50
	v_add_f32_e32 v59, v100, v40
	v_cmp_lt_i32_e32 vcc, s84, v60
	v_mfma_f32_16x16x16_f16 v[92:95], v[44:45], v[96:97], v[92:95]
	v_fmac_f32_e32 v59, v74, v98
	s_nop 2
	v_cvt_pk_f16_f32 v47, v46, v47
	v_cvt_pk_f16_f32 v46, v48, v49
	;; [unrolled: 1-line block ×12, first 2 shown]
	s_barrier
	s_cbranch_vccz .LBB14_208
; %bb.204:                              ;   in Loop: Header=BB14_203 Depth=1
	v_mov_b32_e32 v74, v59
	v_mov_b32_e32 v59, v33
	s_ashr_i32 s7, s6, 31
	s_and_saveexec_b64 s[8:9], s[0:1]
	s_cbranch_execnz .LBB14_202
	s_branch .LBB14_203
.LBB14_205:
                                        ; implicit-def: $sgpr54_sgpr55
	s_load_dwordx2 s[46:47], s[0:1], 0x74
	v_cvt_f32_u32_e32 v1, s44
	s_branch .LBB14_2
.LBB14_206:
                                        ; implicit-def: $sgpr58_sgpr59
	s_load_dwordx2 s[34:35], s[0:1], 0x5c
	s_branch .LBB14_5
.LBB14_207:
	v_mov_b32_e32 v33, 0xfeffffff
	v_mov_b32_e32 v59, 0
	;; [unrolled: 1-line block ×14, first 2 shown]
.LBB14_208:
	s_lshl_b32 s0, s84, 6
	s_ashr_i32 s1, s0, 31
	v_cmp_gt_u32_e32 vcc, 4, v67
	s_and_saveexec_b64 s[6:7], vcc
	s_cbranch_execz .LBB14_210
; %bb.209:
	v_or_b32_e32 v12, s10, v67
	v_mul_hi_u32 v13, s34, v12
	v_add_u32_e32 v13, v12, v13
	v_lshrrev_b32_e32 v13, s35, v13
	s_lshl_b64 s[8:9], s[0:1], 1
	v_mul_lo_u32 v13, v13, s36
	s_add_u32 s4, s4, s8
	v_sub_u32_e32 v13, v12, v13
	s_addc_u32 s5, s5, s9
	v_lshlrev_b32_e32 v12, 2, v36
	v_mad_i64_i32 v[14:15], s[8:9], v13, s62, 0
	v_and_b32_e32 v12, 0x7c, v12
	v_lshl_add_u64 v[14:15], v[14:15], 1, s[4:5]
	v_mov_b32_e32 v13, 0
	v_lshl_add_u64 v[14:15], v[14:15], 0, v[12:13]
	global_load_dword v13, v[14:15], off
	v_mul_u32_u24_e32 v14, 0x90, v67
	v_add3_u32 v12, 0, v14, v12
	s_waitcnt vmcnt(0)
	ds_write_b32 v12, v13 offset:13312
.LBB14_210:
	s_or_b64 exec, exec, s[6:7]
	s_mul_hi_i32 s5, s0, s38
	s_mul_i32 s4, s0, s38
	s_lshl_b64 s[4:5], s[4:5], 2
	v_add_u32_e32 v32, v37, v56
	s_add_u32 s4, s11, s4
	v_mul_lo_u32 v12, s38, v32
	s_addc_u32 s5, s12, s5
	v_ashrrev_i32_e32 v13, 31, v12
	v_lshlrev_b32_e32 v16, 4, v36
	v_lshl_add_u64 v[14:15], v[12:13], 2, s[4:5]
	v_and_b32_e32 v12, 48, v16
	v_mov_b32_e32 v13, 0
	v_lshl_add_u64 v[60:61], v[14:15], 0, v[12:13]
	v_and_b32_e32 v14, 0x70, v16
	v_mul_lo_u32 v16, s38, v52
	v_ashrrev_i32_e32 v17, 31, v16
	v_lshl_add_u64 v[18:19], v[16:17], 2, s[4:5]
	v_lshl_add_u32 v16, s38, 5, v16
	v_ashrrev_i32_e32 v17, 31, v16
	v_mov_b32_e32 v15, v13
	v_lshl_add_u64 v[16:17], v[16:17], 2, s[4:5]
	v_lshl_add_u64 v[62:63], v[18:19], 0, v[14:15]
	;; [unrolled: 1-line block ×3, first 2 shown]
	global_load_dwordx4 v[16:19], v[60:61], off offset:128
	global_load_dwordx4 v[20:23], v[62:63], off
	global_load_dwordx4 v[26:29], v[64:65], off
	s_movk_i32 s6, 0xd0
	v_and_b32_e32 v61, 48, v37
	v_mul_u32_u24_e32 v60, 0xd0, v52
	v_and_b32_e32 v62, 0xfc, v56
	v_mul_lo_u32 v56, s14, v52
	v_mul_u32_u24_e32 v52, 0xd0, v32
	v_mad_u32_u24 v69, v61, s6, 0
	v_mul_lo_u32 v64, s14, v32
	v_add3_u32 v32, 0, v52, v12
	v_add3_u32 v51, v69, v51, v38
	;; [unrolled: 1-line block ×3, first 2 shown]
	v_mbcnt_hi_u32_b32 v63, -1, v57
	v_add_u16_e32 v61, v61, v62
	v_and_b32_e32 v62, 64, v63
	v_xor_b32_e32 v70, 32, v63
	v_lshrrev_b16_e32 v60, 1, v61
	v_add_u32_e32 v61, 64, v62
	v_xor_b32_e32 v71, 16, v63
	v_cmp_lt_i32_e32 vcc, v70, v61
	v_lshrrev_b32_e32 v58, 2, v58
	s_movk_i32 s7, 0x90
	s_movk_i32 s10, 0x3400
	v_mad_u32_u24 v58, v58, s7, 0
	s_mul_hi_i32 s9, s0, s14
	s_mul_i32 s8, s0, s14
	s_lshl_b64 s[8:9], s[8:9], 2
	s_add_u32 s8, s3, s8
	v_ashrrev_i32_e32 v57, 31, v56
	v_lshl_add_u32 v66, s14, 5, v56
	v_ashrrev_i32_e32 v65, 31, v64
	s_addc_u32 s9, s2, s9
	v_ashrrev_i32_e32 v67, 31, v66
	s_mov_b32 s5, 0x3fb8aa3b
	s_mov_b32 s1, 0xc2ce8ed0
	;; [unrolled: 1-line block ×3, first 2 shown]
	v_mov_b32_e32 v68, 0x7f800000
	s_mov_b32 s0, 0xc1a00000
	s_waitcnt vmcnt(2)
	ds_write_b128 v32, v[16:19] offset:128
	s_waitcnt vmcnt(1)
	ds_write_b128 v52, v[20:23]
	s_waitcnt vmcnt(0)
	ds_write_b128 v52, v[26:29] offset:6656
	s_waitcnt lgkmcnt(0)
	s_barrier
	ds_read2_b64 v[16:19], v51 offset1:4
	v_cndmask_b32_e32 v27, v63, v70, vcc
	v_cmp_lt_i32_e32 vcc, v71, v61
	ds_read2_b64 v[20:23], v51 offset0:8 offset1:12
	v_lshlrev_b32_e32 v26, 2, v60
	v_cndmask_b32_e32 v28, v63, v71, vcc
	s_waitcnt lgkmcnt(1)
	v_mfma_f32_16x16x16_f16 v[60:63], v[16:17], v[8:9], 0
	v_add3_u32 v26, v58, v26, s10
	v_lshlrev_b32_e32 v29, 2, v27
	v_lshlrev_b32_e32 v27, 2, v28
	v_mfma_f32_16x16x16_f16 v[8:11], v[18:19], v[10:11], v[60:63]
	ds_read2_b64 v[16:19], v51 offset0:16 offset1:20
	s_waitcnt lgkmcnt(0)
	s_barrier
	v_mfma_f32_16x16x16_f16 v[8:11], v[20:21], v[4:5], v[8:11]
	ds_read2_b32 v[20:21], v26 offset1:1
	v_mfma_f32_16x16x16_f16 v[4:7], v[22:23], v[6:7], v[8:11]
	v_mfma_f32_16x16x16_f16 v[4:7], v[16:17], v[0:1], v[4:7]
	s_waitcnt lgkmcnt(0)
	s_nop 3
	v_cvt_f32_f16_e32 v10, v20
	v_cvt_f32_f16_sdwa v11, v20 dst_sel:DWORD dst_unused:UNUSED_PAD src0_sel:WORD_1
	v_cvt_f32_f16_e32 v16, v21
	v_mfma_f32_16x16x16_f16 v[0:3], v[18:19], v[2:3], v[4:7]
	v_cvt_f32_f16_sdwa v17, v21 dst_sel:DWORD dst_unused:UNUSED_PAD src0_sel:WORD_1
	v_lshl_add_u64 v[8:9], v[64:65], 2, s[8:9]
	v_lshl_add_u64 v[12:13], v[8:9], 0, v[12:13]
	s_nop 4
	v_add_f32_e32 v18, v0, v10
	v_add_f32_e32 v19, v1, v11
	v_add_f32_e32 v20, v2, v16
	v_add_f32_e32 v21, v3, v17
	v_add_f32_e32 v0, 0x40051340, v18
	v_add_f32_e32 v1, 0x40051340, v19
	v_add_f32_e32 v2, 0x40051340, v20
	v_add_f32_e32 v3, 0x40051340, v21
	v_max3_f32 v0, v33, v0, v1
	v_max3_f32 v4, v0, v2, v3
	ds_bpermute_b32 v5, v29, v4
	v_lshl_add_u64 v[0:1], v[56:57], 2, s[8:9]
	v_lshl_add_u64 v[2:3], v[66:67], 2, s[8:9]
	;; [unrolled: 1-line block ×4, first 2 shown]
	s_waitcnt lgkmcnt(0)
	v_max_f32_e32 v0, v5, v5
	v_max_f32_e32 v22, v4, v0
	global_load_dwordx4 v[0:3], v[12:13], off offset:128
	global_load_dwordx4 v[4:7], v[16:17], off
	global_load_dwordx4 v[8:11], v[14:15], off
	ds_bpermute_b32 v23, v27, v22
	s_waitcnt vmcnt(2)
	ds_write_b128 v32, v[0:3] offset:128
	s_waitcnt vmcnt(1)
	ds_write_b128 v52, v[4:7]
	s_waitcnt vmcnt(0)
	ds_write_b128 v52, v[8:11] offset:6656
	s_waitcnt lgkmcnt(3)
	v_max_f32_e32 v12, v23, v23
	v_max_f32_e32 v26, v22, v12
	v_sub_f32_e32 v12, v18, v26
	v_mul_f32_e32 v15, 0x3fb8aa3b, v12
	v_sub_f32_e32 v13, v19, v26
	v_fma_f32 v18, v12, s5, -v15
	v_rndne_f32_e32 v19, v15
	v_fmac_f32_e32 v18, 0x32a5705f, v12
	v_sub_f32_e32 v15, v15, v19
	v_mul_f32_e32 v16, 0x3fb8aa3b, v13
	v_add_f32_e32 v15, v15, v18
	v_sub_f32_e32 v14, v20, v26
	v_fma_f32 v20, v13, s5, -v16
	v_rndne_f32_e32 v22, v16
	v_cvt_i32_f32_e32 v19, v19
	v_exp_f32_e32 v15, v15
	v_fmac_f32_e32 v20, 0x32a5705f, v13
	v_sub_f32_e32 v16, v16, v22
	v_mul_f32_e32 v17, 0x3fb8aa3b, v14
	v_add_f32_e32 v16, v16, v20
	v_fma_f32 v23, v14, s5, -v17
	v_rndne_f32_e32 v28, v17
	v_cvt_i32_f32_e32 v22, v22
	v_exp_f32_e32 v16, v16
	v_fmac_f32_e32 v23, 0x32a5705f, v14
	v_sub_f32_e32 v17, v17, v28
	v_ldexp_f32 v15, v15, v19
	v_cmp_ngt_f32_e32 vcc, s1, v12
	v_add_f32_e32 v17, v17, v23
	v_exp_f32_e32 v17, v17
	v_cndmask_b32_e32 v15, 0, v15, vcc
	v_cmp_nlt_f32_e32 vcc, s4, v12
	v_ldexp_f32 v16, v16, v22
	s_waitcnt lgkmcnt(0)
	v_cndmask_b32_e32 v12, v68, v15, vcc
	v_cvt_i32_f32_e32 v15, v28
	v_cmp_ngt_f32_e32 vcc, s1, v13
	s_barrier
	s_nop 0
	v_cndmask_b32_e32 v16, 0, v16, vcc
	v_cmp_nlt_f32_e32 vcc, s4, v13
	v_ldexp_f32 v15, v17, v15
	s_nop 0
	v_cndmask_b32_e32 v13, v68, v16, vcc
	v_sub_f32_e32 v16, v21, v26
	v_mul_f32_e32 v17, 0x3fb8aa3b, v16
	v_fma_f32 v18, v16, s5, -v17
	v_rndne_f32_e32 v19, v17
	v_fmac_f32_e32 v18, 0x32a5705f, v16
	v_sub_f32_e32 v17, v17, v19
	v_add_f32_e32 v17, v17, v18
	v_cvt_i32_f32_e32 v18, v19
	v_sub_f32_e32 v19, v33, v26
	v_mul_f32_e32 v20, 0x3fb8aa3b, v19
	v_fma_f32 v21, v19, s5, -v20
	v_rndne_f32_e32 v22, v20
	v_fmac_f32_e32 v21, 0x32a5705f, v19
	v_sub_f32_e32 v20, v20, v22
	v_add_f32_e32 v20, v20, v21
	v_exp_f32_e32 v17, v17
	v_exp_f32_e32 v20, v20
	v_cvt_i32_f32_e32 v21, v22
	v_cmp_ngt_f32_e32 vcc, s1, v14
	v_cvt_pk_f16_f32 v32, v12, v13
	s_nop 0
	v_cndmask_b32_e32 v15, 0, v15, vcc
	v_cmp_nlt_f32_e32 vcc, s4, v14
	s_nop 1
	v_cndmask_b32_e32 v14, v68, v15, vcc
	v_ldexp_f32 v15, v17, v18
	v_ldexp_f32 v17, v20, v21
	v_cmp_ngt_f32_e32 vcc, s1, v19
	v_or_b32_e32 v20, 2, v43
	v_mul_u32_u24_e32 v20, 0xd0, v20
	v_cndmask_b32_e32 v17, 0, v17, vcc
	v_cmp_nlt_f32_e32 vcc, s4, v19
	v_or_b32_e32 v21, 3, v43
	v_mul_u32_u24_e32 v21, 0xd0, v21
	v_cndmask_b32_e32 v17, v68, v17, vcc
	v_cmp_le_f32_e32 vcc, s0, v19
	v_and_b32_e32 v19, 0xfc, v43
	v_mul_u32_u24_e32 v19, 0xd0, v19
	v_cndmask_b32_e32 v22, 0, v17, vcc
	v_cvt_f16_f32_e32 v17, v22
	v_cmp_ngt_f32_e32 vcc, s1, v16
	v_add3_u32 v1, v69, v20, v41
	v_add3_u32 v0, v69, v19, v41
	v_mul_u32_u24_e32 v23, 0x10001, v17
	v_cndmask_b32_e32 v15, 0, v15, vcc
	v_cmp_nlt_f32_e32 vcc, s4, v16
	v_pk_mul_f16 v16, v54, v23
	v_pk_mul_f16 v17, v53, v23
	v_add3_u32 v2, v69, v21, v41
	s_mov_b32 s0, 0x5040100
	ds_read_u16 v3, v1
	ds_read_u16 v6, v1 offset:32
	ds_read_u16 v10, v0 offset:272
	;; [unrolled: 1-line block ×7, first 2 shown]
	ds_read_u16 v4, v2
	ds_read_u16 v7, v2 offset:32
	ds_read_u16 v21, v2 offset:64
	;; [unrolled: 1-line block ×7, first 2 shown]
	v_cndmask_b32_e32 v18, v68, v15, vcc
	v_pk_mul_f16 v15, v55, v23
	s_waitcnt lgkmcnt(7)
	v_perm_b32 v5, v4, v3, s0
	ds_read_u16 v1, v0 offset:208
	ds_read_u16 v2, v0
	ds_read_u16 v8, v0 offset:32
	ds_read_u16 v55, v0 offset:240
	;; [unrolled: 1-line block ×6, first 2 shown]
	s_waitcnt lgkmcnt(6)
	v_perm_b32 v4, v1, v2, s0
	v_cvt_f32_f16_e32 v0, v15
	v_cvt_f32_f16_sdwa v1, v15 dst_sel:DWORD dst_unused:UNUSED_PAD src0_sel:WORD_1
	v_cvt_f32_f16_e32 v2, v16
	v_cvt_f32_f16_sdwa v3, v16 dst_sel:DWORD dst_unused:UNUSED_PAD src0_sel:WORD_1
	v_pk_mul_f16 v15, v50, v23
	v_cvt_pk_f16_f32 v33, v14, v18
	v_perm_b32 v9, v7, v6, s0
	s_waitcnt lgkmcnt(4)
	v_perm_b32 v8, v55, v8, s0
	v_mfma_f32_16x16x16_f16 v[0:3], v[4:5], v[32:33], v[0:3]
	v_cvt_f32_f16_e32 v4, v17
	v_cvt_f32_f16_sdwa v5, v17 dst_sel:DWORD dst_unused:UNUSED_PAD src0_sel:WORD_1
	v_cvt_f32_f16_e32 v6, v15
	v_cvt_f32_f16_sdwa v7, v15 dst_sel:DWORD dst_unused:UNUSED_PAD src0_sel:WORD_1
	v_add_f32_e32 v15, v12, v13
	v_pk_mul_f16 v16, v49, v23
	v_pk_mul_f16 v17, v48, v23
	v_perm_b32 v13, v21, v11, s0
	s_waitcnt lgkmcnt(3)
	v_perm_b32 v12, v10, v56, s0
	v_mfma_f32_16x16x16_f16 v[4:7], v[8:9], v[32:33], v[4:7]
	v_cvt_f32_f16_e32 v8, v16
	v_cvt_f32_f16_sdwa v9, v16 dst_sel:DWORD dst_unused:UNUSED_PAD src0_sel:WORD_1
	v_cvt_f32_f16_e32 v10, v17
	v_cvt_f32_f16_sdwa v11, v17 dst_sel:DWORD dst_unused:UNUSED_PAD src0_sel:WORD_1
	v_add_f32_e32 v21, v14, v15
	v_pk_mul_f16 v14, v47, v23
	v_pk_mul_f16 v15, v46, v23
	;; [unrolled: 11-line block ×3, first 2 shown]
	v_perm_b32 v21, v52, v51, s0
	s_waitcnt lgkmcnt(1)
	v_perm_b32 v20, v28, v58, s0
	v_mfma_f32_16x16x16_f16 v[12:15], v[16:17], v[32:33], v[12:15]
	v_cvt_f32_f16_e32 v16, v18
	v_cvt_f32_f16_sdwa v17, v18 dst_sel:DWORD dst_unused:UNUSED_PAD src0_sel:WORD_1
	v_cvt_f32_f16_e32 v18, v19
	v_cvt_f32_f16_sdwa v19, v19 dst_sel:DWORD dst_unused:UNUSED_PAD src0_sel:WORD_1
	v_fmac_f32_e32 v46, v59, v22
	ds_bpermute_b32 v28, v29, v46
	v_pk_mul_f16 v22, v42, v23
	v_pk_mul_f16 v23, v40, v23
	v_perm_b32 v41, v53, v54, s0
	s_waitcnt lgkmcnt(1)
	v_perm_b32 v40, v43, v60, s0
	v_mfma_f32_16x16x16_f16 v[16:19], v[20:21], v[32:33], v[16:19]
	v_cvt_f32_f16_e32 v20, v22
	v_cvt_f32_f16_sdwa v21, v22 dst_sel:DWORD dst_unused:UNUSED_PAD src0_sel:WORD_1
	v_cvt_f32_f16_e32 v22, v23
	v_cvt_f32_f16_sdwa v23, v23 dst_sel:DWORD dst_unused:UNUSED_PAD src0_sel:WORD_1
	s_waitcnt lgkmcnt(0)
	v_add_f32_e32 v28, v46, v28
	v_cmp_gt_u32_e64 s[0:1], 16, v36
	v_mfma_f32_16x16x16_f16 v[20:23], v[40:41], v[32:33], v[20:23]
	ds_bpermute_b32 v32, v27, v28
	s_waitcnt lgkmcnt(0)
	s_barrier
	s_and_saveexec_b64 s[4:5], s[0:1]
; %bb.211:
	v_add_f32_e32 v28, v28, v32
	v_or_b32_e32 v32, v37, v36
	v_mad_u32_u24 v32, v32, s6, 0
	ds_write2_b32 v32, v26, v28 offset0:48 offset1:49
; %bb.212:
	s_or_b64 exec, exec, s[4:5]
	v_and_b32_e32 v26, 3, v31
	v_cmp_eq_u32_e32 vcc, 0, v26
	v_cmp_ne_u32_e64 s[4:5], 0, v26
	s_waitcnt lgkmcnt(0)
	s_barrier
	s_and_saveexec_b64 s[2:3], s[4:5]
	s_xor_b64 s[4:5], exec, s[2:3]
	s_cbranch_execz .LBB14_214
; %bb.213:
	s_barrier
                                        ; implicit-def: $vgpr36
                                        ; implicit-def: $vgpr29
                                        ; implicit-def: $vgpr27
                                        ; implicit-def: $vgpr39
.LBB14_214:
	s_andn2_saveexec_b64 s[6:7], s[4:5]
	s_cbranch_execz .LBB14_218
; %bb.215:
	v_add_u32_e32 v26, v37, v36
	s_movk_i32 s2, 0xd0
	v_mad_u32_u24 v40, v26, s2, 0
	ds_read_b64 v[32:33], v40 offset:192
	s_mov_b32 s2, 0x3fb8aa3b
	s_mov_b32 s3, 0x42b17218
	;; [unrolled: 1-line block ×3, first 2 shown]
	s_waitcnt lgkmcnt(0)
	ds_bpermute_b32 v26, v29, v32
	v_max_f32_e32 v28, v32, v32
	s_barrier
	s_waitcnt lgkmcnt(0)
	v_max_f32_e32 v26, v26, v26
	v_max_f32_e32 v26, v28, v26
	ds_bpermute_b32 v28, v27, v26
	s_waitcnt lgkmcnt(0)
	v_max_f32_e32 v28, v28, v28
	v_max_f32_e32 v26, v26, v28
	v_sub_f32_e32 v28, v32, v26
	v_mul_f32_e32 v32, 0x3fb8aa3b, v28
	v_fma_f32 v41, v28, s2, -v32
	v_rndne_f32_e32 v42, v32
	v_fmamk_f32 v41, v28, 0x32a5705f, v41
	v_sub_f32_e32 v32, v32, v42
	v_add_f32_e32 v32, v32, v41
	v_cvt_i32_f32_e32 v42, v42
	v_exp_f32_e32 v32, v32
	s_mov_b32 s2, 0xc2ce8ed0
	v_cmp_ngt_f32_e64 s[4:5], s2, v28
	v_mov_b32_e32 v41, 0x7f800000
	v_ldexp_f32 v32, v32, v42
	v_cndmask_b32_e64 v32, 0, v32, s[4:5]
	v_cmp_nlt_f32_e64 s[4:5], s3, v28
	s_nop 1
	v_cndmask_b32_e64 v28, v41, v32, s[4:5]
	v_mul_f32_e32 v32, v33, v28
	ds_bpermute_b32 v29, v29, v32
	s_waitcnt lgkmcnt(0)
	v_fmac_f32_e32 v29, v33, v28
	ds_bpermute_b32 v27, v27, v29
	s_waitcnt lgkmcnt(0)
	v_add_f32_e32 v29, v29, v27
	ds_write_b64 v40, v[28:29] offset:192
	s_and_saveexec_b64 s[4:5], s[0:1]
	s_cbranch_execz .LBB14_217
; %bb.216:
	s_add_i32 s0, s44, s33
	s_lshl_b32 s8, s0, 4
	s_lshl_b64 s[0:1], s[8:9], 3
	s_add_u32 s0, s30, s0
	v_or_b32_e32 v27, v39, v36
	s_addc_u32 s1, s31, s1
	v_lshlrev_b32_e32 v28, 3, v27
	v_mov_b32_e32 v27, v29
	global_store_dwordx2 v28, v[26:27], s[0:1]
.LBB14_217:
	s_or_b64 exec, exec, s[4:5]
.LBB14_218:
	s_or_b64 exec, exec, s[6:7]
	v_cvt_pk_f16_f32 v0, v0, v1
	v_cvt_pk_f16_f32 v1, v6, v7
	;; [unrolled: 1-line block ×3, first 2 shown]
	v_or_b32_e32 v12, v37, v24
	v_mul_u32_u24_e32 v12, 0xd0, v12
	v_cvt_pk_f16_f32 v2, v2, v3
	s_movk_i32 s4, 0xd0
	s_mov_b32 s3, 0
	v_add3_u32 v12, 0, v12, v38
	v_cvt_pk_f16_f32 v3, v4, v5
	v_cvt_pk_f16_f32 v4, v10, v11
	;; [unrolled: 1-line block ×8, first 2 shown]
	ds_write2_b32 v12, v0, v2 offset1:1
	ds_write2_b32 v12, v3, v1 offset0:8 offset1:9
	ds_write2_b32 v12, v5, v4 offset0:16 offset1:17
	;; [unrolled: 1-line block ×5, first 2 shown]
	s_waitcnt lgkmcnt(0)
	s_barrier
	s_and_saveexec_b64 s[0:1], vcc
	s_cbranch_execz .LBB14_220
; %bb.219:
	s_mul_i32 s2, s33, 0x300
	s_lshl_b64 s[6:7], s[2:3], 3
	s_add_u32 s5, s30, s6
	s_addc_u32 s6, s31, s7
	s_lshl_b32 s2, s44, 5
	v_lshrrev_b32_e32 v0, 1, v31
	s_lshl_b64 s[2:3], s[2:3], 3
	v_add_u32_e32 v12, v0, v35
	s_add_u32 s2, s5, s2
	v_lshlrev_b32_e32 v0, 2, v12
	v_and_b32_e32 v1, 15, v12
	s_movk_i32 s5, 0xfc0
	v_and_or_b32 v2, v0, s5, v1
	v_mad_u32_u24 v8, v2, s4, v25
	ds_read2st64_b32 v[0:1], v8 offset1:13
	v_mad_u32_u24 v2, v2, s4, 0
	v_add_u32_e32 v6, 0xc0, v2
	ds_read2st64_b32 v[2:3], v6 offset1:13
	ds_read2st64_b32 v[6:7], v6 offset0:26 offset1:39
	ds_read2st64_b32 v[8:9], v8 offset0:26 offset1:39
	s_waitcnt lgkmcnt(3)
	v_cvt_f32_f16_e32 v4, v0
	v_cvt_f32_f16_sdwa v5, v0 dst_sel:DWORD dst_unused:UNUSED_PAD src0_sel:WORD_1
	v_cvt_f32_f16_e32 v0, v1
	v_cvt_f32_f16_sdwa v1, v1 dst_sel:DWORD dst_unused:UNUSED_PAD src0_sel:WORD_1
	s_waitcnt lgkmcnt(0)
	v_cvt_f32_f16_e32 v10, v8
	v_cvt_f32_f16_sdwa v11, v8 dst_sel:DWORD dst_unused:UNUSED_PAD src0_sel:WORD_1
	v_cvt_f32_f16_e32 v8, v9
	v_cvt_f32_f16_sdwa v9, v9 dst_sel:DWORD dst_unused:UNUSED_PAD src0_sel:WORD_1
	v_pk_fma_f32 v[4:5], v[2:3], v[4:5], 0 op_sel_hi:[0,1,0]
	v_mov_b32_e32 v2, v3
	v_pk_fma_f32 v[0:1], v[2:3], v[0:1], v[4:5] op_sel_hi:[0,1,1]
	v_pk_fma_f32 v[0:1], v[6:7], v[10:11], v[0:1] op_sel_hi:[0,1,1]
	v_mov_b32_e32 v2, v7
	v_pk_fma_f32 v[0:1], v[2:3], v[8:9], v[0:1] op_sel_hi:[0,1,1]
	v_add_u32_e32 v2, 2, v12
	v_lshlrev_b32_e32 v3, 2, v2
	v_and_b32_e32 v2, 15, v2
	s_movk_i32 s5, 0x1fc0
	v_and_or_b32 v4, v3, s5, v2
	v_mul_u32_u24_e32 v13, 48, v12
	v_mad_u32_u24 v8, v4, s4, v25
	s_addc_u32 s3, s6, s3
	ds_read2st64_b32 v[2:3], v8 offset1:13
	v_add_lshl_u32 v13, v13, v30, 3
	v_mad_u32_u24 v4, v4, s4, 0
	v_add_u32_e32 v9, 0xc0, v4
	global_store_dwordx2 v13, v[0:1], s[2:3]
	ds_read2st64_b32 v[4:5], v9 offset1:13
	ds_read2st64_b32 v[0:1], v9 offset0:26 offset1:39
	ds_read2st64_b32 v[8:9], v8 offset0:26 offset1:39
	s_waitcnt lgkmcnt(3)
	v_cvt_f32_f16_e32 v6, v2
	v_cvt_f32_f16_sdwa v7, v2 dst_sel:DWORD dst_unused:UNUSED_PAD src0_sel:WORD_1
	v_cvt_f32_f16_e32 v2, v3
	v_cvt_f32_f16_sdwa v3, v3 dst_sel:DWORD dst_unused:UNUSED_PAD src0_sel:WORD_1
	s_waitcnt lgkmcnt(0)
	v_cvt_f32_f16_e32 v10, v8
	v_cvt_f32_f16_sdwa v11, v8 dst_sel:DWORD dst_unused:UNUSED_PAD src0_sel:WORD_1
	v_cvt_f32_f16_e32 v8, v9
	v_cvt_f32_f16_sdwa v9, v9 dst_sel:DWORD dst_unused:UNUSED_PAD src0_sel:WORD_1
	v_pk_fma_f32 v[6:7], v[4:5], v[6:7], 0 op_sel_hi:[0,1,0]
	v_mov_b32_e32 v4, v5
	v_pk_fma_f32 v[2:3], v[4:5], v[2:3], v[6:7] op_sel_hi:[0,1,1]
	v_pk_fma_f32 v[2:3], v[0:1], v[10:11], v[2:3] op_sel_hi:[0,1,1]
	v_mov_b32_e32 v0, v1
	v_pk_fma_f32 v[0:1], v[0:1], v[8:9], v[2:3] op_sel_hi:[0,1,1]
	v_add_u32_e32 v2, 4, v12
	v_lshlrev_b32_e32 v3, 2, v2
	v_and_b32_e32 v2, 15, v2
	v_and_or_b32 v4, v3, s5, v2
	v_mad_u32_u24 v8, v4, s4, v25
	ds_read2st64_b32 v[2:3], v8 offset1:13
	global_store_dwordx2 v13, v[0:1], s[2:3] offset:768
	v_mad_u32_u24 v0, v4, s4, 0
	v_add_u32_e32 v6, 0xc0, v0
	ds_read2st64_b32 v[0:1], v6 offset1:13
	ds_read2st64_b32 v[6:7], v6 offset0:26 offset1:39
	ds_read2st64_b32 v[8:9], v8 offset0:26 offset1:39
	s_waitcnt lgkmcnt(3)
	v_cvt_f32_f16_e32 v4, v2
	v_cvt_f32_f16_sdwa v5, v2 dst_sel:DWORD dst_unused:UNUSED_PAD src0_sel:WORD_1
	v_cvt_f32_f16_e32 v2, v3
	v_cvt_f32_f16_sdwa v3, v3 dst_sel:DWORD dst_unused:UNUSED_PAD src0_sel:WORD_1
	s_waitcnt lgkmcnt(0)
	v_cvt_f32_f16_e32 v10, v8
	v_cvt_f32_f16_sdwa v11, v8 dst_sel:DWORD dst_unused:UNUSED_PAD src0_sel:WORD_1
	v_cvt_f32_f16_e32 v8, v9
	v_cvt_f32_f16_sdwa v9, v9 dst_sel:DWORD dst_unused:UNUSED_PAD src0_sel:WORD_1
	v_pk_fma_f32 v[4:5], v[0:1], v[4:5], 0 op_sel_hi:[0,1,0]
	v_mov_b32_e32 v0, v1
	v_pk_fma_f32 v[0:1], v[0:1], v[2:3], v[4:5] op_sel_hi:[0,1,1]
	v_pk_fma_f32 v[0:1], v[6:7], v[10:11], v[0:1] op_sel_hi:[0,1,1]
	v_mov_b32_e32 v2, v7
	v_pk_fma_f32 v[0:1], v[2:3], v[8:9], v[0:1] op_sel_hi:[0,1,1]
	v_add_u32_e32 v2, 6, v12
	v_lshlrev_b32_e32 v3, 2, v2
	v_and_b32_e32 v2, 15, v2
	v_and_or_b32 v4, v3, s5, v2
	v_add_u32_e32 v14, 0x600, v13
	v_mad_u32_u24 v8, v4, s4, v25
	ds_read2st64_b32 v[2:3], v8 offset1:13
	global_store_dwordx2 v14, v[0:1], s[2:3]
	v_mad_u32_u24 v0, v4, s4, 0
	v_add_u32_e32 v6, 0xc0, v0
	ds_read2st64_b32 v[0:1], v6 offset1:13
	ds_read2st64_b32 v[6:7], v6 offset0:26 offset1:39
	ds_read2st64_b32 v[8:9], v8 offset0:26 offset1:39
	s_waitcnt lgkmcnt(3)
	v_cvt_f32_f16_e32 v4, v2
	v_cvt_f32_f16_sdwa v5, v2 dst_sel:DWORD dst_unused:UNUSED_PAD src0_sel:WORD_1
	v_cvt_f32_f16_e32 v2, v3
	v_cvt_f32_f16_sdwa v3, v3 dst_sel:DWORD dst_unused:UNUSED_PAD src0_sel:WORD_1
	s_waitcnt lgkmcnt(0)
	v_cvt_f32_f16_e32 v10, v8
	v_cvt_f32_f16_sdwa v11, v8 dst_sel:DWORD dst_unused:UNUSED_PAD src0_sel:WORD_1
	v_cvt_f32_f16_e32 v8, v9
	v_cvt_f32_f16_sdwa v9, v9 dst_sel:DWORD dst_unused:UNUSED_PAD src0_sel:WORD_1
	v_pk_fma_f32 v[4:5], v[0:1], v[4:5], 0 op_sel_hi:[0,1,0]
	v_mov_b32_e32 v0, v1
	v_pk_fma_f32 v[0:1], v[0:1], v[2:3], v[4:5] op_sel_hi:[0,1,1]
	v_pk_fma_f32 v[0:1], v[6:7], v[10:11], v[0:1] op_sel_hi:[0,1,1]
	v_mov_b32_e32 v2, v7
	v_pk_fma_f32 v[0:1], v[2:3], v[8:9], v[0:1] op_sel_hi:[0,1,1]
	v_add_u32_e32 v2, 8, v12
	v_lshlrev_b32_e32 v3, 2, v2
	v_and_b32_e32 v2, 15, v2
	v_and_or_b32 v4, v3, s5, v2
	v_add_u32_e32 v14, 0x900, v13
	v_mad_u32_u24 v8, v4, s4, v25
	ds_read2st64_b32 v[2:3], v8 offset1:13
	global_store_dwordx2 v14, v[0:1], s[2:3]
	;; [unrolled: 29-line block ×5, first 2 shown]
	v_mad_u32_u24 v0, v4, s4, 0
	v_add_u32_e32 v6, 0xc0, v0
	ds_read2st64_b32 v[0:1], v6 offset1:13
	ds_read2st64_b32 v[6:7], v6 offset0:26 offset1:39
	ds_read2st64_b32 v[8:9], v8 offset0:26 offset1:39
	s_waitcnt lgkmcnt(3)
	v_cvt_f32_f16_e32 v4, v2
	v_cvt_f32_f16_sdwa v5, v2 dst_sel:DWORD dst_unused:UNUSED_PAD src0_sel:WORD_1
	v_cvt_f32_f16_e32 v2, v3
	v_cvt_f32_f16_sdwa v3, v3 dst_sel:DWORD dst_unused:UNUSED_PAD src0_sel:WORD_1
	s_waitcnt lgkmcnt(0)
	v_cvt_f32_f16_e32 v10, v8
	v_cvt_f32_f16_sdwa v11, v8 dst_sel:DWORD dst_unused:UNUSED_PAD src0_sel:WORD_1
	v_cvt_f32_f16_e32 v8, v9
	v_cvt_f32_f16_sdwa v9, v9 dst_sel:DWORD dst_unused:UNUSED_PAD src0_sel:WORD_1
	v_pk_fma_f32 v[4:5], v[0:1], v[4:5], 0 op_sel_hi:[0,1,0]
	v_mov_b32_e32 v0, v1
	v_pk_fma_f32 v[0:1], v[0:1], v[2:3], v[4:5] op_sel_hi:[0,1,1]
	v_pk_fma_f32 v[0:1], v[6:7], v[10:11], v[0:1] op_sel_hi:[0,1,1]
	v_mov_b32_e32 v2, v7
	v_add_u32_e32 v12, 0x1500, v13
	v_pk_fma_f32 v[0:1], v[2:3], v[8:9], v[0:1] op_sel_hi:[0,1,1]
	v_add_u32_e32 v16, v34, v31
	global_store_dwordx2 v12, v[0:1], s[2:3]
	v_lshlrev_b32_e32 v0, 2, v16
	v_and_b32_e32 v1, 15, v16
	v_lshl_add_u32 v17, v24, 2, 0
	v_and_or_b32 v0, v0, s5, v1
	v_mad_u32_u24 v2, v0, s4, 0
	v_mad_u32_u24 v0, v0, s4, v17
	v_add_u32_e32 v6, 0x80, v0
	ds_read2st64_b32 v[0:1], v6 offset1:13
	v_add_u32_e32 v4, 0xc0, v2
	ds_read2st64_b32 v[2:3], v4 offset1:13
	ds_read2st64_b32 v[4:5], v4 offset0:26 offset1:39
	ds_read2st64_b32 v[6:7], v6 offset0:26 offset1:39
	v_mad_u32_u24 v10, v16, 48, v24
	v_mov_b32_e32 v11, 0
	s_waitcnt lgkmcnt(3)
	v_cvt_f32_f16_e32 v8, v0
	v_cvt_f32_f16_sdwa v9, v0 dst_sel:DWORD dst_unused:UNUSED_PAD src0_sel:WORD_1
	v_cvt_f32_f16_e32 v0, v1
	v_cvt_f32_f16_sdwa v1, v1 dst_sel:DWORD dst_unused:UNUSED_PAD src0_sel:WORD_1
	s_waitcnt lgkmcnt(0)
	v_cvt_f32_f16_e32 v14, v6
	v_cvt_f32_f16_sdwa v15, v6 dst_sel:DWORD dst_unused:UNUSED_PAD src0_sel:WORD_1
	v_cvt_f32_f16_e32 v6, v7
	v_cvt_f32_f16_sdwa v7, v7 dst_sel:DWORD dst_unused:UNUSED_PAD src0_sel:WORD_1
	v_pk_fma_f32 v[8:9], v[2:3], v[8:9], 0 op_sel_hi:[0,1,0]
	v_mov_b32_e32 v2, v3
	v_pk_fma_f32 v[0:1], v[2:3], v[0:1], v[8:9] op_sel_hi:[0,1,1]
	v_pk_fma_f32 v[0:1], v[4:5], v[14:15], v[0:1] op_sel_hi:[0,1,1]
	v_mov_b32_e32 v2, v5
	v_lshl_add_u64 v[12:13], v[10:11], 3, s[2:3]
	v_pk_fma_f32 v[0:1], v[2:3], v[6:7], v[0:1] op_sel_hi:[0,1,1]
	global_store_dwordx2 v[12:13], v[0:1], off offset:256
	v_add_u32_e32 v0, 4, v16
	v_lshlrev_b32_e32 v1, 2, v0
	v_and_b32_e32 v0, 15, v0
	s_movk_i32 s5, 0x3fc0
	v_and_or_b32 v0, v1, s5, v0
	v_mad_u32_u24 v2, v0, s4, 0
	v_mad_u32_u24 v0, v0, s4, v17
	v_add_u32_e32 v6, 0x80, v0
	ds_read2st64_b32 v[0:1], v6 offset1:13
	v_add_u32_e32 v4, 0xc0, v2
	ds_read2st64_b32 v[2:3], v4 offset1:13
	ds_read2st64_b32 v[4:5], v4 offset0:26 offset1:39
	ds_read2st64_b32 v[6:7], v6 offset0:26 offset1:39
	v_add_u32_e32 v12, 0xc0, v10
	v_mov_b32_e32 v13, v11
	s_waitcnt lgkmcnt(3)
	v_cvt_f32_f16_e32 v8, v0
	v_cvt_f32_f16_sdwa v9, v0 dst_sel:DWORD dst_unused:UNUSED_PAD src0_sel:WORD_1
	v_cvt_f32_f16_e32 v0, v1
	v_cvt_f32_f16_sdwa v1, v1 dst_sel:DWORD dst_unused:UNUSED_PAD src0_sel:WORD_1
	s_waitcnt lgkmcnt(0)
	v_cvt_f32_f16_e32 v14, v6
	v_cvt_f32_f16_sdwa v15, v6 dst_sel:DWORD dst_unused:UNUSED_PAD src0_sel:WORD_1
	v_cvt_f32_f16_e32 v6, v7
	v_cvt_f32_f16_sdwa v7, v7 dst_sel:DWORD dst_unused:UNUSED_PAD src0_sel:WORD_1
	v_pk_fma_f32 v[8:9], v[2:3], v[8:9], 0 op_sel_hi:[0,1,0]
	v_mov_b32_e32 v2, v3
	v_pk_fma_f32 v[0:1], v[2:3], v[0:1], v[8:9] op_sel_hi:[0,1,1]
	v_pk_fma_f32 v[0:1], v[4:5], v[14:15], v[0:1] op_sel_hi:[0,1,1]
	v_mov_b32_e32 v2, v5
	v_lshl_add_u64 v[12:13], v[12:13], 3, s[2:3]
	v_pk_fma_f32 v[0:1], v[2:3], v[6:7], v[0:1] op_sel_hi:[0,1,1]
	global_store_dwordx2 v[12:13], v[0:1], off offset:256
	v_add_u32_e32 v0, 8, v16
	v_lshlrev_b32_e32 v1, 2, v0
	v_and_b32_e32 v0, 15, v0
	v_and_or_b32 v0, v1, s5, v0
	v_mad_u32_u24 v2, v0, s4, 0
	v_mad_u32_u24 v0, v0, s4, v17
	v_add_u32_e32 v6, 0x80, v0
	ds_read2st64_b32 v[0:1], v6 offset1:13
	v_add_u32_e32 v4, 0xc0, v2
	ds_read2st64_b32 v[2:3], v4 offset1:13
	ds_read2st64_b32 v[4:5], v4 offset0:26 offset1:39
	ds_read2st64_b32 v[6:7], v6 offset0:26 offset1:39
	v_add_u32_e32 v12, 0x180, v10
	v_mov_b32_e32 v13, v11
	s_waitcnt lgkmcnt(3)
	v_cvt_f32_f16_e32 v8, v0
	v_cvt_f32_f16_sdwa v9, v0 dst_sel:DWORD dst_unused:UNUSED_PAD src0_sel:WORD_1
	v_cvt_f32_f16_e32 v0, v1
	v_cvt_f32_f16_sdwa v1, v1 dst_sel:DWORD dst_unused:UNUSED_PAD src0_sel:WORD_1
	s_waitcnt lgkmcnt(0)
	v_cvt_f32_f16_e32 v14, v6
	v_cvt_f32_f16_sdwa v15, v6 dst_sel:DWORD dst_unused:UNUSED_PAD src0_sel:WORD_1
	v_cvt_f32_f16_e32 v6, v7
	v_cvt_f32_f16_sdwa v7, v7 dst_sel:DWORD dst_unused:UNUSED_PAD src0_sel:WORD_1
	v_pk_fma_f32 v[8:9], v[2:3], v[8:9], 0 op_sel_hi:[0,1,0]
	v_mov_b32_e32 v2, v3
	v_pk_fma_f32 v[0:1], v[2:3], v[0:1], v[8:9] op_sel_hi:[0,1,1]
	v_pk_fma_f32 v[0:1], v[4:5], v[14:15], v[0:1] op_sel_hi:[0,1,1]
	v_mov_b32_e32 v2, v5
	v_lshl_add_u64 v[12:13], v[12:13], 3, s[2:3]
	v_pk_fma_f32 v[0:1], v[2:3], v[6:7], v[0:1] op_sel_hi:[0,1,1]
	global_store_dwordx2 v[12:13], v[0:1], off offset:256
	v_add_u32_e32 v0, 12, v16
	v_lshlrev_b32_e32 v1, 2, v0
	v_and_b32_e32 v0, 15, v0
	v_and_or_b32 v2, v1, s5, v0
	v_mad_u32_u24 v0, v2, s4, v17
	v_add_u32_e32 v8, 0x80, v0
	ds_read2st64_b32 v[0:1], v8 offset1:13
	v_mad_u32_u24 v2, v2, s4, 0
	v_add_u32_e32 v4, 0xc0, v2
	ds_read2st64_b32 v[2:3], v4 offset1:13
	ds_read2st64_b32 v[4:5], v4 offset0:26 offset1:39
	ds_read2st64_b32 v[8:9], v8 offset0:26 offset1:39
	s_waitcnt lgkmcnt(3)
	v_cvt_f32_f16_e32 v6, v0
	v_cvt_f32_f16_sdwa v7, v0 dst_sel:DWORD dst_unused:UNUSED_PAD src0_sel:WORD_1
	v_cvt_f32_f16_e32 v0, v1
	v_cvt_f32_f16_sdwa v1, v1 dst_sel:DWORD dst_unused:UNUSED_PAD src0_sel:WORD_1
	s_waitcnt lgkmcnt(0)
	v_cvt_f32_f16_e32 v12, v8
	v_cvt_f32_f16_sdwa v13, v8 dst_sel:DWORD dst_unused:UNUSED_PAD src0_sel:WORD_1
	v_cvt_f32_f16_e32 v8, v9
	v_cvt_f32_f16_sdwa v9, v9 dst_sel:DWORD dst_unused:UNUSED_PAD src0_sel:WORD_1
	v_pk_fma_f32 v[6:7], v[2:3], v[6:7], 0 op_sel_hi:[0,1,0]
	v_mov_b32_e32 v2, v3
	v_pk_fma_f32 v[0:1], v[2:3], v[0:1], v[6:7] op_sel_hi:[0,1,1]
	v_add_u32_e32 v10, 0x240, v10
	v_pk_fma_f32 v[0:1], v[4:5], v[12:13], v[0:1] op_sel_hi:[0,1,1]
	v_mov_b32_e32 v2, v5
	v_lshl_add_u64 v[10:11], v[10:11], 3, s[2:3]
	v_pk_fma_f32 v[0:1], v[2:3], v[8:9], v[0:1] op_sel_hi:[0,1,1]
	global_store_dwordx2 v[10:11], v[0:1], off offset:256
.LBB14_220:
	s_or_b64 exec, exec, s[0:1]
	s_barrier
	s_endpgm
	.section	.rodata,"a",@progbits
	.p2align	6, 0x0
	.amdhsa_kernel _ZL18flash_attn_ext_f16ILi96ELi96ELi4ELi4ELb0ELb0EEvPKcS1_S1_S1_S1_PKiPfP15HIP_vector_typeIfLj2EEffffjfiS5_IjLj3EEiiiiiiiiiiiliiliiiiil
		.amdhsa_group_segment_fixed_size 0
		.amdhsa_private_segment_fixed_size 0
		.amdhsa_kernarg_size 464
		.amdhsa_user_sgpr_count 2
		.amdhsa_user_sgpr_dispatch_ptr 0
		.amdhsa_user_sgpr_queue_ptr 0
		.amdhsa_user_sgpr_kernarg_segment_ptr 1
		.amdhsa_user_sgpr_dispatch_id 0
		.amdhsa_user_sgpr_kernarg_preload_length 0
		.amdhsa_user_sgpr_kernarg_preload_offset 0
		.amdhsa_user_sgpr_private_segment_size 0
		.amdhsa_uses_dynamic_stack 0
		.amdhsa_enable_private_segment 0
		.amdhsa_system_sgpr_workgroup_id_x 1
		.amdhsa_system_sgpr_workgroup_id_y 0
		.amdhsa_system_sgpr_workgroup_id_z 0
		.amdhsa_system_sgpr_workgroup_info 0
		.amdhsa_system_vgpr_workitem_id 1
		.amdhsa_next_free_vgpr 165
		.amdhsa_next_free_sgpr 100
		.amdhsa_accum_offset 168
		.amdhsa_reserve_vcc 1
		.amdhsa_float_round_mode_32 0
		.amdhsa_float_round_mode_16_64 0
		.amdhsa_float_denorm_mode_32 3
		.amdhsa_float_denorm_mode_16_64 3
		.amdhsa_dx10_clamp 1
		.amdhsa_ieee_mode 1
		.amdhsa_fp16_overflow 0
		.amdhsa_tg_split 0
		.amdhsa_exception_fp_ieee_invalid_op 0
		.amdhsa_exception_fp_denorm_src 0
		.amdhsa_exception_fp_ieee_div_zero 0
		.amdhsa_exception_fp_ieee_overflow 0
		.amdhsa_exception_fp_ieee_underflow 0
		.amdhsa_exception_fp_ieee_inexact 0
		.amdhsa_exception_int_div_zero 0
	.end_amdhsa_kernel
	.section	.text._ZL18flash_attn_ext_f16ILi96ELi96ELi4ELi4ELb0ELb0EEvPKcS1_S1_S1_S1_PKiPfP15HIP_vector_typeIfLj2EEffffjfiS5_IjLj3EEiiiiiiiiiiiliiliiiiil,"axG",@progbits,_ZL18flash_attn_ext_f16ILi96ELi96ELi4ELi4ELb0ELb0EEvPKcS1_S1_S1_S1_PKiPfP15HIP_vector_typeIfLj2EEffffjfiS5_IjLj3EEiiiiiiiiiiiliiliiiiil,comdat
.Lfunc_end14:
	.size	_ZL18flash_attn_ext_f16ILi96ELi96ELi4ELi4ELb0ELb0EEvPKcS1_S1_S1_S1_PKiPfP15HIP_vector_typeIfLj2EEffffjfiS5_IjLj3EEiiiiiiiiiiiliiliiiiil, .Lfunc_end14-_ZL18flash_attn_ext_f16ILi96ELi96ELi4ELi4ELb0ELb0EEvPKcS1_S1_S1_S1_PKiPfP15HIP_vector_typeIfLj2EEffffjfiS5_IjLj3EEiiiiiiiiiiiliiliiiiil
                                        ; -- End function
	.set _ZL18flash_attn_ext_f16ILi96ELi96ELi4ELi4ELb0ELb0EEvPKcS1_S1_S1_S1_PKiPfP15HIP_vector_typeIfLj2EEffffjfiS5_IjLj3EEiiiiiiiiiiiliiliiiiil.num_vgpr, 165
	.set _ZL18flash_attn_ext_f16ILi96ELi96ELi4ELi4ELb0ELb0EEvPKcS1_S1_S1_S1_PKiPfP15HIP_vector_typeIfLj2EEffffjfiS5_IjLj3EEiiiiiiiiiiiliiliiiiil.num_agpr, 0
	.set _ZL18flash_attn_ext_f16ILi96ELi96ELi4ELi4ELb0ELb0EEvPKcS1_S1_S1_S1_PKiPfP15HIP_vector_typeIfLj2EEffffjfiS5_IjLj3EEiiiiiiiiiiiliiliiiiil.numbered_sgpr, 100
	.set _ZL18flash_attn_ext_f16ILi96ELi96ELi4ELi4ELb0ELb0EEvPKcS1_S1_S1_S1_PKiPfP15HIP_vector_typeIfLj2EEffffjfiS5_IjLj3EEiiiiiiiiiiiliiliiiiil.num_named_barrier, 0
	.set _ZL18flash_attn_ext_f16ILi96ELi96ELi4ELi4ELb0ELb0EEvPKcS1_S1_S1_S1_PKiPfP15HIP_vector_typeIfLj2EEffffjfiS5_IjLj3EEiiiiiiiiiiiliiliiiiil.private_seg_size, 0
	.set _ZL18flash_attn_ext_f16ILi96ELi96ELi4ELi4ELb0ELb0EEvPKcS1_S1_S1_S1_PKiPfP15HIP_vector_typeIfLj2EEffffjfiS5_IjLj3EEiiiiiiiiiiiliiliiiiil.uses_vcc, 1
	.set _ZL18flash_attn_ext_f16ILi96ELi96ELi4ELi4ELb0ELb0EEvPKcS1_S1_S1_S1_PKiPfP15HIP_vector_typeIfLj2EEffffjfiS5_IjLj3EEiiiiiiiiiiiliiliiiiil.uses_flat_scratch, 0
	.set _ZL18flash_attn_ext_f16ILi96ELi96ELi4ELi4ELb0ELb0EEvPKcS1_S1_S1_S1_PKiPfP15HIP_vector_typeIfLj2EEffffjfiS5_IjLj3EEiiiiiiiiiiiliiliiiiil.has_dyn_sized_stack, 0
	.set _ZL18flash_attn_ext_f16ILi96ELi96ELi4ELi4ELb0ELb0EEvPKcS1_S1_S1_S1_PKiPfP15HIP_vector_typeIfLj2EEffffjfiS5_IjLj3EEiiiiiiiiiiiliiliiiiil.has_recursion, 0
	.set _ZL18flash_attn_ext_f16ILi96ELi96ELi4ELi4ELb0ELb0EEvPKcS1_S1_S1_S1_PKiPfP15HIP_vector_typeIfLj2EEffffjfiS5_IjLj3EEiiiiiiiiiiiliiliiiiil.has_indirect_call, 0
	.section	.AMDGPU.csdata,"",@progbits
; Kernel info:
; codeLenInByte = 31764
; TotalNumSgprs: 106
; NumVgprs: 165
; NumAgprs: 0
; TotalNumVgprs: 165
; ScratchSize: 0
; MemoryBound: 0
; FloatMode: 240
; IeeeMode: 1
; LDSByteSize: 0 bytes/workgroup (compile time only)
; SGPRBlocks: 13
; VGPRBlocks: 20
; NumSGPRsForWavesPerEU: 106
; NumVGPRsForWavesPerEU: 165
; AccumOffset: 168
; Occupancy: 3
; WaveLimiterHint : 1
; COMPUTE_PGM_RSRC2:SCRATCH_EN: 0
; COMPUTE_PGM_RSRC2:USER_SGPR: 2
; COMPUTE_PGM_RSRC2:TRAP_HANDLER: 0
; COMPUTE_PGM_RSRC2:TGID_X_EN: 1
; COMPUTE_PGM_RSRC2:TGID_Y_EN: 0
; COMPUTE_PGM_RSRC2:TGID_Z_EN: 0
; COMPUTE_PGM_RSRC2:TIDIG_COMP_CNT: 1
; COMPUTE_PGM_RSRC3_GFX90A:ACCUM_OFFSET: 41
; COMPUTE_PGM_RSRC3_GFX90A:TG_SPLIT: 0
	.section	.text._ZL18flash_attn_ext_f16ILi96ELi96ELi4ELi4ELb1ELb0EEvPKcS1_S1_S1_S1_PKiPfP15HIP_vector_typeIfLj2EEffffjfiS5_IjLj3EEiiiiiiiiiiiliiliiiiil,"axG",@progbits,_ZL18flash_attn_ext_f16ILi96ELi96ELi4ELi4ELb1ELb0EEvPKcS1_S1_S1_S1_PKiPfP15HIP_vector_typeIfLj2EEffffjfiS5_IjLj3EEiiiiiiiiiiiliiliiiiil,comdat
	.globl	_ZL18flash_attn_ext_f16ILi96ELi96ELi4ELi4ELb1ELb0EEvPKcS1_S1_S1_S1_PKiPfP15HIP_vector_typeIfLj2EEffffjfiS5_IjLj3EEiiiiiiiiiiiliiliiiiil ; -- Begin function _ZL18flash_attn_ext_f16ILi96ELi96ELi4ELi4ELb1ELb0EEvPKcS1_S1_S1_S1_PKiPfP15HIP_vector_typeIfLj2EEffffjfiS5_IjLj3EEiiiiiiiiiiiliiliiiiil
	.p2align	8
	.type	_ZL18flash_attn_ext_f16ILi96ELi96ELi4ELi4ELb1ELb0EEvPKcS1_S1_S1_S1_PKiPfP15HIP_vector_typeIfLj2EEffffjfiS5_IjLj3EEiiiiiiiiiiiliiliiiiil,@function
_ZL18flash_attn_ext_f16ILi96ELi96ELi4ELi4ELb1ELb0EEvPKcS1_S1_S1_S1_PKiPfP15HIP_vector_typeIfLj2EEffffjfiS5_IjLj3EEiiiiiiiiiiiliiliiiiil: ; @_ZL18flash_attn_ext_f16ILi96ELi96ELi4ELi4ELb1ELb0EEvPKcS1_S1_S1_S1_PKiPfP15HIP_vector_typeIfLj2EEffffjfiS5_IjLj3EEiiiiiiiiiiiliiliiiiil
; %bb.0:
	s_add_u32 s8, s0, 0xd0
	s_addc_u32 s9, s1, 0
	s_getpc_b64 s[0:1]
	s_add_u32 s0, s0, _ZL14no_device_codePKciS0_iS0_@rel32@lo+4
	s_addc_u32 s1, s1, _ZL14no_device_codePKciS0_iS0_@rel32@hi+12
	v_mov_b32_e32 v0, 0x6cc
	s_mov_b32 s32, 0
	s_swappc_b64 s[30:31], s[0:1]
	.section	.rodata,"a",@progbits
	.p2align	6, 0x0
	.amdhsa_kernel _ZL18flash_attn_ext_f16ILi96ELi96ELi4ELi4ELb1ELb0EEvPKcS1_S1_S1_S1_PKiPfP15HIP_vector_typeIfLj2EEffffjfiS5_IjLj3EEiiiiiiiiiiiliiliiiiil
		.amdhsa_group_segment_fixed_size 0
		.amdhsa_private_segment_fixed_size 16
		.amdhsa_kernarg_size 464
		.amdhsa_user_sgpr_count 2
		.amdhsa_user_sgpr_dispatch_ptr 0
		.amdhsa_user_sgpr_queue_ptr 0
		.amdhsa_user_sgpr_kernarg_segment_ptr 1
		.amdhsa_user_sgpr_dispatch_id 0
		.amdhsa_user_sgpr_kernarg_preload_length 0
		.amdhsa_user_sgpr_kernarg_preload_offset 0
		.amdhsa_user_sgpr_private_segment_size 0
		.amdhsa_uses_dynamic_stack 0
		.amdhsa_enable_private_segment 1
		.amdhsa_system_sgpr_workgroup_id_x 1
		.amdhsa_system_sgpr_workgroup_id_y 0
		.amdhsa_system_sgpr_workgroup_id_z 0
		.amdhsa_system_sgpr_workgroup_info 0
		.amdhsa_system_vgpr_workitem_id 0
		.amdhsa_next_free_vgpr 52
		.amdhsa_next_free_sgpr 34
		.amdhsa_accum_offset 52
		.amdhsa_reserve_vcc 1
		.amdhsa_float_round_mode_32 0
		.amdhsa_float_round_mode_16_64 0
		.amdhsa_float_denorm_mode_32 3
		.amdhsa_float_denorm_mode_16_64 3
		.amdhsa_dx10_clamp 1
		.amdhsa_ieee_mode 1
		.amdhsa_fp16_overflow 0
		.amdhsa_tg_split 0
		.amdhsa_exception_fp_ieee_invalid_op 0
		.amdhsa_exception_fp_denorm_src 0
		.amdhsa_exception_fp_ieee_div_zero 0
		.amdhsa_exception_fp_ieee_overflow 0
		.amdhsa_exception_fp_ieee_underflow 0
		.amdhsa_exception_fp_ieee_inexact 0
		.amdhsa_exception_int_div_zero 0
	.end_amdhsa_kernel
	.section	.text._ZL18flash_attn_ext_f16ILi96ELi96ELi4ELi4ELb1ELb0EEvPKcS1_S1_S1_S1_PKiPfP15HIP_vector_typeIfLj2EEffffjfiS5_IjLj3EEiiiiiiiiiiiliiliiiiil,"axG",@progbits,_ZL18flash_attn_ext_f16ILi96ELi96ELi4ELi4ELb1ELb0EEvPKcS1_S1_S1_S1_PKiPfP15HIP_vector_typeIfLj2EEffffjfiS5_IjLj3EEiiiiiiiiiiiliiliiiiil,comdat
.Lfunc_end15:
	.size	_ZL18flash_attn_ext_f16ILi96ELi96ELi4ELi4ELb1ELb0EEvPKcS1_S1_S1_S1_PKiPfP15HIP_vector_typeIfLj2EEffffjfiS5_IjLj3EEiiiiiiiiiiiliiliiiiil, .Lfunc_end15-_ZL18flash_attn_ext_f16ILi96ELi96ELi4ELi4ELb1ELb0EEvPKcS1_S1_S1_S1_PKiPfP15HIP_vector_typeIfLj2EEffffjfiS5_IjLj3EEiiiiiiiiiiiliiliiiiil
                                        ; -- End function
	.set _ZL18flash_attn_ext_f16ILi96ELi96ELi4ELi4ELb1ELb0EEvPKcS1_S1_S1_S1_PKiPfP15HIP_vector_typeIfLj2EEffffjfiS5_IjLj3EEiiiiiiiiiiiliiliiiiil.num_vgpr, max(1, .L_ZL14no_device_codePKciS0_iS0_.num_vgpr)
	.set _ZL18flash_attn_ext_f16ILi96ELi96ELi4ELi4ELb1ELb0EEvPKcS1_S1_S1_S1_PKiPfP15HIP_vector_typeIfLj2EEffffjfiS5_IjLj3EEiiiiiiiiiiiliiliiiiil.num_agpr, max(0, .L_ZL14no_device_codePKciS0_iS0_.num_agpr)
	.set _ZL18flash_attn_ext_f16ILi96ELi96ELi4ELi4ELb1ELb0EEvPKcS1_S1_S1_S1_PKiPfP15HIP_vector_typeIfLj2EEffffjfiS5_IjLj3EEiiiiiiiiiiiliiliiiiil.numbered_sgpr, max(33, .L_ZL14no_device_codePKciS0_iS0_.numbered_sgpr)
	.set _ZL18flash_attn_ext_f16ILi96ELi96ELi4ELi4ELb1ELb0EEvPKcS1_S1_S1_S1_PKiPfP15HIP_vector_typeIfLj2EEffffjfiS5_IjLj3EEiiiiiiiiiiiliiliiiiil.num_named_barrier, max(0, .L_ZL14no_device_codePKciS0_iS0_.num_named_barrier)
	.set _ZL18flash_attn_ext_f16ILi96ELi96ELi4ELi4ELb1ELb0EEvPKcS1_S1_S1_S1_PKiPfP15HIP_vector_typeIfLj2EEffffjfiS5_IjLj3EEiiiiiiiiiiiliiliiiiil.private_seg_size, 0+max(.L_ZL14no_device_codePKciS0_iS0_.private_seg_size)
	.set _ZL18flash_attn_ext_f16ILi96ELi96ELi4ELi4ELb1ELb0EEvPKcS1_S1_S1_S1_PKiPfP15HIP_vector_typeIfLj2EEffffjfiS5_IjLj3EEiiiiiiiiiiiliiliiiiil.uses_vcc, or(1, .L_ZL14no_device_codePKciS0_iS0_.uses_vcc)
	.set _ZL18flash_attn_ext_f16ILi96ELi96ELi4ELi4ELb1ELb0EEvPKcS1_S1_S1_S1_PKiPfP15HIP_vector_typeIfLj2EEffffjfiS5_IjLj3EEiiiiiiiiiiiliiliiiiil.uses_flat_scratch, or(0, .L_ZL14no_device_codePKciS0_iS0_.uses_flat_scratch)
	.set _ZL18flash_attn_ext_f16ILi96ELi96ELi4ELi4ELb1ELb0EEvPKcS1_S1_S1_S1_PKiPfP15HIP_vector_typeIfLj2EEffffjfiS5_IjLj3EEiiiiiiiiiiiliiliiiiil.has_dyn_sized_stack, or(0, .L_ZL14no_device_codePKciS0_iS0_.has_dyn_sized_stack)
	.set _ZL18flash_attn_ext_f16ILi96ELi96ELi4ELi4ELb1ELb0EEvPKcS1_S1_S1_S1_PKiPfP15HIP_vector_typeIfLj2EEffffjfiS5_IjLj3EEiiiiiiiiiiiliiliiiiil.has_recursion, or(0, .L_ZL14no_device_codePKciS0_iS0_.has_recursion)
	.set _ZL18flash_attn_ext_f16ILi96ELi96ELi4ELi4ELb1ELb0EEvPKcS1_S1_S1_S1_PKiPfP15HIP_vector_typeIfLj2EEffffjfiS5_IjLj3EEiiiiiiiiiiiliiliiiiil.has_indirect_call, or(0, .L_ZL14no_device_codePKciS0_iS0_.has_indirect_call)
	.section	.AMDGPU.csdata,"",@progbits
; Kernel info:
; codeLenInByte = 48
; TotalNumSgprs: 40
; NumVgprs: 52
; NumAgprs: 0
; TotalNumVgprs: 52
; ScratchSize: 16
; MemoryBound: 0
; FloatMode: 240
; IeeeMode: 1
; LDSByteSize: 0 bytes/workgroup (compile time only)
; SGPRBlocks: 4
; VGPRBlocks: 6
; NumSGPRsForWavesPerEU: 40
; NumVGPRsForWavesPerEU: 52
; AccumOffset: 52
; Occupancy: 8
; WaveLimiterHint : 1
; COMPUTE_PGM_RSRC2:SCRATCH_EN: 1
; COMPUTE_PGM_RSRC2:USER_SGPR: 2
; COMPUTE_PGM_RSRC2:TRAP_HANDLER: 0
; COMPUTE_PGM_RSRC2:TGID_X_EN: 1
; COMPUTE_PGM_RSRC2:TGID_Y_EN: 0
; COMPUTE_PGM_RSRC2:TGID_Z_EN: 0
; COMPUTE_PGM_RSRC2:TIDIG_COMP_CNT: 0
; COMPUTE_PGM_RSRC3_GFX90A:ACCUM_OFFSET: 12
; COMPUTE_PGM_RSRC3_GFX90A:TG_SPLIT: 0
	.section	.text._ZL33flash_attn_stream_k_fixup_uniformILi96ELi4ELi4EEvPfPK15HIP_vector_typeIfLj2EEiiiiiiS1_IjLj3EES5_S5_,"axG",@progbits,_ZL33flash_attn_stream_k_fixup_uniformILi96ELi4ELi4EEvPfPK15HIP_vector_typeIfLj2EEiiiiiiS1_IjLj3EES5_S5_,comdat
	.globl	_ZL33flash_attn_stream_k_fixup_uniformILi96ELi4ELi4EEvPfPK15HIP_vector_typeIfLj2EEiiiiiiS1_IjLj3EES5_S5_ ; -- Begin function _ZL33flash_attn_stream_k_fixup_uniformILi96ELi4ELi4EEvPfPK15HIP_vector_typeIfLj2EEiiiiiiS1_IjLj3EES5_S5_
	.p2align	8
	.type	_ZL33flash_attn_stream_k_fixup_uniformILi96ELi4ELi4EEvPfPK15HIP_vector_typeIfLj2EEiiiiiiS1_IjLj3EES5_S5_,@function
_ZL33flash_attn_stream_k_fixup_uniformILi96ELi4ELi4EEvPfPK15HIP_vector_typeIfLj2EEiiiiiiS1_IjLj3EES5_S5_: ; @_ZL33flash_attn_stream_k_fixup_uniformILi96ELi4ELi4EEvPfPK15HIP_vector_typeIfLj2EEiiiiiiS1_IjLj3EES5_S5_
; %bb.0:
	s_load_dwordx8 s[8:15], s[0:1], 0x1c
	s_load_dwordx2 s[6:7], s[0:1], 0x10
	s_load_dwordx4 s[16:19], s[0:1], 0x3c
	s_waitcnt lgkmcnt(0)
	s_mul_hi_u32 s5, s11, s2
	s_add_i32 s5, s2, s5
	s_lshr_b32 s5, s5, s12
	s_mul_i32 s11, s5, s13
	s_sub_i32 s12, s2, s11
	s_mul_hi_u32 s11, s12, s14
	s_add_i32 s11, s12, s11
	s_lshr_b32 s11, s11, s15
	s_mul_i32 s13, s11, s16
	s_sub_i32 s12, s12, s13
	s_mul_hi_u32 s13, s12, s17
	s_add_i32 s13, s12, s13
	s_lshr_b32 s13, s13, s18
	s_mul_i32 s14, s13, s19
	s_sub_i32 s16, s12, s14
	s_lshl_b32 s12, s16, 2
	s_lshl_b32 s17, s13, 2
	s_add_i32 s12, s12, s3
	s_cmp_lt_i32 s12, s6
	s_cselect_b64 s[12:13], -1, 0
	s_add_i32 s17, s17, s4
	s_cmp_lt_i32 s17, s9
	s_cselect_b64 s[14:15], -1, 0
	s_and_b64 s[12:13], s[12:13], s[14:15]
	s_andn2_b64 vcc, exec, s[12:13]
	s_cbranch_vccnz .LBB16_6
; %bb.1:
	s_load_dwordx4 s[12:15], s[0:1], 0x0
	s_mul_i32 s0, s5, s6
	s_mul_i32 s11, s11, s9
	s_add_i32 s0, s0, s3
	s_mul_i32 s0, s0, s7
	s_add_i32 s5, s17, s11
	s_mul_i32 s1, s7, s16
	s_add_i32 s0, s5, s0
	s_mulk_i32 s1, 0x180
	s_mulk_i32 s0, 0x60
	s_add_i32 s0, s0, s1
	v_add_u32_e32 v4, s0, v0
	s_waitcnt lgkmcnt(0)
	v_mov_b32_e32 v2, s12
	v_mov_b32_e32 v3, s13
	v_ashrrev_i32_e32 v5, 31, v4
	v_lshl_add_u64 v[2:3], v[4:5], 2, v[2:3]
	global_load_dword v5, v[2:3], off
	s_mul_i32 s5, s10, s2
	s_lshl_b32 s11, s3, 2
	s_add_i32 s9, s5, s10
	s_add_i32 s0, s11, s4
	s_lshl_b32 s1, s9, 4
	s_add_i32 s0, s0, s1
	s_add_i32 s0, s0, -16
	s_ashr_i32 s1, s0, 31
	s_lshl_b64 s[0:1], s[0:1], 3
	s_add_u32 s0, s14, s0
	s_addc_u32 s1, s15, s1
	s_load_dword s12, s[0:1], 0x4
	s_add_i32 s6, s9, -2
	s_cmp_lt_i32 s6, s5
	s_cbranch_scc1 .LBB16_4
; %bb.2:
	s_lshl_b32 s6, s8, 6
	s_ashr_i32 s7, s6, 31
	s_lshl_b64 s[6:7], s[6:7], 2
	s_add_u32 s6, s14, s6
	s_addc_u32 s7, s15, s7
	s_add_i32 s2, s2, 1
	s_load_dword s0, s[0:1], 0x0
	s_mul_i32 s1, s10, s2
	s_lshl_b32 s2, s1, 4
	s_add_i32 s2, s4, s2
	s_mulk_i32 s3, 0x180
	s_mulk_i32 s4, 0x60
	s_lshl_b32 s8, s8, 4
	s_mulk_i32 s1, 0x600
	s_add_i32 s3, s4, s3
	s_add_i32 s2, s2, s8
	;; [unrolled: 1-line block ×4, first 2 shown]
	v_add_u32_e32 v0, s3, v0
	s_add_i32 s9, s9, -1
	s_sub_i32 s2, s2, 32
	v_add_u32_e32 v0, 0xfffff400, v0
	s_waitcnt lgkmcnt(0)
	v_mov_b32_e32 v7, s0
	v_mov_b32_e32 v4, s12
	s_mov_b32 s4, 0x3fb8aa3b
	s_mov_b32 s8, 0xc2ce8ed0
	;; [unrolled: 1-line block ×3, first 2 shown]
	v_mov_b32_e32 v6, 0x7f800000
	s_mov_b32 s11, 0xc1a00000
.LBB16_3:                               ; =>This Inner Loop Header: Depth=1
	v_ashrrev_i32_e32 v1, 31, v0
	v_lshl_add_u64 v[8:9], v[0:1], 2, s[6:7]
	global_load_dword v9, v[8:9], off
	s_ashr_i32 s3, s2, 31
	s_lshl_b64 s[0:1], s[2:3], 3
	s_add_u32 s0, s14, s0
	s_addc_u32 s1, s15, s1
	s_load_dwordx2 s[0:1], s[0:1], 0x0
	v_max_f32_e32 v1, v7, v7
	s_add_i32 s9, s9, -1
	s_add_i32 s2, s2, -16
	v_add_u32_e32 v0, 0xfffffa00, v0
	s_waitcnt lgkmcnt(0)
	v_max_f32_e64 v10, s0, s0
	v_max_f32_e32 v1, v1, v10
	v_sub_f32_e32 v11, s0, v1
	v_sub_f32_e32 v10, v7, v1
	v_mul_f32_e32 v12, 0x3fb8aa3b, v11
	v_mov_b32_e32 v7, v1
	v_mul_f32_e32 v1, 0x3fb8aa3b, v10
	v_fma_f32 v15, v11, s4, -v12
	v_rndne_f32_e32 v16, v12
	v_fma_f32 v13, v10, s4, -v1
	v_rndne_f32_e32 v14, v1
	v_fmac_f32_e32 v15, 0x32a5705f, v11
	v_sub_f32_e32 v12, v12, v16
	v_fmac_f32_e32 v13, 0x32a5705f, v10
	v_sub_f32_e32 v1, v1, v14
	v_add_f32_e32 v12, v12, v15
	v_cvt_i32_f32_e32 v16, v16
	v_add_f32_e32 v1, v1, v13
	v_exp_f32_e32 v12, v12
	v_cvt_i32_f32_e32 v14, v14
	v_exp_f32_e32 v1, v1
	v_cmp_ngt_f32_e32 vcc, s8, v11
	v_ldexp_f32 v12, v12, v16
	v_mov_b32_e32 v8, s1
	v_ldexp_f32 v1, v1, v14
	v_cmp_ngt_f32_e64 s[0:1], s8, v10
	v_cndmask_b32_e32 v12, 0, v12, vcc
	v_cmp_nlt_f32_e32 vcc, s10, v11
	v_cndmask_b32_e64 v1, 0, v1, s[0:1]
	v_cmp_nlt_f32_e64 s[0:1], s10, v10
	v_cndmask_b32_e32 v12, v6, v12, vcc
	v_cmp_le_f32_e32 vcc, s11, v11
	v_cndmask_b32_e64 v1, v6, v1, s[0:1]
	v_cmp_le_f32_e64 s[0:1], s11, v10
	v_cndmask_b32_e32 v12, 0, v12, vcc
	s_cmp_le_i32 s9, s5
	v_cndmask_b32_e64 v10, 0, v1, s[0:1]
	s_waitcnt vmcnt(0)
	v_pk_mul_f32 v[8:9], v[8:9], v[12:13] op_sel_hi:[1,0]
	s_nop 0
	v_pk_fma_f32 v[4:5], v[4:5], v[10:11], v[8:9] op_sel_hi:[1,0,1]
	s_cbranch_scc0 .LBB16_3
	s_branch .LBB16_5
.LBB16_4:
	s_waitcnt lgkmcnt(0)
	v_mov_b32_e32 v4, s12
.LBB16_5:
	s_waitcnt vmcnt(0)
	v_div_scale_f32 v0, s[0:1], v4, v4, v5
	v_rcp_f32_e32 v1, v0
	v_div_scale_f32 v6, vcc, v5, v4, v5
	v_fma_f32 v7, -v0, v1, 1.0
	v_fmac_f32_e32 v1, v7, v1
	v_mul_f32_e32 v7, v6, v1
	v_fma_f32 v8, -v0, v7, v6
	v_fmac_f32_e32 v7, v8, v1
	v_fma_f32 v0, -v0, v7, v6
	v_div_fmas_f32 v0, v0, v1, v7
	v_div_fixup_f32 v0, v0, v4, v5
	global_store_dword v[2:3], v0, off
.LBB16_6:
	s_endpgm
	.section	.rodata,"a",@progbits
	.p2align	6, 0x0
	.amdhsa_kernel _ZL33flash_attn_stream_k_fixup_uniformILi96ELi4ELi4EEvPfPK15HIP_vector_typeIfLj2EEiiiiiiS1_IjLj3EES5_S5_
		.amdhsa_group_segment_fixed_size 0
		.amdhsa_private_segment_fixed_size 0
		.amdhsa_kernarg_size 76
		.amdhsa_user_sgpr_count 2
		.amdhsa_user_sgpr_dispatch_ptr 0
		.amdhsa_user_sgpr_queue_ptr 0
		.amdhsa_user_sgpr_kernarg_segment_ptr 1
		.amdhsa_user_sgpr_dispatch_id 0
		.amdhsa_user_sgpr_kernarg_preload_length 0
		.amdhsa_user_sgpr_kernarg_preload_offset 0
		.amdhsa_user_sgpr_private_segment_size 0
		.amdhsa_uses_dynamic_stack 0
		.amdhsa_enable_private_segment 0
		.amdhsa_system_sgpr_workgroup_id_x 1
		.amdhsa_system_sgpr_workgroup_id_y 1
		.amdhsa_system_sgpr_workgroup_id_z 1
		.amdhsa_system_sgpr_workgroup_info 0
		.amdhsa_system_vgpr_workitem_id 0
		.amdhsa_next_free_vgpr 17
		.amdhsa_next_free_sgpr 20
		.amdhsa_accum_offset 20
		.amdhsa_reserve_vcc 1
		.amdhsa_float_round_mode_32 0
		.amdhsa_float_round_mode_16_64 0
		.amdhsa_float_denorm_mode_32 3
		.amdhsa_float_denorm_mode_16_64 3
		.amdhsa_dx10_clamp 1
		.amdhsa_ieee_mode 1
		.amdhsa_fp16_overflow 0
		.amdhsa_tg_split 0
		.amdhsa_exception_fp_ieee_invalid_op 0
		.amdhsa_exception_fp_denorm_src 0
		.amdhsa_exception_fp_ieee_div_zero 0
		.amdhsa_exception_fp_ieee_overflow 0
		.amdhsa_exception_fp_ieee_underflow 0
		.amdhsa_exception_fp_ieee_inexact 0
		.amdhsa_exception_int_div_zero 0
	.end_amdhsa_kernel
	.section	.text._ZL33flash_attn_stream_k_fixup_uniformILi96ELi4ELi4EEvPfPK15HIP_vector_typeIfLj2EEiiiiiiS1_IjLj3EES5_S5_,"axG",@progbits,_ZL33flash_attn_stream_k_fixup_uniformILi96ELi4ELi4EEvPfPK15HIP_vector_typeIfLj2EEiiiiiiS1_IjLj3EES5_S5_,comdat
.Lfunc_end16:
	.size	_ZL33flash_attn_stream_k_fixup_uniformILi96ELi4ELi4EEvPfPK15HIP_vector_typeIfLj2EEiiiiiiS1_IjLj3EES5_S5_, .Lfunc_end16-_ZL33flash_attn_stream_k_fixup_uniformILi96ELi4ELi4EEvPfPK15HIP_vector_typeIfLj2EEiiiiiiS1_IjLj3EES5_S5_
                                        ; -- End function
	.set _ZL33flash_attn_stream_k_fixup_uniformILi96ELi4ELi4EEvPfPK15HIP_vector_typeIfLj2EEiiiiiiS1_IjLj3EES5_S5_.num_vgpr, 17
	.set _ZL33flash_attn_stream_k_fixup_uniformILi96ELi4ELi4EEvPfPK15HIP_vector_typeIfLj2EEiiiiiiS1_IjLj3EES5_S5_.num_agpr, 0
	.set _ZL33flash_attn_stream_k_fixup_uniformILi96ELi4ELi4EEvPfPK15HIP_vector_typeIfLj2EEiiiiiiS1_IjLj3EES5_S5_.numbered_sgpr, 20
	.set _ZL33flash_attn_stream_k_fixup_uniformILi96ELi4ELi4EEvPfPK15HIP_vector_typeIfLj2EEiiiiiiS1_IjLj3EES5_S5_.num_named_barrier, 0
	.set _ZL33flash_attn_stream_k_fixup_uniformILi96ELi4ELi4EEvPfPK15HIP_vector_typeIfLj2EEiiiiiiS1_IjLj3EES5_S5_.private_seg_size, 0
	.set _ZL33flash_attn_stream_k_fixup_uniformILi96ELi4ELi4EEvPfPK15HIP_vector_typeIfLj2EEiiiiiiS1_IjLj3EES5_S5_.uses_vcc, 1
	.set _ZL33flash_attn_stream_k_fixup_uniformILi96ELi4ELi4EEvPfPK15HIP_vector_typeIfLj2EEiiiiiiS1_IjLj3EES5_S5_.uses_flat_scratch, 0
	.set _ZL33flash_attn_stream_k_fixup_uniformILi96ELi4ELi4EEvPfPK15HIP_vector_typeIfLj2EEiiiiiiS1_IjLj3EES5_S5_.has_dyn_sized_stack, 0
	.set _ZL33flash_attn_stream_k_fixup_uniformILi96ELi4ELi4EEvPfPK15HIP_vector_typeIfLj2EEiiiiiiS1_IjLj3EES5_S5_.has_recursion, 0
	.set _ZL33flash_attn_stream_k_fixup_uniformILi96ELi4ELi4EEvPfPK15HIP_vector_typeIfLj2EEiiiiiiS1_IjLj3EES5_S5_.has_indirect_call, 0
	.section	.AMDGPU.csdata,"",@progbits
; Kernel info:
; codeLenInByte = 832
; TotalNumSgprs: 26
; NumVgprs: 17
; NumAgprs: 0
; TotalNumVgprs: 17
; ScratchSize: 0
; MemoryBound: 0
; FloatMode: 240
; IeeeMode: 1
; LDSByteSize: 0 bytes/workgroup (compile time only)
; SGPRBlocks: 3
; VGPRBlocks: 2
; NumSGPRsForWavesPerEU: 26
; NumVGPRsForWavesPerEU: 17
; AccumOffset: 20
; Occupancy: 8
; WaveLimiterHint : 0
; COMPUTE_PGM_RSRC2:SCRATCH_EN: 0
; COMPUTE_PGM_RSRC2:USER_SGPR: 2
; COMPUTE_PGM_RSRC2:TRAP_HANDLER: 0
; COMPUTE_PGM_RSRC2:TGID_X_EN: 1
; COMPUTE_PGM_RSRC2:TGID_Y_EN: 1
; COMPUTE_PGM_RSRC2:TGID_Z_EN: 1
; COMPUTE_PGM_RSRC2:TIDIG_COMP_CNT: 0
; COMPUTE_PGM_RSRC3_GFX90A:ACCUM_OFFSET: 4
; COMPUTE_PGM_RSRC3_GFX90A:TG_SPLIT: 0
	.section	.text._ZL33flash_attn_stream_k_fixup_generalILi96ELi4ELi4EEvPfPK15HIP_vector_typeIfLj2EEiiiiS1_IjLj3EES5_S5_S5_,"axG",@progbits,_ZL33flash_attn_stream_k_fixup_generalILi96ELi4ELi4EEvPfPK15HIP_vector_typeIfLj2EEiiiiS1_IjLj3EES5_S5_S5_,comdat
	.globl	_ZL33flash_attn_stream_k_fixup_generalILi96ELi4ELi4EEvPfPK15HIP_vector_typeIfLj2EEiiiiS1_IjLj3EES5_S5_S5_ ; -- Begin function _ZL33flash_attn_stream_k_fixup_generalILi96ELi4ELi4EEvPfPK15HIP_vector_typeIfLj2EEiiiiS1_IjLj3EES5_S5_S5_
	.p2align	8
	.type	_ZL33flash_attn_stream_k_fixup_generalILi96ELi4ELi4EEvPfPK15HIP_vector_typeIfLj2EEiiiiS1_IjLj3EES5_S5_S5_,@function
_ZL33flash_attn_stream_k_fixup_generalILi96ELi4ELi4EEvPfPK15HIP_vector_typeIfLj2EEiiiiS1_IjLj3EES5_S5_S5_: ; @_ZL33flash_attn_stream_k_fixup_generalILi96ELi4ELi4EEvPfPK15HIP_vector_typeIfLj2EEiiiiS1_IjLj3EES5_S5_S5_
; %bb.0:
	s_load_dwordx4 s[8:11], s[0:1], 0x10
	s_load_dword s22, s[0:1], 0x50
	s_mov_b32 s12, 0
	s_waitcnt lgkmcnt(0)
	s_mul_hi_i32 s13, s11, s2
	s_cmp_lg_u64 s[12:13], 0
	s_mul_i32 s5, s11, s2
	s_cbranch_scc0 .LBB17_20
; %bb.1:
	s_add_u32 s6, s22, 0
	s_addc_u32 s7, 0, 0
	s_xor_b64 s[6:7], s[6:7], 0
	v_cvt_f32_u32_e32 v1, s6
	v_cvt_f32_u32_e32 v2, s7
	s_sub_u32 s12, 0, s6
	s_subb_u32 s18, 0, s7
	v_fmamk_f32 v1, v2, 0x4f800000, v1
	v_rcp_f32_e32 v1, v1
	s_nop 0
	v_mul_f32_e32 v1, 0x5f7ffffc, v1
	v_mul_f32_e32 v2, 0x2f800000, v1
	v_trunc_f32_e32 v2, v2
	v_fmamk_f32 v1, v2, 0xcf800000, v1
	v_cvt_u32_f32_e32 v2, v2
	v_cvt_u32_f32_e32 v1, v1
	v_readfirstlane_b32 s19, v2
	v_readfirstlane_b32 s14, v1
	s_mul_i32 s15, s12, s19
	s_mul_hi_u32 s21, s12, s14
	s_mul_i32 s20, s18, s14
	s_add_i32 s15, s21, s15
	s_add_i32 s15, s15, s20
	s_mul_i32 s23, s12, s14
	s_mul_i32 s21, s14, s15
	s_mul_hi_u32 s24, s14, s23
	s_mul_hi_u32 s20, s14, s15
	s_add_u32 s21, s24, s21
	s_addc_u32 s20, 0, s20
	s_mul_hi_u32 s25, s19, s23
	s_mul_i32 s23, s19, s23
	s_add_u32 s21, s21, s23
	s_mul_hi_u32 s24, s19, s15
	s_addc_u32 s20, s20, s25
	s_addc_u32 s21, s24, 0
	s_mul_i32 s15, s19, s15
	s_add_u32 s15, s20, s15
	s_addc_u32 s20, 0, s21
	s_add_u32 s21, s14, s15
	s_cselect_b64 s[14:15], -1, 0
	s_cmp_lg_u64 s[14:15], 0
	s_addc_u32 s19, s19, s20
	s_mul_i32 s14, s12, s19
	s_mul_hi_u32 s15, s12, s21
	s_add_i32 s14, s15, s14
	s_mul_i32 s18, s18, s21
	s_add_i32 s14, s14, s18
	s_mul_i32 s12, s12, s21
	s_mul_hi_u32 s18, s19, s12
	s_mul_i32 s20, s19, s12
	s_mul_i32 s24, s21, s14
	s_mul_hi_u32 s12, s21, s12
	s_mul_hi_u32 s23, s21, s14
	s_add_u32 s12, s12, s24
	s_addc_u32 s23, 0, s23
	s_add_u32 s12, s12, s20
	s_mul_hi_u32 s15, s19, s14
	s_addc_u32 s12, s23, s18
	s_addc_u32 s15, s15, 0
	s_mul_i32 s14, s19, s14
	s_add_u32 s12, s12, s14
	s_addc_u32 s18, 0, s15
	s_add_u32 s20, s21, s12
	s_cselect_b64 s[14:15], -1, 0
	s_cmp_lg_u64 s[14:15], 0
	s_addc_u32 s18, s19, s18
	s_ashr_i32 s14, s13, 31
	s_add_u32 s12, s5, s14
	s_mov_b32 s15, s14
	s_addc_u32 s13, s13, s14
	s_xor_b64 s[12:13], s[12:13], s[14:15]
	s_mul_i32 s21, s12, s18
	s_mul_hi_u32 s23, s12, s20
	s_mul_hi_u32 s19, s12, s18
	s_add_u32 s21, s23, s21
	s_addc_u32 s19, 0, s19
	s_mul_hi_u32 s24, s13, s20
	s_mul_i32 s20, s13, s20
	s_add_u32 s20, s21, s20
	s_mul_hi_u32 s23, s13, s18
	s_addc_u32 s19, s19, s24
	s_addc_u32 s20, s23, 0
	s_mul_i32 s18, s13, s18
	s_add_u32 s23, s19, s18
	s_addc_u32 s24, 0, s20
	s_mul_i32 s18, s6, s24
	s_mul_hi_u32 s19, s6, s23
	s_add_i32 s18, s19, s18
	s_mul_i32 s19, s7, s23
	s_add_i32 s25, s18, s19
	s_sub_i32 s20, s13, s25
	s_mul_i32 s18, s6, s23
	s_sub_u32 s12, s12, s18
	s_cselect_b64 s[18:19], -1, 0
	s_cmp_lg_u64 s[18:19], 0
	s_subb_u32 s26, s20, s7
	s_sub_u32 s27, s12, s6
	s_cselect_b64 s[20:21], -1, 0
	s_cmp_lg_u64 s[20:21], 0
	s_subb_u32 s20, s26, 0
	s_cmp_ge_u32 s20, s7
	s_cselect_b32 s21, -1, 0
	s_cmp_ge_u32 s27, s6
	s_cselect_b32 s26, -1, 0
	s_cmp_eq_u32 s20, s7
	s_cselect_b32 s20, s26, s21
	s_add_u32 s21, s23, 1
	s_addc_u32 s26, s24, 0
	s_add_u32 s27, s23, 2
	s_addc_u32 s28, s24, 0
	s_cmp_lg_u32 s20, 0
	s_cselect_b32 s20, s27, s21
	s_cselect_b32 s21, s28, s26
	s_cmp_lg_u64 s[18:19], 0
	s_subb_u32 s13, s13, s25
	s_cmp_ge_u32 s13, s7
	s_cselect_b32 s18, -1, 0
	s_cmp_ge_u32 s12, s6
	s_cselect_b32 s6, -1, 0
	s_cmp_eq_u32 s13, s7
	s_cselect_b32 s6, s6, s18
	s_cmp_lg_u32 s6, 0
	s_cselect_b32 s7, s21, s24
	s_cselect_b32 s6, s20, s23
	s_xor_b64 s[12:13], s[14:15], 0
	s_xor_b64 s[6:7], s[6:7], s[12:13]
	s_sub_u32 s6, s6, s12
	s_load_dwordx4 s[12:15], s[0:1], 0x44
	s_cbranch_execnz .LBB17_3
.LBB17_2:
	v_cvt_f32_u32_e32 v1, s22
	s_sub_i32 s6, 0, s22
	v_rcp_iflag_f32_e32 v1, v1
	s_nop 0
	v_mul_f32_e32 v1, 0x4f7ffffe, v1
	v_cvt_u32_f32_e32 v1, v1
	s_nop 0
	v_readfirstlane_b32 s7, v1
	s_mul_i32 s6, s6, s7
	s_mul_hi_u32 s6, s7, s6
	s_add_i32 s7, s7, s6
	s_mul_hi_u32 s6, s5, s7
	s_waitcnt lgkmcnt(0)
	s_mul_i32 s15, s6, s22
	s_sub_i32 s5, s5, s15
	s_add_i32 s7, s6, 1
	s_sub_i32 s15, s5, s22
	s_cmp_ge_u32 s5, s22
	s_cselect_b32 s6, s7, s6
	s_cselect_b32 s5, s15, s5
	s_add_i32 s7, s6, 1
	s_cmp_ge_u32 s5, s22
	s_cselect_b32 s6, s7, s6
.LBB17_3:
	s_add_i32 s5, s2, 1
	s_mul_hi_i32 s21, s11, s5
	s_mov_b32 s20, 0
	s_cmp_lg_u64 s[20:21], 0
	s_mul_i32 s5, s11, s5
	s_cbranch_scc0 .LBB17_21
; %bb.4:
	s_add_u32 s16, s22, 0
	s_addc_u32 s17, 0, 0
	s_xor_b64 s[18:19], s[16:17], 0
	v_cvt_f32_u32_e32 v1, s18
	v_cvt_f32_u32_e32 v2, s19
	s_sub_u32 s7, 0, s18
	s_waitcnt lgkmcnt(0)
	s_subb_u32 s15, 0, s19
	v_fmamk_f32 v1, v2, 0x4f800000, v1
	v_rcp_f32_e32 v1, v1
	s_nop 0
	v_mul_f32_e32 v1, 0x5f7ffffc, v1
	v_mul_f32_e32 v2, 0x2f800000, v1
	v_trunc_f32_e32 v2, v2
	v_fmamk_f32 v1, v2, 0xcf800000, v1
	v_cvt_u32_f32_e32 v2, v2
	v_cvt_u32_f32_e32 v1, v1
	v_readfirstlane_b32 s20, v2
	v_readfirstlane_b32 s23, v1
	s_mul_i32 s24, s7, s20
	s_mul_hi_u32 s26, s7, s23
	s_mul_i32 s25, s15, s23
	s_add_i32 s24, s26, s24
	s_add_i32 s24, s24, s25
	s_mul_i32 s27, s7, s23
	s_mul_i32 s26, s23, s24
	s_mul_hi_u32 s28, s23, s27
	s_mul_hi_u32 s25, s23, s24
	s_add_u32 s26, s28, s26
	s_addc_u32 s25, 0, s25
	s_mul_hi_u32 s29, s20, s27
	s_mul_i32 s27, s20, s27
	s_add_u32 s26, s26, s27
	s_mul_hi_u32 s28, s20, s24
	s_addc_u32 s25, s25, s29
	s_addc_u32 s26, s28, 0
	s_mul_i32 s24, s20, s24
	s_add_u32 s24, s25, s24
	s_addc_u32 s26, 0, s26
	s_add_u32 s23, s23, s24
	s_cselect_b64 s[24:25], -1, 0
	s_cmp_lg_u64 s[24:25], 0
	s_addc_u32 s20, s20, s26
	s_mul_i32 s24, s7, s20
	s_mul_hi_u32 s25, s7, s23
	s_add_i32 s24, s25, s24
	s_mul_i32 s15, s15, s23
	s_add_i32 s24, s24, s15
	s_mul_i32 s7, s7, s23
	s_mul_hi_u32 s25, s20, s7
	s_mul_i32 s26, s20, s7
	s_mul_i32 s28, s23, s24
	s_mul_hi_u32 s7, s23, s7
	s_mul_hi_u32 s27, s23, s24
	s_add_u32 s7, s7, s28
	s_addc_u32 s27, 0, s27
	s_add_u32 s7, s7, s26
	s_mul_hi_u32 s15, s20, s24
	s_addc_u32 s7, s27, s25
	s_addc_u32 s15, s15, 0
	s_mul_i32 s24, s20, s24
	s_add_u32 s7, s7, s24
	s_addc_u32 s15, 0, s15
	s_add_u32 s7, s23, s7
	s_cselect_b64 s[24:25], -1, 0
	s_cmp_lg_u64 s[24:25], 0
	s_addc_u32 s15, s20, s15
	s_ashr_i32 s24, s21, 31
	s_add_u32 s20, s5, s24
	s_mov_b32 s25, s24
	s_addc_u32 s21, s21, s24
	s_xor_b64 s[20:21], s[20:21], s[24:25]
	s_mul_i32 s26, s20, s15
	s_mul_hi_u32 s27, s20, s7
	s_mul_hi_u32 s23, s20, s15
	s_add_u32 s26, s27, s26
	s_addc_u32 s23, 0, s23
	s_mul_hi_u32 s28, s21, s7
	s_mul_i32 s7, s21, s7
	s_add_u32 s7, s26, s7
	s_mul_hi_u32 s27, s21, s15
	s_addc_u32 s7, s23, s28
	s_addc_u32 s23, s27, 0
	s_mul_i32 s15, s21, s15
	s_add_u32 s7, s7, s15
	s_addc_u32 s15, 0, s23
	s_mul_i32 s23, s18, s15
	s_mul_hi_u32 s26, s18, s7
	s_add_i32 s23, s26, s23
	s_mul_i32 s26, s19, s7
	s_add_i32 s23, s23, s26
	s_sub_i32 s28, s21, s23
	s_mul_i32 s26, s18, s7
	s_sub_u32 s20, s20, s26
	s_cselect_b64 s[26:27], -1, 0
	s_cmp_lg_u64 s[26:27], 0
	s_subb_u32 s30, s28, s19
	s_sub_u32 s31, s20, s18
	s_cselect_b64 s[28:29], -1, 0
	s_cmp_lg_u64 s[28:29], 0
	s_subb_u32 s28, s30, 0
	s_cmp_ge_u32 s28, s19
	s_cselect_b32 s29, -1, 0
	s_cmp_ge_u32 s31, s18
	s_cselect_b32 s30, -1, 0
	s_cmp_eq_u32 s28, s19
	s_cselect_b32 s28, s30, s29
	s_add_u32 s29, s7, 1
	s_addc_u32 s30, s15, 0
	s_add_u32 s31, s7, 2
	s_addc_u32 s33, s15, 0
	s_cmp_lg_u32 s28, 0
	s_cselect_b32 s28, s31, s29
	s_cselect_b32 s29, s33, s30
	s_cmp_lg_u64 s[26:27], 0
	s_subb_u32 s21, s21, s23
	s_cmp_ge_u32 s21, s19
	s_cselect_b32 s23, -1, 0
	s_cmp_ge_u32 s20, s18
	s_cselect_b32 s18, -1, 0
	s_cmp_eq_u32 s21, s19
	s_cselect_b32 s18, s18, s23
	s_cmp_lg_u32 s18, 0
	s_cselect_b32 s19, s29, s15
	s_cselect_b32 s18, s28, s7
	s_xor_b64 s[20:21], s[24:25], 0
	s_xor_b64 s[18:19], s[18:19], s[20:21]
	s_sub_u32 s18, s18, s20
	s_cbranch_execnz .LBB17_6
.LBB17_5:
	v_cvt_f32_u32_e32 v1, s22
	s_sub_i32 s7, 0, s22
	v_rcp_iflag_f32_e32 v1, v1
	s_nop 0
	v_mul_f32_e32 v1, 0x4f7ffffe, v1
	v_cvt_u32_f32_e32 v1, v1
	s_waitcnt lgkmcnt(0)
	v_readfirstlane_b32 s15, v1
	s_mul_i32 s7, s7, s15
	s_mul_hi_u32 s7, s15, s7
	s_add_i32 s15, s15, s7
	s_mul_hi_u32 s7, s5, s15
	s_mul_i32 s16, s7, s22
	s_sub_i32 s5, s5, s16
	s_add_i32 s15, s7, 1
	s_sub_i32 s16, s5, s22
	s_cmp_ge_u32 s5, s22
	s_cselect_b32 s7, s15, s7
	s_cselect_b32 s5, s16, s5
	s_add_i32 s15, s7, 1
	s_cmp_ge_u32 s5, s22
	s_cselect_b32 s18, s15, s7
.LBB17_6:
	s_cmp_eq_u32 s6, s18
	s_waitcnt lgkmcnt(0)
	s_mul_hi_u32 s5, s6, s12
	s_cselect_b64 s[16:17], -1, 0
	s_add_i32 s5, s5, s6
	s_lshr_b32 s7, s5, s13
	s_mul_i32 s5, s7, s14
	s_cmp_eq_u32 s5, s6
	s_mul_hi_u32 s5, s18, s12
	s_cselect_b64 s[20:21], -1, 0
	s_add_i32 s5, s5, s18
	s_lshr_b32 s5, s5, s13
	s_cmp_eq_u32 s7, s5
	s_mul_i32 s5, s5, s14
	s_cselect_b64 s[24:25], -1, 0
	s_cmp_lg_u32 s5, s18
	s_cselect_b64 s[18:19], -1, 0
	s_and_b64 s[18:19], s[24:25], s[18:19]
	s_or_b64 s[16:17], s[16:17], s[20:21]
	s_or_b64 s[16:17], s[16:17], s[18:19]
	s_and_b64 vcc, exec, s[16:17]
	s_cbranch_vccnz .LBB17_23
; %bb.7:
	s_load_dwordx8 s[24:31], s[0:1], 0x20
	s_load_dword s5, s[0:1], 0x40
	s_waitcnt lgkmcnt(0)
	s_mul_hi_u32 s15, s6, s24
	s_add_i32 s15, s15, s6
	s_lshr_b32 s20, s15, s25
	s_mul_i32 s15, s20, s26
	s_sub_i32 s15, s6, s15
	s_mul_hi_u32 s16, s15, s27
	s_add_i32 s16, s15, s16
	s_lshr_b32 s21, s16, s28
	s_mul_i32 s16, s21, s29
	s_sub_i32 s15, s15, s16
	;; [unrolled: 5-line block ×3, first 2 shown]
	s_mul_hi_u32 s15, s5, s12
	s_add_i32 s5, s5, s15
	s_lshr_b32 s23, s5, s13
	s_lshl_b32 s5, s23, 2
	s_lshl_b32 s24, s16, 2
	s_add_i32 s5, s5, s3
	s_cmp_lt_i32 s5, s8
	s_cselect_b64 s[16:17], -1, 0
	s_add_i32 s24, s24, s4
	s_cmp_lt_i32 s24, s10
	s_cselect_b64 s[18:19], -1, 0
	s_and_b64 s[16:17], s[16:17], s[18:19]
	s_andn2_b64 vcc, exec, s[16:17]
	s_cbranch_vccnz .LBB17_23
; %bb.8:
	s_load_dwordx4 s[16:19], s[0:1], 0x0
	s_mov_b32 s0, 0
	s_lshl_b32 s15, s3, 2
	s_lshl_b32 s26, s22, 6
	s_mov_b32 s27, s0
	s_add_i32 s15, s15, s4
	s_lshl_b64 s[4:5], s[26:27], 2
	s_waitcnt lgkmcnt(0)
	s_add_u32 s4, s18, s4
	s_mul_i32 s1, s20, s8
	s_addc_u32 s5, s19, s5
	s_mul_i32 s21, s21, s10
	s_add_i32 s1, s1, s3
	s_mul_i32 s1, s1, s9
	s_add_i32 s3, s24, s21
	;; [unrolled: 2-line block ×3, first 2 shown]
	s_mulk_i32 s8, 0x180
	s_mulk_i32 s1, 0x60
	s_add_i32 s8, s8, s1
	v_add_u32_e32 v4, s8, v0
	v_mov_b32_e32 v2, s16
	v_mov_b32_e32 v3, s17
	v_ashrrev_i32_e32 v5, 31, v4
	v_lshl_add_u64 v[2:3], v[4:5], 2, v[2:3]
	global_load_dword v1, v[2:3], off
	v_cvt_f32_u32_e32 v4, s22
	s_lshl_b32 s1, s2, 4
	s_add_i32 s8, s15, s1
	s_ashr_i32 s9, s8, 31
	s_lshl_b64 s[8:9], s[8:9], 3
	v_rcp_iflag_f32_e32 v4, v4
	s_add_u32 s8, s18, s8
	s_addc_u32 s9, s19, s9
	s_load_dwordx2 s[8:9], s[8:9], 0x0
	v_mul_f32_e32 v4, 0x4f7ffffe, v4
	v_cvt_u32_f32_e32 v7, v4
	s_mul_i32 s1, s15, 0x60
	s_add_i32 s21, s2, -1
	v_add_u32_e32 v6, s1, v0
	s_waitcnt lgkmcnt(0)
	v_mov_b32_e32 v0, s9
	v_mov_b32_e32 v9, s8
	s_mov_b32 s10, 0x3fb8aa3b
	s_mov_b32 s20, 0xc2ce8ed0
	;; [unrolled: 1-line block ×4, first 2 shown]
	v_mov_b32_e32 v8, 0x7f800000
	s_mul_hi_i32 s1, s21, s11
	s_cmp_lg_u64 s[0:1], 0
	s_mul_i32 s16, s21, s11
	s_cbranch_scc0 .LBB17_19
.LBB17_9:
	s_add_u32 s2, s22, 0
	s_addc_u32 s3, 0, 0
	s_xor_b64 s[2:3], s[2:3], 0
	v_cvt_f32_u32_e32 v4, s2
	v_cvt_f32_u32_e32 v5, s3
	s_sub_u32 s17, 0, s2
	s_subb_u32 s25, 0, s3
	v_fmac_f32_e32 v4, 0x4f800000, v5
	v_rcp_f32_e32 v4, v4
	s_nop 0
	v_mul_f32_e32 v4, 0x5f7ffffc, v4
	v_mul_f32_e32 v5, 0x2f800000, v4
	v_trunc_f32_e32 v5, v5
	v_fmac_f32_e32 v4, 0xcf800000, v5
	v_cvt_u32_f32_e32 v5, v5
	v_cvt_u32_f32_e32 v4, v4
	v_readfirstlane_b32 s26, v5
	v_readfirstlane_b32 s8, v4
	s_mul_i32 s9, s17, s26
	s_mul_hi_u32 s28, s17, s8
	s_mul_i32 s27, s25, s8
	s_add_i32 s9, s28, s9
	s_mul_i32 s29, s17, s8
	s_add_i32 s9, s9, s27
	s_mul_i32 s28, s8, s9
	s_mul_hi_u32 s30, s8, s29
	s_mul_hi_u32 s27, s8, s9
	s_add_u32 s28, s30, s28
	s_addc_u32 s27, 0, s27
	s_mul_hi_u32 s31, s26, s29
	s_mul_i32 s29, s26, s29
	s_add_u32 s28, s28, s29
	s_mul_hi_u32 s30, s26, s9
	s_addc_u32 s27, s27, s31
	s_addc_u32 s28, s30, 0
	s_mul_i32 s9, s26, s9
	s_add_u32 s9, s27, s9
	s_addc_u32 s27, 0, s28
	s_add_u32 s28, s8, s9
	s_cselect_b64 s[8:9], -1, 0
	s_cmp_lg_u64 s[8:9], 0
	s_addc_u32 s26, s26, s27
	s_mul_i32 s8, s17, s26
	s_mul_hi_u32 s9, s17, s28
	s_add_i32 s8, s9, s8
	s_mul_i32 s25, s25, s28
	s_add_i32 s8, s8, s25
	s_mul_i32 s17, s17, s28
	s_mul_hi_u32 s25, s26, s17
	s_mul_i32 s27, s26, s17
	s_mul_i32 s30, s28, s8
	s_mul_hi_u32 s17, s28, s17
	s_mul_hi_u32 s29, s28, s8
	s_add_u32 s17, s17, s30
	s_addc_u32 s29, 0, s29
	s_add_u32 s17, s17, s27
	s_mul_hi_u32 s9, s26, s8
	s_addc_u32 s17, s29, s25
	s_addc_u32 s9, s9, 0
	s_mul_i32 s8, s26, s8
	s_add_u32 s8, s17, s8
	s_addc_u32 s17, 0, s9
	s_add_u32 s25, s28, s8
	s_cselect_b64 s[8:9], -1, 0
	s_cmp_lg_u64 s[8:9], 0
	s_addc_u32 s17, s26, s17
	s_ashr_i32 s8, s1, 31
	s_add_u32 s26, s16, s8
	s_mov_b32 s9, s8
	s_addc_u32 s27, s1, s8
	s_xor_b64 s[26:27], s[26:27], s[8:9]
	s_mul_i32 s28, s26, s17
	s_mul_hi_u32 s29, s26, s25
	s_mul_hi_u32 s1, s26, s17
	s_add_u32 s28, s29, s28
	s_addc_u32 s1, 0, s1
	s_mul_hi_u32 s30, s27, s25
	s_mul_i32 s25, s27, s25
	s_add_u32 s25, s28, s25
	s_mul_hi_u32 s29, s27, s17
	s_addc_u32 s1, s1, s30
	s_addc_u32 s25, s29, 0
	s_mul_i32 s17, s27, s17
	s_add_u32 s1, s1, s17
	s_addc_u32 s17, 0, s25
	s_mul_i32 s25, s2, s17
	s_mul_hi_u32 s28, s2, s1
	s_add_i32 s25, s28, s25
	s_mul_i32 s28, s3, s1
	s_add_i32 s25, s25, s28
	s_sub_i32 s30, s27, s25
	s_mul_i32 s28, s2, s1
	s_sub_u32 s26, s26, s28
	s_cselect_b64 s[28:29], -1, 0
	s_cmp_lg_u64 s[28:29], 0
	s_subb_u32 s33, s30, s3
	s_sub_u32 s34, s26, s2
	s_cselect_b64 s[30:31], -1, 0
	s_cmp_lg_u64 s[30:31], 0
	s_subb_u32 s30, s33, 0
	s_cmp_ge_u32 s30, s3
	s_cselect_b32 s31, -1, 0
	s_cmp_ge_u32 s34, s2
	s_cselect_b32 s33, -1, 0
	s_cmp_eq_u32 s30, s3
	s_cselect_b32 s30, s33, s31
	s_add_u32 s31, s1, 1
	s_addc_u32 s33, s17, 0
	s_add_u32 s34, s1, 2
	s_addc_u32 s35, s17, 0
	s_cmp_lg_u32 s30, 0
	s_cselect_b32 s30, s34, s31
	s_cselect_b32 s31, s35, s33
	s_cmp_lg_u64 s[28:29], 0
	s_subb_u32 s25, s27, s25
	s_cmp_ge_u32 s25, s3
	s_cselect_b32 s27, -1, 0
	s_cmp_ge_u32 s26, s2
	s_cselect_b32 s2, -1, 0
	s_cmp_eq_u32 s25, s3
	s_cselect_b32 s2, s2, s27
	s_cmp_lg_u32 s2, 0
	s_cselect_b32 s3, s31, s17
	s_cselect_b32 s2, s30, s1
	s_xor_b64 s[8:9], s[8:9], 0
	s_xor_b64 s[2:3], s[2:3], s[8:9]
	s_sub_u32 s8, s2, s8
	s_cbranch_execnz .LBB17_11
.LBB17_10:
	s_sub_i32 s1, 0, s22
	v_readfirstlane_b32 s2, v7
	s_mul_i32 s1, s1, s2
	s_mul_hi_u32 s1, s2, s1
	s_add_i32 s2, s2, s1
	s_mul_hi_u32 s1, s16, s2
	s_mul_i32 s3, s1, s22
	s_sub_i32 s3, s16, s3
	s_add_i32 s2, s1, 1
	s_sub_i32 s8, s3, s22
	s_cmp_ge_u32 s3, s22
	s_cselect_b32 s1, s2, s1
	s_cselect_b32 s3, s8, s3
	s_add_i32 s2, s1, 1
	s_cmp_ge_u32 s3, s22
	s_cselect_b32 s8, s2, s1
.LBB17_11:
	s_cmp_lg_u32 s6, s8
	s_cbranch_scc0 .LBB17_15
; %bb.12:
	s_add_i32 s1, s21, s22
	s_lshl_b32 s1, s1, 4
	s_add_i32 s2, s1, s15
	s_mov_b32 s3, s0
	s_lshl_b64 s[2:3], s[2:3], 3
	s_add_u32 s16, s18, s2
	s_mul_hi_u32 s1, s8, s12
	s_addc_u32 s17, s19, s3
	s_add_i32 s1, s1, s8
	s_lshr_b32 s1, s1, s13
	s_mul_i32 s2, s1, s14
	s_cmp_eq_u32 s2, s8
	s_cselect_b64 s[2:3], -1, 0
	s_cmp_lt_u32 s1, s7
	s_cselect_b64 s[26:27], -1, 0
	s_or_b64 s[26:27], s[26:27], s[2:3]
	s_mov_b64 s[2:3], -1
	s_and_b64 vcc, exec, s[26:27]
	s_mov_b32 s1, s21
	s_mov_b32 s25, s6
	s_cbranch_vccnz .LBB17_14
; %bb.13:
	s_add_i32 s1, s21, -1
	s_mov_b64 s[2:3], 0
	s_mov_b32 s25, s8
.LBB17_14:
	s_mul_i32 s8, s21, 0x600
	v_add_u32_e32 v4, s8, v6
	v_ashrrev_i32_e32 v5, 31, v4
	v_lshl_add_u64 v[4:5], v[4:5], 2, s[4:5]
	global_load_dword v5, v[4:5], off
	s_load_dwordx2 s[8:9], s[16:17], 0x0
	v_max_f32_e32 v4, v9, v9
	s_waitcnt lgkmcnt(0)
	v_max_f32_e64 v10, s8, s8
	v_max_f32_e32 v10, v4, v10
	v_sub_f32_e32 v11, v9, v10
	v_sub_f32_e32 v13, s8, v10
	v_mul_f32_e32 v4, 0x3fb8aa3b, v11
	v_mul_f32_e32 v12, 0x3fb8aa3b, v13
	v_fma_f32 v14, v11, s10, -v4
	v_rndne_f32_e32 v15, v4
	v_fma_f32 v16, v13, s10, -v12
	v_rndne_f32_e32 v17, v12
	v_fmac_f32_e32 v14, 0x32a5705f, v11
	v_sub_f32_e32 v4, v4, v15
	v_fmac_f32_e32 v16, 0x32a5705f, v13
	v_sub_f32_e32 v12, v12, v17
	v_add_f32_e32 v4, v4, v14
	v_cvt_i32_f32_e32 v15, v15
	v_add_f32_e32 v12, v12, v16
	v_exp_f32_e32 v14, v4
	v_cvt_i32_f32_e32 v17, v17
	v_exp_f32_e32 v12, v12
	v_cmp_ngt_f32_e32 vcc, s20, v11
	v_ldexp_f32 v14, v14, v15
	v_mov_b32_e32 v4, s9
	v_ldexp_f32 v12, v12, v17
	v_cndmask_b32_e32 v14, 0, v14, vcc
	v_cmp_ngt_f32_e32 vcc, s20, v13
	s_nop 1
	v_cndmask_b32_e32 v12, 0, v12, vcc
	v_cmp_nlt_f32_e32 vcc, s23, v11
	s_nop 1
	v_cndmask_b32_e32 v14, v8, v14, vcc
	v_cmp_nlt_f32_e32 vcc, s23, v13
	s_nop 1
	v_cndmask_b32_e32 v15, v8, v12, vcc
	v_cmp_le_f32_e32 vcc, s24, v11
	s_nop 1
	v_cndmask_b32_e32 v12, 0, v14, vcc
	v_cmp_le_f32_e32 vcc, s24, v13
	s_nop 1
	v_cndmask_b32_e32 v14, 0, v15, vcc
	s_waitcnt vmcnt(0)
	v_pk_mul_f32 v[4:5], v[4:5], v[14:15] op_sel_hi:[1,0]
	s_nop 0
	v_pk_fma_f32 v[4:5], v[0:1], v[12:13], v[4:5] op_sel_hi:[1,0,1]
	s_cbranch_execz .LBB17_16
	s_branch .LBB17_17
.LBB17_15:
                                        ; implicit-def: $vgpr4_vgpr5
                                        ; implicit-def: $sgpr2_sgpr3
                                        ; implicit-def: $vgpr10
                                        ; implicit-def: $sgpr1
                                        ; implicit-def: $sgpr25
.LBB17_16:
	s_add_i32 s1, s21, -1
	s_mov_b64 s[2:3], 0
	s_mov_b32 s25, s6
	v_mov_b32_e32 v10, v9
	s_waitcnt vmcnt(0)
	v_mov_b64_e32 v[4:5], v[0:1]
.LBB17_17:
	s_andn2_b64 vcc, exec, s[2:3]
	s_cbranch_vccz .LBB17_22
; %bb.18:
	s_mov_b32 s6, s25
	s_mov_b32 s21, s1
	v_mov_b32_e32 v9, v10
	s_waitcnt vmcnt(0)
	v_mov_b64_e32 v[0:1], v[4:5]
	s_mul_hi_i32 s1, s21, s11
	s_cmp_lg_u64 s[0:1], 0
	s_mul_i32 s16, s21, s11
	s_cbranch_scc1 .LBB17_9
.LBB17_19:
                                        ; implicit-def: $sgpr8_sgpr9
	s_branch .LBB17_10
.LBB17_20:
                                        ; implicit-def: $sgpr6_sgpr7
	s_load_dwordx4 s[12:15], s[0:1], 0x44
	s_branch .LBB17_2
.LBB17_21:
                                        ; implicit-def: $sgpr18_sgpr19
	s_branch .LBB17_5
.LBB17_22:
	v_div_scale_f32 v0, s[0:1], v4, v4, v5
	s_waitcnt vmcnt(0)
	v_rcp_f32_e32 v1, v0
	v_div_scale_f32 v6, vcc, v5, v4, v5
	v_fma_f32 v7, -v0, v1, 1.0
	v_fmac_f32_e32 v1, v7, v1
	v_mul_f32_e32 v7, v6, v1
	v_fma_f32 v8, -v0, v7, v6
	v_fmac_f32_e32 v7, v8, v1
	v_fma_f32 v0, -v0, v7, v6
	v_div_fmas_f32 v0, v0, v1, v7
	v_div_fixup_f32 v0, v0, v4, v5
	global_store_dword v[2:3], v0, off
.LBB17_23:
	s_endpgm
	.section	.rodata,"a",@progbits
	.p2align	6, 0x0
	.amdhsa_kernel _ZL33flash_attn_stream_k_fixup_generalILi96ELi4ELi4EEvPfPK15HIP_vector_typeIfLj2EEiiiiS1_IjLj3EES5_S5_S5_
		.amdhsa_group_segment_fixed_size 0
		.amdhsa_private_segment_fixed_size 0
		.amdhsa_kernarg_size 336
		.amdhsa_user_sgpr_count 2
		.amdhsa_user_sgpr_dispatch_ptr 0
		.amdhsa_user_sgpr_queue_ptr 0
		.amdhsa_user_sgpr_kernarg_segment_ptr 1
		.amdhsa_user_sgpr_dispatch_id 0
		.amdhsa_user_sgpr_kernarg_preload_length 0
		.amdhsa_user_sgpr_kernarg_preload_offset 0
		.amdhsa_user_sgpr_private_segment_size 0
		.amdhsa_uses_dynamic_stack 0
		.amdhsa_enable_private_segment 0
		.amdhsa_system_sgpr_workgroup_id_x 1
		.amdhsa_system_sgpr_workgroup_id_y 1
		.amdhsa_system_sgpr_workgroup_id_z 1
		.amdhsa_system_sgpr_workgroup_info 0
		.amdhsa_system_vgpr_workitem_id 0
		.amdhsa_next_free_vgpr 18
		.amdhsa_next_free_sgpr 36
		.amdhsa_accum_offset 20
		.amdhsa_reserve_vcc 1
		.amdhsa_float_round_mode_32 0
		.amdhsa_float_round_mode_16_64 0
		.amdhsa_float_denorm_mode_32 3
		.amdhsa_float_denorm_mode_16_64 3
		.amdhsa_dx10_clamp 1
		.amdhsa_ieee_mode 1
		.amdhsa_fp16_overflow 0
		.amdhsa_tg_split 0
		.amdhsa_exception_fp_ieee_invalid_op 0
		.amdhsa_exception_fp_denorm_src 0
		.amdhsa_exception_fp_ieee_div_zero 0
		.amdhsa_exception_fp_ieee_overflow 0
		.amdhsa_exception_fp_ieee_underflow 0
		.amdhsa_exception_fp_ieee_inexact 0
		.amdhsa_exception_int_div_zero 0
	.end_amdhsa_kernel
	.section	.text._ZL33flash_attn_stream_k_fixup_generalILi96ELi4ELi4EEvPfPK15HIP_vector_typeIfLj2EEiiiiS1_IjLj3EES5_S5_S5_,"axG",@progbits,_ZL33flash_attn_stream_k_fixup_generalILi96ELi4ELi4EEvPfPK15HIP_vector_typeIfLj2EEiiiiS1_IjLj3EES5_S5_S5_,comdat
.Lfunc_end17:
	.size	_ZL33flash_attn_stream_k_fixup_generalILi96ELi4ELi4EEvPfPK15HIP_vector_typeIfLj2EEiiiiS1_IjLj3EES5_S5_S5_, .Lfunc_end17-_ZL33flash_attn_stream_k_fixup_generalILi96ELi4ELi4EEvPfPK15HIP_vector_typeIfLj2EEiiiiS1_IjLj3EES5_S5_S5_
                                        ; -- End function
	.set _ZL33flash_attn_stream_k_fixup_generalILi96ELi4ELi4EEvPfPK15HIP_vector_typeIfLj2EEiiiiS1_IjLj3EES5_S5_S5_.num_vgpr, 18
	.set _ZL33flash_attn_stream_k_fixup_generalILi96ELi4ELi4EEvPfPK15HIP_vector_typeIfLj2EEiiiiS1_IjLj3EES5_S5_S5_.num_agpr, 0
	.set _ZL33flash_attn_stream_k_fixup_generalILi96ELi4ELi4EEvPfPK15HIP_vector_typeIfLj2EEiiiiS1_IjLj3EES5_S5_S5_.numbered_sgpr, 36
	.set _ZL33flash_attn_stream_k_fixup_generalILi96ELi4ELi4EEvPfPK15HIP_vector_typeIfLj2EEiiiiS1_IjLj3EES5_S5_S5_.num_named_barrier, 0
	.set _ZL33flash_attn_stream_k_fixup_generalILi96ELi4ELi4EEvPfPK15HIP_vector_typeIfLj2EEiiiiS1_IjLj3EES5_S5_S5_.private_seg_size, 0
	.set _ZL33flash_attn_stream_k_fixup_generalILi96ELi4ELi4EEvPfPK15HIP_vector_typeIfLj2EEiiiiS1_IjLj3EES5_S5_S5_.uses_vcc, 1
	.set _ZL33flash_attn_stream_k_fixup_generalILi96ELi4ELi4EEvPfPK15HIP_vector_typeIfLj2EEiiiiS1_IjLj3EES5_S5_S5_.uses_flat_scratch, 0
	.set _ZL33flash_attn_stream_k_fixup_generalILi96ELi4ELi4EEvPfPK15HIP_vector_typeIfLj2EEiiiiS1_IjLj3EES5_S5_S5_.has_dyn_sized_stack, 0
	.set _ZL33flash_attn_stream_k_fixup_generalILi96ELi4ELi4EEvPfPK15HIP_vector_typeIfLj2EEiiiiS1_IjLj3EES5_S5_S5_.has_recursion, 0
	.set _ZL33flash_attn_stream_k_fixup_generalILi96ELi4ELi4EEvPfPK15HIP_vector_typeIfLj2EEiiiiS1_IjLj3EES5_S5_S5_.has_indirect_call, 0
	.section	.AMDGPU.csdata,"",@progbits
; Kernel info:
; codeLenInByte = 2944
; TotalNumSgprs: 42
; NumVgprs: 18
; NumAgprs: 0
; TotalNumVgprs: 18
; ScratchSize: 0
; MemoryBound: 0
; FloatMode: 240
; IeeeMode: 1
; LDSByteSize: 0 bytes/workgroup (compile time only)
; SGPRBlocks: 5
; VGPRBlocks: 2
; NumSGPRsForWavesPerEU: 42
; NumVGPRsForWavesPerEU: 18
; AccumOffset: 20
; Occupancy: 8
; WaveLimiterHint : 0
; COMPUTE_PGM_RSRC2:SCRATCH_EN: 0
; COMPUTE_PGM_RSRC2:USER_SGPR: 2
; COMPUTE_PGM_RSRC2:TRAP_HANDLER: 0
; COMPUTE_PGM_RSRC2:TGID_X_EN: 1
; COMPUTE_PGM_RSRC2:TGID_Y_EN: 1
; COMPUTE_PGM_RSRC2:TGID_Z_EN: 1
; COMPUTE_PGM_RSRC2:TIDIG_COMP_CNT: 0
; COMPUTE_PGM_RSRC3_GFX90A:ACCUM_OFFSET: 4
; COMPUTE_PGM_RSRC3_GFX90A:TG_SPLIT: 0
	.section	.text._ZL26flash_attn_combine_resultsILi96EEvPKfPK15HIP_vector_typeIfLj2EEPfi,"axG",@progbits,_ZL26flash_attn_combine_resultsILi96EEvPKfPK15HIP_vector_typeIfLj2EEPfi,comdat
	.globl	_ZL26flash_attn_combine_resultsILi96EEvPKfPK15HIP_vector_typeIfLj2EEPfi ; -- Begin function _ZL26flash_attn_combine_resultsILi96EEvPKfPK15HIP_vector_typeIfLj2EEPfi
	.p2align	8
	.type	_ZL26flash_attn_combine_resultsILi96EEvPKfPK15HIP_vector_typeIfLj2EEPfi,@function
_ZL26flash_attn_combine_resultsILi96EEvPKfPK15HIP_vector_typeIfLj2EEPfi: ; @_ZL26flash_attn_combine_resultsILi96EEvPKfPK15HIP_vector_typeIfLj2EEPfi
; %bb.0:
	s_load_dwordx2 s[6:7], s[0:1], 0x20
	s_load_dword s25, s[0:1], 0x18
	s_load_dwordx4 s[16:19], s[0:1], 0x0
	s_load_dwordx2 s[14:15], s[0:1], 0x10
	s_waitcnt lgkmcnt(0)
	s_mul_i32 s0, s6, s4
	s_add_i32 s0, s0, s2
	s_mul_i32 s24, s0, s7
	s_add_i32 s24, s24, s3
	s_lshl_b32 s12, s25, 1
	s_mul_i32 s2, s24, s25
	v_cmp_gt_i32_e32 vcc, s12, v0
	s_and_saveexec_b64 s[0:1], vcc
	s_cbranch_execz .LBB18_13
; %bb.1:
	v_xad_u32 v1, v0, -1, s12
	s_movk_i32 s4, 0x5f
	s_ashr_i32 s3, s2, 31
	v_cmp_lt_u32_e32 vcc, s4, v1
	s_mov_b64 s[6:7], -1
	v_mov_b32_e32 v2, v0
	s_and_saveexec_b64 s[4:5], vcc
	s_cbranch_execz .LBB18_10
; %bb.2:
	s_mov_b32 s6, 0xaaaaaaab
	v_mul_hi_u32 v1, v1, s6
	v_lshrrev_b32_e32 v6, 6, v1
	s_lshl_b64 s[6:7], s[2:3], 3
	v_add_u32_e32 v2, -1, v6
	s_add_u32 s6, s18, s6
	v_add_u32_e32 v1, 0x60, v0
	v_lshrrev_b32_e32 v3, 1, v2
	s_addc_u32 s7, s19, s7
	v_add_u32_e32 v7, 1, v3
	v_cmp_lt_u32_e32 vcc, 13, v2
	v_mov_b32_e32 v4, 0
	v_mov_b64_e32 v[2:3], v[0:1]
	s_and_saveexec_b64 s[8:9], vcc
	s_cbranch_execz .LBB18_6
; %bb.3:
	v_and_b32_e32 v8, -8, v7
	s_mov_b32 s13, 0
	v_lshl_add_u32 v9, v0, 2, 0
	s_mov_b64 s[10:11], 0
	v_mov_b32_e32 v5, 0
	v_mov_b64_e32 v[2:3], v[0:1]
.LBB18_4:                               ; =>This Inner Loop Header: Depth=1
	v_mov_b32_e32 v4, v2
	v_lshl_add_u64 v[24:25], v[4:5], 2, s[6:7]
	v_mov_b32_e32 v4, v3
	v_add_u32_e32 v10, 0xc0, v3
	v_mov_b32_e32 v11, v5
	v_lshl_add_u64 v[26:27], v[4:5], 2, s[6:7]
	v_add_u32_e32 v4, 0xc0, v2
	v_lshl_add_u64 v[10:11], v[10:11], 2, s[6:7]
	global_load_dword v1, v[24:25], off
	v_lshl_add_u64 v[24:25], v[4:5], 2, s[6:7]
	v_add_u32_e32 v4, 0x180, v2
	global_load_dword v28, v[26:27], off
	global_load_dword v29, v[24:25], off
	;; [unrolled: 1-line block ×3, first 2 shown]
	v_lshl_add_u64 v[10:11], v[4:5], 2, s[6:7]
	v_add_u32_e32 v4, 0x240, v2
	v_add_u32_e32 v12, 0x180, v3
	v_mov_b32_e32 v13, v5
	v_add_u32_e32 v14, 0x240, v3
	v_mov_b32_e32 v15, v5
	v_lshl_add_u64 v[24:25], v[4:5], 2, s[6:7]
	v_add_u32_e32 v4, 0x300, v2
	v_lshl_add_u64 v[12:13], v[12:13], 2, s[6:7]
	v_lshl_add_u64 v[14:15], v[14:15], 2, s[6:7]
	global_load_dword v26, v[10:11], off
	global_load_dword v27, v[12:13], off
	;; [unrolled: 1-line block ×4, first 2 shown]
	v_lshl_add_u64 v[10:11], v[4:5], 2, s[6:7]
	v_add_u32_e32 v4, 0x3c0, v2
	v_add_u32_e32 v16, 0x300, v3
	v_mov_b32_e32 v17, v5
	v_add_u32_e32 v18, 0x3c0, v3
	v_mov_b32_e32 v19, v5
	v_lshl_add_u64 v[12:13], v[4:5], 2, s[6:7]
	v_add_u32_e32 v4, 0x480, v2
	v_add_u32_e32 v20, 0x480, v3
	v_mov_b32_e32 v21, v5
	v_add_u32_e32 v22, 0x540, v3
	v_mov_b32_e32 v23, v5
	v_lshl_add_u64 v[16:17], v[16:17], 2, s[6:7]
	v_lshl_add_u64 v[18:19], v[18:19], 2, s[6:7]
	global_load_dword v14, v[10:11], off
	global_load_dword v15, v[16:17], off
	;; [unrolled: 1-line block ×4, first 2 shown]
	v_lshl_add_u64 v[10:11], v[4:5], 2, s[6:7]
	v_add_u32_e32 v4, 0x540, v2
	v_lshl_add_u64 v[20:21], v[20:21], 2, s[6:7]
	v_lshl_add_u64 v[22:23], v[22:23], 2, s[6:7]
	;; [unrolled: 1-line block ×3, first 2 shown]
	global_load_dword v16, v[10:11], off
	global_load_dword v17, v[20:21], off
	;; [unrolled: 1-line block ×4, first 2 shown]
	v_add_u32_e32 v8, -8, v8
	s_add_i32 s13, s13, 16
	v_cmp_eq_u32_e32 vcc, 0, v8
	v_add_u32_e32 v10, 0x200, v9
	v_add_u32_e32 v11, 0x400, v9
	;; [unrolled: 1-line block ×8, first 2 shown]
	v_mov_b32_e32 v4, s13
	s_or_b64 s[10:11], vcc, s[10:11]
	v_add_u32_e32 v2, 0x600, v2
	s_waitcnt vmcnt(14)
	ds_write2_b32 v9, v1, v28 offset1:96
	v_add_u32_e32 v9, 0x1800, v9
	s_waitcnt vmcnt(12)
	ds_write2_b32 v10, v29, v30 offset0:64 offset1:160
	s_waitcnt vmcnt(10)
	ds_write2_b32 v11, v26, v27 offset0:128 offset1:224
	;; [unrolled: 2-line block ×3, first 2 shown]
	s_waitcnt vmcnt(6)
	ds_write2_b32 v13, v14, v15 offset1:96
	s_waitcnt vmcnt(4)
	ds_write2_b32 v20, v24, v25 offset0:64 offset1:160
	s_waitcnt vmcnt(2)
	ds_write2_b32 v21, v16, v17 offset0:128 offset1:224
	;; [unrolled: 2-line block ×3, first 2 shown]
	s_andn2_b64 exec, exec, s[10:11]
	s_cbranch_execnz .LBB18_4
; %bb.5:
	s_or_b64 exec, exec, s[10:11]
.LBB18_6:
	s_or_b64 exec, exec, s[8:9]
	v_and_b32_e32 v1, 7, v7
	v_cmp_ne_u32_e32 vcc, 0, v1
	s_and_saveexec_b64 s[8:9], vcc
	s_cbranch_execz .LBB18_9
; %bb.7:
	s_movk_i32 s10, 0x180
	v_mul_lo_u32 v4, v4, s10
	v_lshlrev_b32_e32 v5, 2, v0
	v_add3_u32 v7, v4, v5, 0
	s_mov_b64 s[10:11], 0
	v_mov_b32_e32 v5, 0
.LBB18_8:                               ; =>This Inner Loop Header: Depth=1
	v_mov_b32_e32 v4, v2
	v_lshl_add_u64 v[8:9], v[4:5], 2, s[6:7]
	v_mov_b32_e32 v4, v3
	v_lshl_add_u64 v[10:11], v[4:5], 2, s[6:7]
	global_load_dword v4, v[8:9], off
	global_load_dword v12, v[10:11], off
	v_add_u32_e32 v1, -1, v1
	v_cmp_eq_u32_e32 vcc, 0, v1
	v_add_u32_e32 v2, 0xc0, v2
	v_add_u32_e32 v3, 0xc0, v3
	s_or_b64 s[10:11], vcc, s[10:11]
	s_waitcnt vmcnt(0)
	ds_write2_b32 v7, v4, v12 offset1:96
	v_add_u32_e32 v7, 0x300, v7
	s_andn2_b64 exec, exec, s[10:11]
	s_cbranch_execnz .LBB18_8
.LBB18_9:
	s_or_b64 exec, exec, s[8:9]
	v_add_u32_e32 v1, 1, v6
	v_and_b32_e32 v4, 0x7fffffe, v1
	s_movk_i32 s6, 0x60
	v_mad_u64_u32 v[2:3], s[6:7], v4, s6, v[0:1]
	v_cmp_ne_u32_e32 vcc, v1, v4
	s_orn2_b64 s[6:7], vcc, exec
.LBB18_10:
	s_or_b64 exec, exec, s[4:5]
	s_and_b64 exec, exec, s[6:7]
	s_cbranch_execz .LBB18_13
; %bb.11:
	s_lshl_b64 s[4:5], s[2:3], 3
	s_add_u32 s4, s18, s4
	v_mov_b32_e32 v3, 0
	s_addc_u32 s5, s19, s5
	v_lshl_add_u64 v[4:5], v[2:3], 2, s[4:5]
	v_lshl_add_u32 v1, v2, 2, 0
	s_mov_b64 s[4:5], 0
	s_mov_b64 s[6:7], 0x180
.LBB18_12:                              ; =>This Inner Loop Header: Depth=1
	global_load_dword v3, v[4:5], off
	v_add_u32_e32 v2, 0x60, v2
	v_cmp_le_i32_e32 vcc, s12, v2
	v_lshl_add_u64 v[4:5], v[4:5], 0, s[6:7]
	s_or_b64 s[4:5], vcc, s[4:5]
	s_waitcnt vmcnt(0)
	ds_write_b32 v1, v3
	v_add_u32_e32 v1, 0x180, v1
	s_andn2_b64 exec, exec, s[4:5]
	s_cbranch_execnz .LBB18_12
.LBB18_13:
	s_or_b64 exec, exec, s[0:1]
	v_mov_b32_e32 v1, 0
	s_waitcnt lgkmcnt(0)
	s_barrier
	ds_read_b32 v1, v1
	s_cmp_lt_i32 s25, 2
	s_cbranch_scc1 .LBB18_21
; %bb.14:
	s_cmp_eq_u32 s25, 2
	s_cbranch_scc1 .LBB18_18
; %bb.15:
	s_add_i32 s3, s25, -1
	s_and_b32 s4, s3, -2
	s_add_i32 s6, 0, 8
	s_mov_b32 s5, 2
	s_waitcnt lgkmcnt(0)
	v_mov_b32_e32 v4, v1
.LBB18_16:                              ; =>This Inner Loop Header: Depth=1
	v_mov_b32_e32 v2, v1
	v_mov_b32_e32 v1, s6
	;; [unrolled: 1-line block ×3, first 2 shown]
	ds_read2_b32 v[4:5], v1 offset1:2
	s_cmp_lg_u32 s4, s5
	s_cselect_b64 s[8:9], -1, 0
	v_max_f32_e32 v1, v3, v3
	v_max_f32_e32 v6, v2, v2
	s_waitcnt lgkmcnt(0)
	v_cmp_u_f32_e32 vcc, v5, v5
	v_max_f32_e32 v7, v5, v5
	v_max_f32_e32 v8, v4, v4
	v_cndmask_b32_e64 v5, 0, 1, vcc
	v_cmp_u_f32_e32 vcc, v4, v4
	v_readfirstlane_b32 s0, v5
	s_lshl_b32 s0, s0, 1
	v_cndmask_b32_e64 v9, 0, 1, vcc
	v_max_f32_e32 v4, v1, v7
	v_readfirstlane_b32 s1, v9
	s_or_b32 s0, s1, s0
	s_and_b32 s7, s0, 3
	s_cmp_lg_u32 s7, 0
	s_cselect_b64 s[0:1], -1, 0
	s_cmp_eq_u32 s7, 0
	s_cselect_b64 s[10:11], -1, 0
	s_and_b64 s[8:9], s[10:11], s[8:9]
	v_max_f32_e32 v1, v6, v8
	s_add_i32 s5, s5, 2
	s_add_i32 s6, s6, 16
	s_and_b64 vcc, exec, s[8:9]
	s_cbranch_vccnz .LBB18_16
; %bb.17:
	s_add_i32 s5, s5, -4
	s_and_b64 s[6:7], s[0:1], exec
	s_cselect_b32 s5, s5, s3
	s_or_b32 s5, s5, 1
	v_cndmask_b32_e64 v1, v1, v2, s[0:1]
	v_cndmask_b32_e64 v2, v4, v3, s[0:1]
	s_cmp_lg_u32 s3, s4
	v_max_f32_e32 v2, v2, v2
	v_max_f32_e32 v1, v1, v1
	s_cselect_b64 s[6:7], -1, 0
	v_max_f32_e32 v1, v1, v2
	s_or_b64 s[0:1], s[6:7], s[0:1]
	s_and_b64 vcc, exec, s[0:1]
	s_cbranch_vccnz .LBB18_19
	s_branch .LBB18_21
.LBB18_18:
	s_mov_b32 s5, 1
	s_cbranch_execz .LBB18_21
.LBB18_19:
	s_lshl_b32 s1, s5, 3
	s_sub_i32 s0, s25, s5
	s_add_i32 s1, s1, 0
.LBB18_20:                              ; =>This Inner Loop Header: Depth=1
	v_mov_b32_e32 v2, s1
	ds_read_b32 v2, v2
	s_waitcnt lgkmcnt(1)
	v_max_f32_e32 v1, v1, v1
	s_add_i32 s0, s0, -1
	s_add_i32 s1, s1, 8
	s_cmp_eq_u32 s0, 0
	s_waitcnt lgkmcnt(0)
	v_max_f32_e32 v2, v2, v2
	v_max_f32_e32 v1, v1, v2
	s_cbranch_scc0 .LBB18_20
.LBB18_21:
	s_cmp_lt_i32 s25, 1
	s_cbranch_scc1 .LBB18_26
; %bb.22:
	s_mul_i32 s18, s2, 0x60
	s_ashr_i32 s19, s18, 31
	s_cmp_lt_u32 s25, 8
	s_cbranch_scc1 .LBB18_27
; %bb.23:
	s_lshl_b64 s[0:1], s[18:19], 2
	s_add_u32 s20, s16, s0
	s_addc_u32 s21, s17, s1
	v_lshlrev_b32_e32 v4, 2, v0
	v_mov_b32_e32 v5, 0
	v_lshl_add_u64 v[2:3], s[20:21], 0, v[4:5]
	s_mov_b64 s[0:1], 0x180
	s_and_b32 s26, s25, 0x7ffffff8
	v_lshl_add_u64 v[6:7], v[2:3], 0, s[0:1]
	v_add_u32_e32 v8, 0x2a0, v0
	s_mov_b32 s27, 0
	s_mov_b32 s28, 0x3fb8aa3b
	;; [unrolled: 1-line block ×4, first 2 shown]
	v_mov_b32_e32 v12, 0x7f800000
	s_mov_b64 s[22:23], 0xc00
	s_mov_b32 s31, 0
	v_mov_b32_e32 v2, v5
	v_mov_b32_e32 v3, v5
.LBB18_24:                              ; =>This Inner Loop Header: Depth=1
	v_add_u32_e32 v4, 0xfffffd60, v8
	v_mov_b32_e32 v10, s27
	v_lshl_add_u64 v[30:31], v[4:5], 2, s[20:21]
	v_add_u32_e32 v4, 0xfffffe20, v8
	global_load_dword v11, v[6:7], off
	ds_read2_b64 v[14:17], v10 offset1:1
	ds_read2_b64 v[18:21], v10 offset0:2 offset1:3
	ds_read2_b64 v[22:25], v10 offset0:4 offset1:5
	;; [unrolled: 1-line block ×3, first 2 shown]
	v_lshl_add_u64 v[34:35], v[4:5], 2, s[20:21]
	v_add_u32_e32 v4, 0xfffffe80, v8
	global_load_dword v37, v[30:31], off
	global_load_dword v39, v[34:35], off
	v_lshl_add_u64 v[30:31], v[4:5], 2, s[20:21]
	v_add_u32_e32 v4, 0xfffffee0, v8
	v_lshl_add_u64 v[34:35], v[4:5], 2, s[20:21]
	v_add_u32_e32 v4, 0xffffff40, v8
	global_load_dword v41, v[30:31], off
	global_load_dword v43, v[34:35], off
	v_lshl_add_u64 v[30:31], v[4:5], 2, s[20:21]
	v_add_u32_e32 v4, 0xffffffa0, v8
	s_waitcnt lgkmcnt(3)
	v_mov_b32_e32 v36, v15
	global_load_dword v15, v[30:31], off
	v_mov_b32_e32 v9, v5
	v_sub_f32_e32 v13, v16, v1
	v_mov_b32_e32 v10, v17
	v_lshl_add_u64 v[16:17], v[4:5], 2, s[20:21]
	v_lshl_add_u64 v[32:33], v[8:9], 2, s[20:21]
	s_waitcnt lgkmcnt(2)
	v_mov_b32_e32 v38, v19
	v_mov_b32_e32 v40, v21
	global_load_dword v19, v[16:17], off
	global_load_dword v21, v[32:33], off
	v_sub_f32_e32 v9, v14, v1
	v_sub_f32_e32 v34, v18, v1
	;; [unrolled: 1-line block ×3, first 2 shown]
	s_waitcnt lgkmcnt(1)
	v_sub_f32_e32 v22, v22, v1
	v_mov_b32_e32 v42, v23
	v_sub_f32_e32 v23, v24, v1
	v_mov_b32_e32 v14, v25
	s_waitcnt lgkmcnt(0)
	v_sub_f32_e32 v24, v26, v1
	v_sub_f32_e32 v4, v28, v1
	v_mul_f32_e32 v25, 0x3fb8aa3b, v9
	v_mov_b32_e32 v18, v27
	v_mov_b32_e32 v20, v29
	v_mul_f32_e32 v26, 0x3fb8aa3b, v13
	v_mul_f32_e32 v27, 0x3fb8aa3b, v34
	;; [unrolled: 1-line block ×7, first 2 shown]
	v_fma_f32 v16, v9, s28, -v25
	v_rndne_f32_e32 v17, v25
	v_fma_f32 v32, v13, s28, -v26
	v_rndne_f32_e32 v33, v26
	;; [unrolled: 2-line block ×8, first 2 shown]
	v_fmac_f32_e32 v16, 0x32a5705f, v9
	v_sub_f32_e32 v25, v25, v17
	v_fmac_f32_e32 v32, 0x32a5705f, v13
	v_sub_f32_e32 v26, v26, v33
	v_fmac_f32_e32 v45, 0x32a5705f, v34
	v_sub_f32_e32 v27, v27, v46
	v_fmac_f32_e32 v47, 0x32a5705f, v35
	v_sub_f32_e32 v28, v28, v48
	v_fmac_f32_e32 v49, 0x32a5705f, v22
	v_sub_f32_e32 v29, v29, v50
	v_fmac_f32_e32 v51, 0x32a5705f, v23
	v_sub_f32_e32 v30, v30, v52
	v_fmac_f32_e32 v53, 0x32a5705f, v24
	v_sub_f32_e32 v31, v31, v54
	v_fmac_f32_e32 v55, 0x32a5705f, v4
	v_sub_f32_e32 v44, v44, v56
	v_add_f32_e32 v16, v25, v16
	v_cvt_i32_f32_e32 v17, v17
	v_add_f32_e32 v25, v26, v32
	v_add_f32_e32 v26, v27, v45
	;; [unrolled: 1-line block ×7, first 2 shown]
	v_exp_f32_e32 v16, v16
	v_cvt_i32_f32_e32 v33, v33
	v_cvt_i32_f32_e32 v46, v46
	;; [unrolled: 1-line block ×7, first 2 shown]
	v_exp_f32_e32 v25, v25
	v_exp_f32_e32 v26, v26
	;; [unrolled: 1-line block ×7, first 2 shown]
	v_ldexp_f32 v16, v16, v17
	v_cmp_ngt_f32_e64 s[12:13], s29, v9
	v_ldexp_f32 v17, v25, v33
	v_cmp_ngt_f32_e32 vcc, s29, v13
	v_ldexp_f32 v25, v26, v46
	v_cmp_ngt_f32_e64 s[0:1], s29, v34
	v_ldexp_f32 v26, v27, v48
	v_cmp_ngt_f32_e64 s[2:3], s29, v35
	;; [unrolled: 2-line block ×6, first 2 shown]
	v_cndmask_b32_e64 v16, 0, v16, s[12:13]
	v_cmp_nlt_f32_e64 s[12:13], s30, v9
	v_cndmask_b32_e32 v17, 0, v17, vcc
	v_cmp_nlt_f32_e32 vcc, s30, v13
	v_cndmask_b32_e64 v13, 0, v25, s[0:1]
	v_cndmask_b32_e64 v25, 0, v26, s[2:3]
	;; [unrolled: 1-line block ×4, first 2 shown]
	v_cmp_nlt_f32_e64 s[6:7], s30, v23
	v_cndmask_b32_e64 v23, 0, v29, s[8:9]
	v_cndmask_b32_e64 v29, 0, v30, s[10:11]
	v_cmp_nlt_f32_e64 s[10:11], s30, v4
	v_cndmask_b32_e64 v4, v12, v16, s[12:13]
	v_cmp_nlt_f32_e64 s[0:1], s30, v34
	v_cndmask_b32_e32 v16, v12, v17, vcc
	s_waitcnt vmcnt(6)
	v_pk_fma_f32 v[2:3], v[4:5], v[36:37], v[2:3] op_sel_hi:[0,1,1]
	v_cmp_nlt_f32_e64 s[2:3], s30, v35
	v_cmp_nlt_f32_e64 s[4:5], s30, v22
	v_cndmask_b32_e64 v22, v12, v13, s[0:1]
	v_pk_fma_f32 v[2:3], v[16:17], v[10:11], v[2:3] op_sel_hi:[0,1,1]
	v_cmp_nlt_f32_e64 s[8:9], s30, v24
	v_cndmask_b32_e64 v24, v12, v25, s[2:3]
	s_waitcnt vmcnt(5)
	v_pk_fma_f32 v[2:3], v[22:23], v[38:39], v[2:3] op_sel_hi:[0,1,1]
	v_cndmask_b32_e64 v26, v12, v26, s[4:5]
	s_waitcnt vmcnt(4)
	v_pk_fma_f32 v[2:3], v[24:25], v[40:41], v[2:3] op_sel_hi:[0,1,1]
	;; [unrolled: 3-line block ×4, first 2 shown]
	s_add_i32 s31, s31, 8
	s_add_i32 s27, s27, 64
	v_cndmask_b32_e64 v32, v12, v29, s[10:11]
	s_waitcnt vmcnt(1)
	v_pk_fma_f32 v[2:3], v[30:31], v[18:19], v[2:3] op_sel_hi:[0,1,1]
	v_lshl_add_u64 v[6:7], v[6:7], 0, s[22:23]
	s_cmp_eq_u32 s26, s31
	v_add_u32_e32 v8, 0x300, v8
	s_waitcnt vmcnt(0)
	v_pk_fma_f32 v[2:3], v[32:33], v[20:21], v[2:3] op_sel_hi:[0,1,1]
	s_cbranch_scc0 .LBB18_24
; %bb.25:
	s_and_b32 s2, s25, 7
	s_cmp_eq_u32 s2, 0
	s_cbranch_scc0 .LBB18_28
	s_branch .LBB18_30
.LBB18_26:
	s_waitcnt lgkmcnt(0)
	v_mov_b32_e32 v1, 0x7fc00000
	s_branch .LBB18_31
.LBB18_27:
	v_mov_b32_e32 v2, 0
	s_mov_b32 s26, 0
	v_mov_b32_e32 v3, v2
	s_and_b32 s2, s25, 7
	s_cmp_eq_u32 s2, 0
	s_cbranch_scc1 .LBB18_30
.LBB18_28:
	s_lshl_b64 s[0:1], s[18:19], 2
	s_mul_i32 s3, s26, 0x60
	s_add_u32 s0, s16, s0
	v_add_u32_e32 v4, s3, v0
	v_mov_b32_e32 v5, 0
	s_addc_u32 s1, s17, s1
	v_lshl_add_u64 v[4:5], v[4:5], 2, s[0:1]
	s_lshl_b32 s0, s26, 3
	s_add_i32 s3, s0, 0
	s_mov_b32 s4, 0x3fb8aa3b
	s_mov_b32 s5, 0xc2ce8ed0
	;; [unrolled: 1-line block ×3, first 2 shown]
	v_mov_b32_e32 v6, 0x7f800000
	s_mov_b64 s[0:1], 0x180
.LBB18_29:                              ; =>This Inner Loop Header: Depth=1
	global_load_dword v9, v[4:5], off
	v_mov_b32_e32 v7, s3
	ds_read_b64 v[10:11], v7
	s_add_i32 s3, s3, 8
	s_add_i32 s2, s2, -1
	v_lshl_add_u64 v[4:5], v[4:5], 0, s[0:1]
	s_cmp_lg_u32 s2, 0
	s_waitcnt lgkmcnt(0)
	v_sub_f32_e32 v7, v10, v1
	v_mul_f32_e32 v8, 0x3fb8aa3b, v7
	v_fma_f32 v10, v7, s4, -v8
	v_rndne_f32_e32 v12, v8
	v_fmac_f32_e32 v10, 0x32a5705f, v7
	v_sub_f32_e32 v8, v8, v12
	v_add_f32_e32 v8, v8, v10
	v_cvt_i32_f32_e32 v12, v12
	v_exp_f32_e32 v10, v8
	v_cmp_ngt_f32_e32 vcc, s5, v7
	v_mov_b32_e32 v8, v11
	v_ldexp_f32 v10, v10, v12
	v_cndmask_b32_e32 v10, 0, v10, vcc
	v_cmp_nlt_f32_e32 vcc, s6, v7
	s_nop 1
	v_cndmask_b32_e32 v10, v6, v10, vcc
	s_waitcnt vmcnt(0)
	v_pk_fma_f32 v[2:3], v[10:11], v[8:9], v[2:3] op_sel_hi:[0,1,1]
	s_cbranch_scc1 .LBB18_29
.LBB18_30:
	s_waitcnt lgkmcnt(0)
	v_div_scale_f32 v1, s[0:1], v2, v2, v3
	v_rcp_f32_e32 v4, v1
	v_div_scale_f32 v5, vcc, v3, v2, v3
	v_fma_f32 v6, -v1, v4, 1.0
	v_fmac_f32_e32 v4, v6, v4
	v_mul_f32_e32 v6, v5, v4
	v_fma_f32 v7, -v1, v6, v5
	v_fmac_f32_e32 v6, v7, v4
	v_fma_f32 v1, -v1, v6, v5
	v_div_fmas_f32 v1, v1, v4, v6
	v_div_fixup_f32 v1, v1, v2, v3
.LBB18_31:
	s_mul_i32 s0, s24, 0x60
	s_ashr_i32 s1, s0, 31
	s_lshl_b64 s[0:1], s[0:1], 2
	s_add_u32 s0, s14, s0
	s_addc_u32 s1, s15, s1
	v_lshlrev_b32_e32 v0, 2, v0
	global_store_dword v0, v1, s[0:1]
	s_endpgm
	.section	.rodata,"a",@progbits
	.p2align	6, 0x0
	.amdhsa_kernel _ZL26flash_attn_combine_resultsILi96EEvPKfPK15HIP_vector_typeIfLj2EEPfi
		.amdhsa_group_segment_fixed_size 0
		.amdhsa_private_segment_fixed_size 0
		.amdhsa_kernarg_size 288
		.amdhsa_user_sgpr_count 2
		.amdhsa_user_sgpr_dispatch_ptr 0
		.amdhsa_user_sgpr_queue_ptr 0
		.amdhsa_user_sgpr_kernarg_segment_ptr 1
		.amdhsa_user_sgpr_dispatch_id 0
		.amdhsa_user_sgpr_kernarg_preload_length 0
		.amdhsa_user_sgpr_kernarg_preload_offset 0
		.amdhsa_user_sgpr_private_segment_size 0
		.amdhsa_uses_dynamic_stack 0
		.amdhsa_enable_private_segment 0
		.amdhsa_system_sgpr_workgroup_id_x 1
		.amdhsa_system_sgpr_workgroup_id_y 1
		.amdhsa_system_sgpr_workgroup_id_z 1
		.amdhsa_system_sgpr_workgroup_info 0
		.amdhsa_system_vgpr_workitem_id 0
		.amdhsa_next_free_vgpr 57
		.amdhsa_next_free_sgpr 32
		.amdhsa_accum_offset 60
		.amdhsa_reserve_vcc 1
		.amdhsa_float_round_mode_32 0
		.amdhsa_float_round_mode_16_64 0
		.amdhsa_float_denorm_mode_32 3
		.amdhsa_float_denorm_mode_16_64 3
		.amdhsa_dx10_clamp 1
		.amdhsa_ieee_mode 1
		.amdhsa_fp16_overflow 0
		.amdhsa_tg_split 0
		.amdhsa_exception_fp_ieee_invalid_op 0
		.amdhsa_exception_fp_denorm_src 0
		.amdhsa_exception_fp_ieee_div_zero 0
		.amdhsa_exception_fp_ieee_overflow 0
		.amdhsa_exception_fp_ieee_underflow 0
		.amdhsa_exception_fp_ieee_inexact 0
		.amdhsa_exception_int_div_zero 0
	.end_amdhsa_kernel
	.section	.text._ZL26flash_attn_combine_resultsILi96EEvPKfPK15HIP_vector_typeIfLj2EEPfi,"axG",@progbits,_ZL26flash_attn_combine_resultsILi96EEvPKfPK15HIP_vector_typeIfLj2EEPfi,comdat
.Lfunc_end18:
	.size	_ZL26flash_attn_combine_resultsILi96EEvPKfPK15HIP_vector_typeIfLj2EEPfi, .Lfunc_end18-_ZL26flash_attn_combine_resultsILi96EEvPKfPK15HIP_vector_typeIfLj2EEPfi
                                        ; -- End function
	.set _ZL26flash_attn_combine_resultsILi96EEvPKfPK15HIP_vector_typeIfLj2EEPfi.num_vgpr, 57
	.set _ZL26flash_attn_combine_resultsILi96EEvPKfPK15HIP_vector_typeIfLj2EEPfi.num_agpr, 0
	.set _ZL26flash_attn_combine_resultsILi96EEvPKfPK15HIP_vector_typeIfLj2EEPfi.numbered_sgpr, 32
	.set _ZL26flash_attn_combine_resultsILi96EEvPKfPK15HIP_vector_typeIfLj2EEPfi.num_named_barrier, 0
	.set _ZL26flash_attn_combine_resultsILi96EEvPKfPK15HIP_vector_typeIfLj2EEPfi.private_seg_size, 0
	.set _ZL26flash_attn_combine_resultsILi96EEvPKfPK15HIP_vector_typeIfLj2EEPfi.uses_vcc, 1
	.set _ZL26flash_attn_combine_resultsILi96EEvPKfPK15HIP_vector_typeIfLj2EEPfi.uses_flat_scratch, 0
	.set _ZL26flash_attn_combine_resultsILi96EEvPKfPK15HIP_vector_typeIfLj2EEPfi.has_dyn_sized_stack, 0
	.set _ZL26flash_attn_combine_resultsILi96EEvPKfPK15HIP_vector_typeIfLj2EEPfi.has_recursion, 0
	.set _ZL26flash_attn_combine_resultsILi96EEvPKfPK15HIP_vector_typeIfLj2EEPfi.has_indirect_call, 0
	.section	.AMDGPU.csdata,"",@progbits
; Kernel info:
; codeLenInByte = 3064
; TotalNumSgprs: 38
; NumVgprs: 57
; NumAgprs: 0
; TotalNumVgprs: 57
; ScratchSize: 0
; MemoryBound: 0
; FloatMode: 240
; IeeeMode: 1
; LDSByteSize: 0 bytes/workgroup (compile time only)
; SGPRBlocks: 4
; VGPRBlocks: 7
; NumSGPRsForWavesPerEU: 38
; NumVGPRsForWavesPerEU: 57
; AccumOffset: 60
; Occupancy: 8
; WaveLimiterHint : 0
; COMPUTE_PGM_RSRC2:SCRATCH_EN: 0
; COMPUTE_PGM_RSRC2:USER_SGPR: 2
; COMPUTE_PGM_RSRC2:TRAP_HANDLER: 0
; COMPUTE_PGM_RSRC2:TGID_X_EN: 1
; COMPUTE_PGM_RSRC2:TGID_Y_EN: 1
; COMPUTE_PGM_RSRC2:TGID_Z_EN: 1
; COMPUTE_PGM_RSRC2:TIDIG_COMP_CNT: 0
; COMPUTE_PGM_RSRC3_GFX90A:ACCUM_OFFSET: 14
; COMPUTE_PGM_RSRC3_GFX90A:TG_SPLIT: 0
	.section	.text._ZL18flash_attn_ext_f16ILi112ELi112ELi4ELi4ELb0ELb0EEvPKcS1_S1_S1_S1_PKiPfP15HIP_vector_typeIfLj2EEffffjfiS5_IjLj3EEiiiiiiiiiiiliiliiiiil,"axG",@progbits,_ZL18flash_attn_ext_f16ILi112ELi112ELi4ELi4ELb0ELb0EEvPKcS1_S1_S1_S1_PKiPfP15HIP_vector_typeIfLj2EEffffjfiS5_IjLj3EEiiiiiiiiiiiliiliiiiil,comdat
	.globl	_ZL18flash_attn_ext_f16ILi112ELi112ELi4ELi4ELb0ELb0EEvPKcS1_S1_S1_S1_PKiPfP15HIP_vector_typeIfLj2EEffffjfiS5_IjLj3EEiiiiiiiiiiiliiliiiiil ; -- Begin function _ZL18flash_attn_ext_f16ILi112ELi112ELi4ELi4ELb0ELb0EEvPKcS1_S1_S1_S1_PKiPfP15HIP_vector_typeIfLj2EEffffjfiS5_IjLj3EEiiiiiiiiiiiliiliiiiil
	.p2align	8
	.type	_ZL18flash_attn_ext_f16ILi112ELi112ELi4ELi4ELb0ELb0EEvPKcS1_S1_S1_S1_PKiPfP15HIP_vector_typeIfLj2EEffffjfiS5_IjLj3EEiiiiiiiiiiiliiliiiiil,@function
_ZL18flash_attn_ext_f16ILi112ELi112ELi4ELi4ELb0ELb0EEvPKcS1_S1_S1_S1_PKiPfP15HIP_vector_typeIfLj2EEffffjfiS5_IjLj3EEiiiiiiiiiiiliiliiiiil: ; @_ZL18flash_attn_ext_f16ILi112ELi112ELi4ELi4ELb0ELb0EEvPKcS1_S1_S1_S1_PKiPfP15HIP_vector_typeIfLj2EEffffjfiS5_IjLj3EEiiiiiiiiiiiliiliiiiil
; %bb.0:
	s_load_dwordx2 s[4:5], s[0:1], 0x80
	s_load_dwordx4 s[20:23], s[0:1], 0x64
	s_mov_b32 s33, s2
                                        ; implicit-def: $vgpr194 : SGPR spill to VGPR lane
	s_load_dword s55, s[0:1], 0xd0
	s_mov_b32 s6, 0
	s_waitcnt lgkmcnt(0)
	s_abs_i32 s2, s5
	v_cvt_f32_u32_e32 v1, s2
	s_sub_i32 s8, 0, s2
	s_abs_i32 s7, s21
	s_xor_b32 s3, s21, s5
	v_rcp_iflag_f32_e32 v1, v1
	s_ashr_i32 s3, s3, 31
	v_mul_f32_e32 v1, 0x4f7ffffe, v1
	v_cvt_u32_f32_e32 v1, v1
	s_nop 0
	v_readfirstlane_b32 s9, v1
	s_mul_i32 s8, s8, s9
	s_mul_hi_u32 s8, s9, s8
	s_add_i32 s9, s9, s8
	s_mul_hi_u32 s8, s7, s9
	s_mul_i32 s9, s8, s2
	s_sub_i32 s7, s7, s9
	s_add_i32 s10, s8, 1
	s_sub_i32 s9, s7, s2
	s_cmp_ge_u32 s7, s2
	s_cselect_b32 s8, s10, s8
	s_cselect_b32 s7, s9, s7
	s_add_i32 s9, s8, 1
	s_cmp_ge_u32 s7, s2
	s_cselect_b32 s2, s9, s8
	s_add_i32 s4, s4, 63
	s_xor_b32 s2, s2, s3
	s_ashr_i32 s7, s4, 31
	s_sub_i32 s3, s2, s3
	s_lshr_b32 s2, s7, 26
	s_add_i32 s4, s4, s2
	s_ashr_i32 s2, s4, 6
	s_add_i32 s4, s20, 3
	s_lshr_b32 s8, s4, 2
	s_add_i32 s4, s3, 3
	s_ashr_i32 s7, s4, 31
	s_lshr_b32 s7, s7, 30
	s_add_i32 s4, s4, s7
	s_ashr_i32 s4, s4, 2
	v_writelane_b32 v194, s8, 0
	s_mul_i32 s7, s8, s2
	v_writelane_b32 v194, s7, 1
	s_mul_i32 s4, s7, s4
	;; [unrolled: 2-line block ×3, first 2 shown]
	s_mul_i32 s10, s4, s22
	s_ashr_i32 s11, s10, 31
	v_writelane_b32 v194, s4, 3
	s_mul_i32 s4, s11, s33
	s_mul_hi_u32 s5, s10, s33
	s_add_i32 s7, s5, s4
	s_cmp_lg_u64 s[6:7], 0
	s_mul_i32 s6, s10, s33
	s_cbranch_scc0 .LBB19_254
; %bb.1:
	s_add_u32 s4, s55, 0
	s_addc_u32 s5, 0, 0
	s_xor_b64 s[8:9], s[4:5], 0
	v_cvt_f32_u32_e32 v1, s8
	v_cvt_f32_u32_e32 v2, s9
	s_sub_u32 s14, 0, s8
	s_subb_u32 s15, 0, s9
	v_fmamk_f32 v1, v2, 0x4f800000, v1
	v_rcp_f32_e32 v1, v1
	s_nop 0
	v_mul_f32_e32 v1, 0x5f7ffffc, v1
	v_mul_f32_e32 v2, 0x2f800000, v1
	v_trunc_f32_e32 v2, v2
	v_fmamk_f32 v1, v2, 0xcf800000, v1
	v_cvt_u32_f32_e32 v2, v2
	v_cvt_u32_f32_e32 v1, v1
	v_readfirstlane_b32 s16, v2
	v_readfirstlane_b32 s12, v1
	s_mul_i32 s13, s14, s16
	s_mul_hi_u32 s18, s14, s12
	s_mul_i32 s17, s15, s12
	s_add_i32 s13, s18, s13
	s_add_i32 s13, s13, s17
	s_mul_i32 s19, s14, s12
	s_mul_i32 s18, s12, s13
	s_mul_hi_u32 s22, s12, s19
	s_mul_hi_u32 s17, s12, s13
	s_add_u32 s18, s22, s18
	s_addc_u32 s17, 0, s17
	s_mul_hi_u32 s24, s16, s19
	s_mul_i32 s19, s16, s19
	s_add_u32 s18, s18, s19
	s_mul_hi_u32 s22, s16, s13
	s_addc_u32 s17, s17, s24
	s_addc_u32 s18, s22, 0
	s_mul_i32 s13, s16, s13
	s_add_u32 s13, s17, s13
	s_addc_u32 s17, 0, s18
	s_add_u32 s18, s12, s13
	s_cselect_b64 s[12:13], -1, 0
	s_cmp_lg_u64 s[12:13], 0
	s_addc_u32 s16, s16, s17
	s_mul_i32 s12, s14, s16
	s_mul_hi_u32 s13, s14, s18
	s_add_i32 s12, s13, s12
	s_mul_i32 s15, s15, s18
	s_add_i32 s12, s12, s15
	s_mul_i32 s14, s14, s18
	s_mul_hi_u32 s15, s16, s14
	s_mul_i32 s17, s16, s14
	s_mul_i32 s22, s18, s12
	s_mul_hi_u32 s14, s18, s14
	s_mul_hi_u32 s19, s18, s12
	s_add_u32 s14, s14, s22
	s_addc_u32 s19, 0, s19
	s_add_u32 s14, s14, s17
	s_mul_hi_u32 s13, s16, s12
	s_addc_u32 s14, s19, s15
	s_addc_u32 s13, s13, 0
	s_mul_i32 s12, s16, s12
	s_add_u32 s12, s14, s12
	s_addc_u32 s14, 0, s13
	s_add_u32 s17, s18, s12
	s_cselect_b64 s[12:13], -1, 0
	s_cmp_lg_u64 s[12:13], 0
	s_addc_u32 s16, s16, s14
	s_ashr_i32 s12, s7, 31
	s_add_u32 s14, s6, s12
	s_mov_b32 s13, s12
	s_addc_u32 s15, s7, s12
	s_xor_b64 s[14:15], s[14:15], s[12:13]
	s_mul_i32 s18, s14, s16
	s_mul_hi_u32 s19, s14, s17
	s_mul_hi_u32 s7, s14, s16
	s_add_u32 s18, s19, s18
	s_addc_u32 s7, 0, s7
	s_mul_hi_u32 s22, s15, s17
	s_mul_i32 s17, s15, s17
	s_add_u32 s17, s18, s17
	s_mul_hi_u32 s19, s15, s16
	s_addc_u32 s7, s7, s22
	s_addc_u32 s17, s19, 0
	s_mul_i32 s16, s15, s16
	s_add_u32 s7, s7, s16
	s_addc_u32 s22, 0, s17
	s_mul_i32 s16, s8, s22
	s_mul_hi_u32 s17, s8, s7
	s_add_i32 s16, s17, s16
	s_mul_i32 s17, s9, s7
	s_add_i32 s24, s16, s17
	s_sub_i32 s18, s15, s24
	s_mul_i32 s16, s8, s7
	s_sub_u32 s14, s14, s16
	s_cselect_b64 s[16:17], -1, 0
	s_cmp_lg_u64 s[16:17], 0
	s_subb_u32 s25, s18, s9
	s_sub_u32 s26, s14, s8
	s_cselect_b64 s[18:19], -1, 0
	s_cmp_lg_u64 s[18:19], 0
	s_subb_u32 s18, s25, 0
	s_cmp_ge_u32 s18, s9
	s_cselect_b32 s19, -1, 0
	s_cmp_ge_u32 s26, s8
	s_cselect_b32 s25, -1, 0
	s_cmp_eq_u32 s18, s9
	s_cselect_b32 s18, s25, s19
	s_add_u32 s19, s7, 1
	s_addc_u32 s25, s22, 0
	s_add_u32 s26, s7, 2
	s_addc_u32 s27, s22, 0
	s_cmp_lg_u32 s18, 0
	s_cselect_b32 s18, s26, s19
	s_cselect_b32 s19, s27, s25
	s_cmp_lg_u64 s[16:17], 0
	s_subb_u32 s15, s15, s24
	s_cmp_ge_u32 s15, s9
	s_cselect_b32 s16, -1, 0
	s_cmp_ge_u32 s14, s8
	s_cselect_b32 s8, -1, 0
	s_cmp_eq_u32 s15, s9
	s_cselect_b32 s8, s8, s16
	s_cmp_lg_u32 s8, 0
	s_cselect_b32 s9, s19, s22
	s_cselect_b32 s8, s18, s7
	s_xor_b64 s[12:13], s[12:13], 0
	s_xor_b64 s[8:9], s[8:9], s[12:13]
	s_sub_u32 s58, s8, s12
	s_load_dwordx2 s[56:57], s[0:1], 0x74
	v_cvt_f32_u32_e32 v1, s55
	s_cbranch_execnz .LBB19_3
.LBB19_2:
	v_rcp_iflag_f32_e32 v2, v1
	s_sub_i32 s4, 0, s55
	v_mul_f32_e32 v2, 0x4f7ffffe, v2
	v_cvt_u32_f32_e32 v2, v2
	s_nop 0
	v_readfirstlane_b32 s5, v2
	s_mul_i32 s4, s4, s5
	s_mul_hi_u32 s4, s5, s4
	s_add_i32 s5, s5, s4
	s_mul_hi_u32 s4, s6, s5
	s_mul_i32 s7, s4, s55
	s_sub_i32 s6, s6, s7
	s_add_i32 s5, s4, 1
	s_sub_i32 s7, s6, s55
	s_cmp_ge_u32 s6, s55
	s_cselect_b32 s4, s5, s4
	s_cselect_b32 s6, s7, s6
	s_add_i32 s5, s4, 1
	s_cmp_ge_u32 s6, s55
	s_cselect_b32 s58, s5, s4
.LBB19_3:
	s_add_i32 s4, s33, 1
	s_mul_i32 s5, s11, s4
	s_mul_hi_u32 s6, s10, s4
	s_add_i32 s9, s6, s5
	s_mov_b32 s8, 0
	s_cmp_lg_u64 s[8:9], 0
	s_mul_i32 s8, s10, s4
	s_cbranch_scc0 .LBB19_255
; %bb.4:
	s_add_u32 s4, s55, 0
	s_addc_u32 s5, 0, 0
	s_xor_b64 s[6:7], s[4:5], 0
	v_cvt_f32_u32_e32 v2, s6
	v_cvt_f32_u32_e32 v3, s7
	s_sub_u32 s12, 0, s6
	s_subb_u32 s13, 0, s7
	v_fmamk_f32 v2, v3, 0x4f800000, v2
	v_rcp_f32_e32 v2, v2
	s_nop 0
	v_mul_f32_e32 v2, 0x5f7ffffc, v2
	v_mul_f32_e32 v3, 0x2f800000, v2
	v_trunc_f32_e32 v3, v3
	v_fmamk_f32 v2, v3, 0xcf800000, v2
	v_cvt_u32_f32_e32 v3, v3
	v_cvt_u32_f32_e32 v2, v2
	v_readfirstlane_b32 s14, v3
	v_readfirstlane_b32 s10, v2
	s_mul_i32 s11, s12, s14
	s_mul_hi_u32 s16, s12, s10
	s_mul_i32 s15, s13, s10
	s_add_i32 s11, s16, s11
	s_add_i32 s11, s11, s15
	s_mul_i32 s17, s12, s10
	s_mul_i32 s16, s10, s11
	s_mul_hi_u32 s18, s10, s17
	s_mul_hi_u32 s15, s10, s11
	s_add_u32 s16, s18, s16
	s_addc_u32 s15, 0, s15
	s_mul_hi_u32 s19, s14, s17
	s_mul_i32 s17, s14, s17
	s_add_u32 s16, s16, s17
	s_mul_hi_u32 s18, s14, s11
	s_addc_u32 s15, s15, s19
	s_addc_u32 s16, s18, 0
	s_mul_i32 s11, s14, s11
	s_add_u32 s11, s15, s11
	s_addc_u32 s15, 0, s16
	s_add_u32 s16, s10, s11
	s_cselect_b64 s[10:11], -1, 0
	s_cmp_lg_u64 s[10:11], 0
	s_addc_u32 s14, s14, s15
	s_mul_i32 s10, s12, s14
	s_mul_hi_u32 s11, s12, s16
	s_add_i32 s10, s11, s10
	s_mul_i32 s13, s13, s16
	s_add_i32 s10, s10, s13
	s_mul_i32 s12, s12, s16
	s_mul_hi_u32 s13, s14, s12
	s_mul_i32 s15, s14, s12
	s_mul_i32 s18, s16, s10
	s_mul_hi_u32 s12, s16, s12
	s_mul_hi_u32 s17, s16, s10
	s_add_u32 s12, s12, s18
	s_addc_u32 s17, 0, s17
	s_add_u32 s12, s12, s15
	s_mul_hi_u32 s11, s14, s10
	s_addc_u32 s12, s17, s13
	s_addc_u32 s11, s11, 0
	s_mul_i32 s10, s14, s10
	s_add_u32 s10, s12, s10
	s_addc_u32 s12, 0, s11
	s_add_u32 s15, s16, s10
	s_cselect_b64 s[10:11], -1, 0
	s_cmp_lg_u64 s[10:11], 0
	s_addc_u32 s14, s14, s12
	s_ashr_i32 s10, s9, 31
	s_add_u32 s12, s8, s10
	s_mov_b32 s11, s10
	s_addc_u32 s13, s9, s10
	s_xor_b64 s[12:13], s[12:13], s[10:11]
	s_mul_i32 s16, s12, s14
	s_mul_hi_u32 s17, s12, s15
	s_mul_hi_u32 s9, s12, s14
	s_add_u32 s16, s17, s16
	s_addc_u32 s9, 0, s9
	s_mul_hi_u32 s18, s13, s15
	s_mul_i32 s15, s13, s15
	s_add_u32 s15, s16, s15
	s_mul_hi_u32 s17, s13, s14
	s_addc_u32 s9, s9, s18
	s_addc_u32 s15, s17, 0
	s_mul_i32 s14, s13, s14
	s_add_u32 s9, s9, s14
	s_addc_u32 s18, 0, s15
	s_mul_i32 s14, s6, s18
	s_mul_hi_u32 s15, s6, s9
	s_add_i32 s14, s15, s14
	s_mul_i32 s15, s7, s9
	s_add_i32 s19, s14, s15
	s_sub_i32 s16, s13, s19
	s_mul_i32 s14, s6, s9
	s_sub_u32 s12, s12, s14
	s_cselect_b64 s[14:15], -1, 0
	s_cmp_lg_u64 s[14:15], 0
	s_subb_u32 s22, s16, s7
	s_sub_u32 s24, s12, s6
	s_cselect_b64 s[16:17], -1, 0
	s_cmp_lg_u64 s[16:17], 0
	s_subb_u32 s16, s22, 0
	s_cmp_ge_u32 s16, s7
	s_cselect_b32 s17, -1, 0
	s_cmp_ge_u32 s24, s6
	s_cselect_b32 s22, -1, 0
	s_cmp_eq_u32 s16, s7
	s_cselect_b32 s16, s22, s17
	s_add_u32 s17, s9, 1
	s_addc_u32 s22, s18, 0
	s_add_u32 s24, s9, 2
	s_addc_u32 s25, s18, 0
	s_cmp_lg_u32 s16, 0
	s_cselect_b32 s16, s24, s17
	s_cselect_b32 s17, s25, s22
	s_cmp_lg_u64 s[14:15], 0
	s_subb_u32 s13, s13, s19
	s_cmp_ge_u32 s13, s7
	s_cselect_b32 s14, -1, 0
	s_cmp_ge_u32 s12, s6
	s_cselect_b32 s6, -1, 0
	s_cmp_eq_u32 s13, s7
	s_cselect_b32 s6, s6, s14
	s_cmp_lg_u32 s6, 0
	s_cselect_b32 s7, s17, s18
	s_cselect_b32 s6, s16, s9
	s_xor_b64 s[10:11], s[10:11], 0
	s_xor_b64 s[6:7], s[6:7], s[10:11]
	s_sub_u32 s62, s6, s10
	s_load_dwordx2 s[28:29], s[0:1], 0x5c
	s_cbranch_execnz .LBB19_6
.LBB19_5:
	v_rcp_iflag_f32_e32 v1, v1
	s_sub_i32 s4, 0, s55
	v_mul_f32_e32 v1, 0x4f7ffffe, v1
	v_cvt_u32_f32_e32 v1, v1
	s_nop 0
	v_readfirstlane_b32 s5, v1
	s_mul_i32 s4, s4, s5
	s_mul_hi_u32 s4, s5, s4
	s_add_i32 s5, s5, s4
	s_mul_hi_u32 s4, s8, s5
	s_mul_i32 s6, s4, s55
	s_sub_i32 s6, s8, s6
	s_add_i32 s5, s4, 1
	s_sub_i32 s7, s6, s55
	s_cmp_ge_u32 s6, s55
	s_cselect_b32 s4, s5, s4
	s_cselect_b32 s6, s7, s6
	s_add_i32 s5, s4, 1
	s_cmp_ge_u32 s6, s55
	s_cselect_b32 s62, s5, s4
.LBB19_6:
	s_abs_i32 s63, s2
	v_cvt_f32_u32_e32 v1, s63
	s_load_dwordx16 s[36:51], s[0:1], 0x0
	s_load_dword s6, s[0:1], 0x40
	s_load_dwordx2 s[4:5], s[0:1], 0x8c
	s_load_dwordx4 s[24:27], s[0:1], 0x98
	s_load_dwordx2 s[34:35], s[0:1], 0xa8
	s_load_dwordx2 s[70:71], s[0:1], 0xb8
	;; [unrolled: 1-line block ×3, first 2 shown]
	s_waitcnt lgkmcnt(0)
	s_mov_b32 s1, s5
	s_ashr_i32 s22, s4, 2
	v_rcp_iflag_f32_e32 v1, v1
	s_sub_i32 s4, 0, s63
	v_writelane_b32 v194, s0, 4
	s_ashr_i32 s59, s23, 3
	v_mul_f32_e32 v1, 0x4f7ffffe, v1
	v_cvt_u32_f32_e32 v1, v1
	v_writelane_b32 v194, s1, 5
	s_ashr_i32 s1, s2, 31
	v_writelane_b32 v194, s1, 6
	v_readfirstlane_b32 s54, v1
	s_mul_i32 s4, s4, s54
	s_mul_hi_u32 s4, s54, s4
	s_abs_i32 s1, s58
	s_add_i32 s54, s54, s4
	s_mul_hi_u32 s4, s1, s54
	s_mul_i32 s4, s4, s63
	s_sub_i32 s1, s1, s4
	s_ashr_i32 s19, s56, 3
	s_ashr_i32 s68, s71, 1
	;; [unrolled: 1-line block ×4, first 2 shown]
	s_sub_i32 s4, s1, s63
	s_cmp_ge_u32 s1, s63
	s_cselect_b32 s1, s4, s1
	s_sub_i32 s4, s1, s63
	s_cmp_ge_u32 s1, s63
	s_cselect_b32 s1, s4, s1
	s_xor_b32 s1, s1, s0
	s_sub_i32 s60, s1, s0
	s_sub_i32 s0, s62, s58
	s_add_i32 s4, s0, s60
	s_min_i32 s15, s2, s4
	s_cmp_gt_i32 s62, s58
	s_cselect_b64 s[12:13], -1, 0
	s_cmp_le_i32 s62, s58
	s_cselect_b64 s[0:1], -1, 0
	s_cmp_gt_i32 s2, s4
	v_cvt_f16_f32_e32 v1, s6
	s_cselect_b64 s[4:5], -1, 0
	s_or_b64 s[0:1], s[4:5], s[0:1]
	v_bfe_u32 v43, v0, 10, 10
	s_mov_b32 s65, 0
	s_and_b64 vcc, exec, s[0:1]
	v_bfe_u32 v45, v0, 5, 5
	v_lshlrev_b32_e32 v39, 1, v43
	v_and_b32_e32 v38, 31, v0
	v_lshlrev_b32_e32 v55, 2, v43
	v_lshlrev_b32_e32 v47, 4, v43
	s_cbranch_vccz .LBB19_9
; %bb.7:
	s_andn2_b64 vcc, exec, s[12:13]
	s_cbranch_vccz .LBB19_226
.LBB19_8:
	s_endpgm
.LBB19_9:
	v_and_b32_e32 v8, 0x3ff, v0
	v_and_b32_e32 v40, 15, v0
	s_movk_i32 s4, 0xf0
	v_and_b32_e32 v4, 0x3f0, v55
	v_bfe_u32 v7, v0, 1, 9
	v_lshlrev_b32_e32 v10, 1, v8
	v_add_u32_e32 v57, v39, v45
	v_mad_u32_u24 v5, v4, s4, 0
	v_mul_u32_u24_e32 v6, 0xf0, v40
	v_and_b32_e32 v9, 0x78, v7
	v_and_b32_e32 v42, 62, v10
	v_add3_u32 v77, v5, v6, v9
	v_mul_u32_u24_e32 v5, 0x90, v57
	v_lshlrev_b32_e32 v10, 1, v42
	v_add3_u32 v93, 0, v5, v10
	v_lshl_add_u32 v5, v43, 5, v7
	v_bfe_u32 v7, v0, 2, 8
	v_lshlrev_b32_e32 v12, 2, v8
	v_add_u32_e32 v10, v47, v7
	v_and_b32_e32 v44, 12, v12
	v_mad_u32_u24 v11, v10, s4, 0
	v_lshlrev_b32_e32 v13, 2, v44
	s_movk_i32 s0, 0x80
	v_add3_u32 v95, v11, v13, s0
	v_and_b32_e32 v11, 48, v47
	v_mad_u32_u24 v13, v11, s4, 0
	v_and_b32_e32 v46, 4, v12
	v_add3_u32 v97, v13, v6, v9
	v_mad_u32_u24 v6, v5, s4, 0
	v_lshlrev_b32_e32 v14, 2, v46
	s_movk_i32 s0, 0xc0
	v_add3_u32 v99, v6, v14, s0
	v_and_b32_e32 v6, 60, v7
	v_and_or_b32 v4, v0, 12, v4
	v_add_u16_e32 v6, v11, v6
	v_lshrrev_b32_e32 v4, 2, v4
	v_lshrrev_b16_e32 v6, 1, v6
	v_bfe_u32 v3, v0, 3, 7
	v_mul_u32_u24_e32 v4, 0x90, v4
	v_lshlrev_b32_e32 v6, 2, v6
	v_add3_u32 v101, 0, v4, v6
	v_lshlrev_b32_e32 v4, 1, v3
	v_or_b32_e32 v6, 3, v4
	v_or_b32_e32 v7, 2, v4
	v_and_b32_e32 v4, 60, v4
	v_mul_u32_u24_e32 v4, 0xf0, v4
	v_lshlrev_b32_e32 v11, 1, v40
	v_add3_u32 v103, v13, v4, v11
	v_bfe_u32 v4, v0, 10, 2
	v_cmp_eq_u32_e64 s[0:1], 0, v4
	v_cmp_ne_u32_e64 s[6:7], 0, v4
	v_or_b32_e32 v4, v47, v40
	v_mul_u32_u24_e32 v4, 0xf0, v4
	v_add3_u32 v109, 0, v4, v9
	v_lshrrev_b32_e32 v4, 10, v0
	v_bfe_u32 v4, v4, 1, 9
	v_mul_u32_u24_e32 v6, 0xf0, v6
	v_mul_u32_u24_e32 v7, 0xf0, v7
	v_add_u32_e32 v9, v4, v45
	v_add3_u32 v105, v13, v7, v11
	v_add3_u32 v107, v13, v6, v11
	v_lshlrev_b32_e32 v6, 2, v9
	v_and_b32_e32 v7, 15, v9
	s_movk_i32 s5, 0x3c0
	v_add_u32_e32 v13, 2, v9
	v_and_or_b32 v6, v6, s5, v7
	v_lshlrev_b32_e32 v7, 2, v13
	v_and_b32_e32 v14, 15, v13
	s_movk_i32 s5, 0x7c0
	v_and_or_b32 v7, v7, s5, v14
	v_add_u32_e32 v14, 4, v9
	v_lshlrev_b32_e32 v15, 2, v14
	v_and_b32_e32 v16, 15, v14
	v_and_or_b32 v15, v15, s5, v16
	v_add_u32_e32 v16, 6, v9
	v_lshlrev_b32_e32 v17, 2, v16
	v_and_b32_e32 v18, 15, v16
	;; [unrolled: 4-line block ×5, first 2 shown]
	v_writelane_b32 v194, s55, 7
	v_bfe_u32 v2, v0, 4, 6
	v_and_or_b32 v23, v23, s5, v24
	v_add_u32_e32 v24, 14, v9
	v_writelane_b32 v194, s6, 8
	v_add_u32_e32 v11, v2, v43
	v_lshlrev_b32_e32 v25, 2, v24
	v_and_b32_e32 v26, 15, v24
	s_cmp_eq_u64 s[44:45], 0
	v_writelane_b32 v194, s7, 9
	v_and_or_b32 v25, v25, s5, v26
	v_lshlrev_b32_e32 v26, 2, v11
	v_and_b32_e32 v27, 15, v11
	s_cselect_b64 s[6:7], -1, 0
	v_and_or_b32 v26, v26, s5, v27
	v_add_u32_e32 v27, 4, v11
	v_writelane_b32 v194, s6, 10
	s_cmp_lg_u64 s[46:47], 0
	v_lshlrev_b32_e32 v28, 2, v27
	v_and_b32_e32 v29, 15, v27
	s_movk_i32 s5, 0xfc0
	v_writelane_b32 v194, s7, 11
	s_cselect_b64 s[6:7], -1, 0
	v_and_or_b32 v28, v28, s5, v29
	v_add_u32_e32 v29, 8, v11
	v_writelane_b32 v194, s6, 12
	v_lshlrev_b32_e32 v30, 2, v29
	v_and_b32_e32 v31, 15, v29
	v_writelane_b32 v194, s7, 13
	s_lshl_b32 s64, s33, 4
	v_and_or_b32 v30, v30, s5, v31
	v_add_u32_e32 v31, 12, v11
	s_ashr_i32 s69, s68, 31
	s_ashr_i32 s23, s22, 31
	s_mov_b32 s61, s19
	s_ashr_i32 s19, s18, 31
	v_writelane_b32 v194, s33, 14
	s_lshl_b64 s[6:7], s[64:65], 3
	v_add_u32_e32 v4, v39, v3
	v_lshlrev_b32_e32 v32, 2, v31
	v_and_b32_e32 v33, 15, v31
	s_add_u32 s6, s50, s6
	v_readlane_b32 s17, v194, 3
	v_and_or_b32 v32, v32, s5, v33
	v_lshlrev_b32_e32 v33, 2, v4
	v_and_b32_e32 v34, 15, v4
	s_addc_u32 s7, s51, s7
	s_abs_i32 s30, s17
	v_and_or_b32 v33, v33, s5, v34
	v_cvt_f32_u32_e32 v34, s30
	s_abs_i32 s67, s70
	v_cvt_f32_u32_e32 v48, s67
	v_readlane_b32 s16, v194, 2
	v_rcp_iflag_f32_e32 v34, v34
	v_add_u32_e32 v35, 8, v4
	v_rcp_iflag_f32_e32 v48, v48
	s_abs_i32 s31, s16
	v_mul_f32_e32 v34, 0x4f7ffffe, v34
	v_cvt_u32_f32_e32 v34, v34
	v_mul_f32_e32 v48, 0x4f7ffffe, v48
	v_cvt_u32_f32_e32 v48, v48
	s_movk_i32 s5, 0x1fc0
	v_lshlrev_b32_e32 v36, 2, v35
	v_cvt_f32_u32_e32 v37, s31
	v_and_b32_e32 v41, 15, v35
	v_and_or_b32 v36, v36, s5, v41
	s_mov_b32 s8, s70
	v_readfirstlane_b32 s5, v34
	v_or_b32_e32 v34, v55, v8
	v_add_u32_e32 v2, v55, v2
	v_lshl_add_u32 v135, v40, 2, 0
	v_readlane_b32 s14, v194, 1
	v_writelane_b32 v194, s8, 15
	v_readfirstlane_b32 s12, v48
	v_lshlrev_b32_e32 v48, 3, v34
	v_mov_b32_e32 v49, 0
	v_lshrrev_b32_e32 v134, 2, v2
	v_mad_u32_u24 v136, v2, s4, v135
	v_lshl_add_u32 v2, v43, 3, v3
	v_writelane_b32 v194, s9, 16
	v_lshl_add_u64 v[50:51], s[6:7], 0, v[48:49]
	v_cmp_gt_u32_e64 s[6:7], 16, v2
	v_rcp_iflag_f32_e32 v37, v37
	s_abs_i32 s66, s14
	v_writelane_b32 v194, s6, 17
	v_cvt_f32_u32_e32 v41, s66
	v_cmp_gt_u32_e64 s[70:71], 16, v8
	v_writelane_b32 v194, s7, 18
	v_mad_u32_u24 v3, v2, s4, 0
	v_writelane_b32 v194, s70, 19
	s_ashr_i32 s4, s17, 31
	v_mul_f32_e32 v37, 0x4f7ffffe, v37
	v_writelane_b32 v194, s71, 20
	v_writelane_b32 v194, s4, 21
	s_sub_i32 s4, 0, s30
	v_rcp_iflag_f32_e32 v41, v41
	v_cvt_u32_f32_e32 v37, v37
	s_mul_i32 s4, s4, s5
	s_mul_hi_u32 s4, s5, s4
	s_add_i32 s4, s5, s4
	v_writelane_b32 v194, s4, 22
	s_ashr_i32 s4, s16, 31
	v_mul_f32_e32 v41, 0x4f7ffffe, v41
	v_readfirstlane_b32 s10, v37
	v_writelane_b32 v194, s4, 23
	s_sub_i32 s4, 0, s31
	v_cvt_u32_f32_e32 v41, v41
	s_mul_i32 s4, s4, s10
	s_mul_hi_u32 s4, s10, s4
	s_add_i32 s4, s10, s4
	v_writelane_b32 v194, s4, 24
	s_ashr_i32 s4, s14, 31
	v_readfirstlane_b32 s11, v41
	v_writelane_b32 v194, s4, 25
	s_sub_i32 s4, 0, s66
	s_mul_i32 s4, s4, s11
	s_mul_hi_u32 s4, s11, s4
	s_add_i32 s4, s11, s4
	v_writelane_b32 v194, s4, 26
	s_sub_i32 s4, 0, s67
	s_mul_i32 s4, s4, s12
	v_and_b32_e32 v34, 1, v0
	v_and_b32_e32 v54, 7, v0
	s_mul_hi_u32 s4, s12, s4
	v_lshlrev_b32_e32 v48, 4, v34
	v_lshlrev_b32_e32 v34, 2, v54
	v_and_b32_e32 v56, 28, v12
	s_add_i32 s4, s12, s4
	v_add_u32_e32 v137, v3, v34
	v_lshl_add_u32 v138, v56, 2, v3
	v_mul_lo_u32 v58, s22, v2
	v_add_u32_e32 v3, 32, v2
	v_lshrrev_b32_e32 v139, 2, v2
	v_mul_lo_u32 v68, s18, v2
	v_add_u32_e32 v2, v47, v8
	v_writelane_b32 v194, s4, 27
	s_mov_b32 s4, s68
	v_mul_lo_u32 v64, s18, v5
	v_mul_u32_u24_e32 v140, 0xf0, v2
	v_add_u32_e32 v2, 8, v57
	v_writelane_b32 v194, s4, 28
	v_ashrrev_i32_e32 v65, 31, v64
	v_mul_lo_u32 v66, s18, v3
	v_lshrrev_b32_e32 v142, 2, v2
	v_lshlrev_b32_e32 v2, 2, v38
	v_mov_b32_e32 v3, v49
	v_writelane_b32 v194, s5, 29
	s_lshl_b64 s[4:5], s[68:69], 1
	v_add_u32_e32 v165, 0, v2
	v_lshl_add_u64 v[72:73], s[42:43], 0, v[2:3]
	v_writelane_b32 v194, s4, 30
	v_lshl_add_u64 v[2:3], v[64:65], 2, v[48:49]
	v_mul_lo_u32 v70, s18, v10
	v_writelane_b32 v194, s5, 31
	v_lshl_add_u64 v[2:3], s[40:41], 0, v[2:3]
	s_mov_b64 s[4:5], 0xc0
	v_and_b32_e32 v76, 3, v0
	v_mul_lo_u32 v52, s22, v10
	v_ashrrev_i32_e32 v71, 31, v70
	v_lshl_add_u64 v[74:75], v[2:3], 0, s[4:5]
	v_lshlrev_b32_e32 v2, 4, v76
	v_mov_b32_e32 v3, v49
	v_cmp_gt_u32_e64 s[8:9], 64, v5
	v_ashrrev_i32_e32 v53, 31, v52
	v_mul_lo_u32 v62, s22, v5
	v_lshrrev_b32_e32 v161, 2, v4
	v_lshl_add_u64 v[4:5], v[70:71], 2, v[2:3]
	v_lshl_add_u64 v[4:5], s[40:41], 0, v[4:5]
	s_mov_b64 s[74:75], 0x80
	v_lshl_add_u64 v[2:3], v[52:53], 2, v[2:3]
	v_ashrrev_i32_e32 v59, 31, v58
	v_lshl_add_u32 v60, s22, 5, v58
	v_lshl_add_u64 v[78:79], v[4:5], 0, s[74:75]
	v_lshlrev_b32_e32 v4, 4, v54
	v_mov_b32_e32 v5, v49
	v_lshl_add_u64 v[2:3], s[38:39], 0, v[2:3]
	v_ashrrev_i32_e32 v61, 31, v60
	v_lshl_add_u64 v[84:85], v[2:3], 0, s[74:75]
	v_lshl_add_u64 v[2:3], v[58:59], 2, v[4:5]
	v_ashrrev_i32_e32 v63, 31, v62
	v_lshl_add_u64 v[86:87], s[38:39], 0, v[2:3]
	v_lshl_add_u64 v[2:3], v[60:61], 2, v[4:5]
	;; [unrolled: 1-line block ×5, first 2 shown]
	v_ashrrev_i32_e32 v69, 31, v68
	v_lshl_add_u64 v[90:91], v[2:3], 0, s[4:5]
	v_mbcnt_lo_u32_b32 v2, -1, 0
	v_bfe_u32 v169, v8, 4, 2
	v_ashrrev_i32_e32 v67, 31, v66
	v_mul_u32_u24_e32 v143, 0xf0, v6
	v_mul_u32_u24_e32 v144, 0xf0, v7
	v_lshl_add_u64 v[6:7], v[68:69], 2, v[4:5]
	v_mbcnt_hi_u32_b32 v166, -1, v2
	v_mul_lo_u32 v2, s61, v169
	v_bfe_u32 v94, v8, 3, 2
	s_mov_b32 s13, 0x10001
	v_lshl_add_u64 v[80:81], s[40:41], 0, v[6:7]
	v_lshl_add_u64 v[6:7], v[66:67], 2, v[4:5]
	v_and_b32_e32 v168, 3, v57
	v_add3_u32 v92, v2, v40, 32
	v_mul_lo_u32 v2, s61, v94
	v_cmp_gt_u32_e64 s[6:7], 4, v57
	v_add_u32_e32 v141, 0, v34
	v_lshrrev_b32_e32 v145, 2, v14
	v_mul_u32_u24_e32 v146, 0xf0, v15
	v_mul_u32_u24_e32 v147, 0xf0, v17
	v_lshrrev_b32_e32 v148, 2, v18
	v_mul_u32_u24_e32 v149, 0xf0, v19
	v_mul_u32_u24_e32 v150, 0xf0, v21
	;; [unrolled: 3-line block ×3, first 2 shown]
	v_mul_u32_u24_e32 v154, 0xf0, v26
	v_lshrrev_b32_e32 v155, 2, v27
	v_mul_u32_u24_e32 v156, 0xf0, v28
	v_lshrrev_b32_e32 v157, 2, v29
	;; [unrolled: 2-line block ×3, first 2 shown]
	v_mul_u32_u24_e32 v160, 0xf0, v32
	v_mul_u32_u24_e32 v162, 0xf0, v33
	v_lshrrev_b32_e32 v163, 2, v35
	v_mul_u32_u24_e32 v164, 0xf0, v36
	v_mov_b32_e32 v41, v49
	s_lshl_b64 s[72:73], s[18:19], 8
	v_lshl_add_u64 v[82:83], s[40:41], 0, v[6:7]
	s_lshl_b64 s[76:77], s[22:23], 8
	s_mov_b32 s69, 0x3fb8aa3b
	s_mov_b32 s68, 0xc2ce8ed0
	;; [unrolled: 1-line block ×5, first 2 shown]
	v_mul_lo_u32 v167, v1, s13
	v_add3_u32 v96, v2, v54, 48
	v_add_u32_e32 v170, 0x1e00, v138
	v_lshrrev_b32_e32 v171, 2, v11
	v_and_b32_e32 v98, 3, v11
	v_lshrrev_b32_e32 v172, 2, v57
	v_mul_u32_u24_e32 v173, 0xf0, v57
	v_lshrrev_b32_e32 v174, 2, v9
	v_and_b32_e32 v100, 3, v9
	v_lshrrev_b32_e32 v175, 2, v13
	v_and_b32_e32 v102, 3, v13
	;; [unrolled: 2-line block ×5, first 2 shown]
	v_mov_b32_e32 v179, 0x7f800000
	v_mad_u64_u32 v[110:111], s[4:5], s61, v168, v[38:39]
	v_writelane_b32 v194, s61, 32
	s_branch .LBB19_12
.LBB19_10:                              ;   in Loop: Header=BB19_12 Depth=1
	s_or_b64 exec, exec, s[80:81]
	s_barrier
.LBB19_11:                              ;   in Loop: Header=BB19_12 Depth=1
	s_add_i32 s4, s58, s2
	s_abs_i32 s10, s4
	s_mul_hi_u32 s11, s10, s54
	s_mul_i32 s11, s11, s63
	s_sub_i32 s10, s10, s11
	s_ashr_i32 s5, s4, 31
	s_sub_i32 s11, s10, s63
	s_cmp_ge_u32 s10, s63
	s_cselect_b32 s10, s11, s10
	s_sub_i32 s11, s10, s63
	s_cmp_ge_u32 s10, s63
	s_cselect_b32 s10, s11, s10
	s_xor_b32 s10, s10, s5
	s_sub_i32 s5, s5, s10
	s_add_i32 s58, s4, s5
	s_sub_i32 s4, s62, s58
	s_min_i32 s15, s2, s4
	s_cmp_gt_i32 s62, s58
	s_cselect_b64 s[12:13], -1, 0
	s_cmp_le_i32 s2, s4
	s_cselect_b64 s[4:5], -1, 0
	s_and_b64 s[4:5], s[4:5], s[12:13]
	s_mov_b32 s60, 0
	s_and_b64 vcc, exec, s[4:5]
	s_cbranch_vccz .LBB19_225
.LBB19_12:                              ; =>This Loop Header: Depth=1
                                        ;     Child Loop BB19_142 Depth 2
                                        ;     Child Loop BB19_35 Depth 2
	s_ashr_i32 s4, s58, 31
	v_readlane_b32 s5, v194, 21
	s_xor_b32 s4, s4, s5
	s_abs_i32 s5, s58
	v_readlane_b32 s10, v194, 22
	s_mul_hi_u32 s10, s5, s10
	s_mul_i32 s11, s10, s30
	s_sub_i32 s5, s5, s11
	s_add_i32 s11, s10, 1
	s_sub_i32 s12, s5, s30
	s_cmp_ge_u32 s5, s30
	s_cselect_b32 s10, s11, s10
	s_cselect_b32 s5, s12, s5
	s_add_i32 s11, s10, 1
	s_cmp_ge_u32 s5, s30
	s_cselect_b32 s5, s11, s10
	s_xor_b32 s5, s5, s4
	s_sub_i32 s5, s5, s4
	v_readlane_b32 s4, v194, 3
	s_mul_i32 s4, s5, s4
	s_sub_i32 s4, s58, s4
	s_ashr_i32 s10, s4, 31
	v_readlane_b32 s11, v194, 23
	s_xor_b32 s10, s10, s11
	s_abs_i32 s11, s4
	v_readlane_b32 s12, v194, 24
	s_mul_hi_u32 s12, s11, s12
	s_mul_i32 s13, s12, s31
	s_sub_i32 s11, s11, s13
	s_add_i32 s13, s12, 1
	s_sub_i32 s16, s11, s31
	s_cmp_ge_u32 s11, s31
	s_cselect_b32 s12, s13, s12
	s_cselect_b32 s11, s16, s11
	s_add_i32 s13, s12, 1
	s_cmp_ge_u32 s11, s31
	s_cselect_b32 s11, s13, s12
	s_xor_b32 s11, s11, s10
	s_sub_i32 s11, s11, s10
	v_readlane_b32 s10, v194, 2
	s_mul_i32 s10, s11, s10
	s_sub_i32 s10, s4, s10
	;; [unrolled: 21-line block ×3, first 2 shown]
	s_ashr_i32 s12, s10, 31
	v_readlane_b32 s13, v194, 6
	s_abs_i32 s10, s10
	s_xor_b32 s12, s12, s13
	s_mul_hi_u32 s13, s10, s54
	s_mul_i32 s16, s13, s63
	s_sub_i32 s10, s10, s16
	s_add_i32 s16, s13, 1
	s_sub_i32 s17, s10, s63
	s_cmp_ge_u32 s10, s63
	s_cselect_b32 s13, s16, s13
	s_cselect_b32 s10, s17, s10
	s_add_i32 s16, s13, 1
	s_cmp_ge_u32 s10, s63
	s_cselect_b32 s10, s16, s13
	v_readlane_b32 s16, v194, 12
	s_xor_b32 s10, s10, s12
	v_readlane_b32 s17, v194, 13
	s_andn2_b64 vcc, exec, s[16:17]
	s_sub_i32 s10, s10, s12
	s_cbranch_vccnz .LBB19_14
; %bb.13:                               ;   in Loop: Header=BB19_12 Depth=1
	v_readlane_b32 s12, v194, 0
	s_mul_i32 s12, s5, s12
	s_add_i32 s12, s10, s12
	s_ashr_i32 s13, s12, 31
	s_lshl_b64 s[12:13], s[12:13], 2
	s_add_u32 s12, s46, s12
	s_addc_u32 s13, s47, s13
	global_load_dword v2, v49, s[12:13]
	s_waitcnt vmcnt(0)
	v_readfirstlane_b32 s12, v2
	s_ashr_i32 s13, s12, 31
	s_lshr_b32 s13, s13, 26
	s_add_i32 s12, s12, s13
	s_ashr_i32 s12, s12, 6
	s_min_i32 s15, s15, s12
.LBB19_14:                              ;   in Loop: Header=BB19_12 Depth=1
	s_mul_i32 s12, s11, s3
	s_lshl_b32 s4, s4, 2
	s_mul_i32 s13, s5, s57
	s_add_i32 s12, s4, s12
	s_ashr_i32 s16, s13, 31
	s_add_u32 s13, s36, s13
	s_mul_i32 s17, s12, s56
	s_addc_u32 s16, s37, s16
	s_ashr_i32 s33, s17, 31
	s_add_u32 s90, s13, s17
	s_addc_u32 s91, s16, s33
	s_ashr_i32 s13, s5, 31
	s_mul_hi_u32 s16, s24, s5
	s_mul_i32 s17, s24, s13
	s_add_i32 s16, s16, s17
	s_mul_i32 s17, s25, s5
	v_readlane_b32 s70, v194, 4
	s_add_i32 s89, s16, s17
	s_mul_i32 s88, s24, s5
	v_readlane_b32 s71, v194, 5
	s_add_u32 s16, s38, s88
	s_mul_i32 s84, s11, s71
	s_addc_u32 s17, s39, s89
	s_ashr_i32 s85, s84, 31
	s_add_u32 s33, s16, s84
	s_addc_u32 s70, s17, s85
	s_abs_i32 s16, s5
	v_readlane_b32 s17, v194, 27
	s_mul_hi_u32 s17, s16, s17
	s_mul_i32 s17, s17, s67
	s_sub_i32 s16, s16, s17
	s_sub_i32 s17, s16, s67
	s_cmp_ge_u32 s16, s67
	s_cselect_b32 s16, s17, s16
	s_sub_i32 s17, s16, s67
	s_cmp_ge_u32 s16, s67
	s_cselect_b32 s16, s17, s16
	s_xor_b32 s16, s16, s13
	s_sub_i32 s16, s16, s13
	s_ashr_i32 s17, s16, 31
	s_mul_i32 s17, s52, s17
	s_mul_hi_u32 s61, s52, s16
	s_add_i32 s17, s61, s17
	s_mul_i32 s61, s53, s16
	s_add_i32 s93, s17, s61
	s_mul_i32 s92, s52, s16
	s_mul_i32 s16, s20, s21
	s_add_u32 s82, s42, s92
	s_mul_i32 s16, s16, s5
	s_addc_u32 s83, s43, s93
	s_add_i32 s16, s12, s16
	s_mul_i32 s64, s16, 56
	s_lshl_b64 s[16:17], s[64:65], 3
	s_add_u32 s78, s48, s16
	s_mul_hi_u32 s16, s34, s5
	s_mul_i32 s13, s34, s13
	s_addc_u32 s79, s49, s17
	s_add_i32 s13, s16, s13
	s_mul_i32 s16, s35, s5
	s_add_i32 s95, s13, s16
	s_mul_i32 s94, s34, s5
	s_add_u32 s5, s40, s94
	s_mul_i32 s86, s11, s27
	s_addc_u32 s13, s41, s95
	s_ashr_i32 s87, s86, 31
	s_add_u32 s5, s5, s86
	s_addc_u32 s71, s13, s87
	s_ashr_i32 s13, s12, 31
	s_lshl_b64 s[12:13], s[12:13], 2
	s_add_u32 s11, s44, s12
	s_addc_u32 s16, s45, s13
	v_readlane_b32 s12, v194, 10
	v_readlane_b32 s13, v194, 11
	s_and_b64 s[12:13], s[12:13], exec
	s_cselect_b32 s81, 0, s16
	s_cselect_b32 s80, 0, s11
	s_cmp_lg_u32 s60, 0
	v_or_b32_e32 v20, s4, v168
	s_cbranch_scc0 .LBB19_41
; %bb.15:                               ;   in Loop: Header=BB19_12 Depth=1
	s_lshl_b32 s11, s10, 2
	v_add_u32_e32 v2, s11, v172
	v_cmp_le_i32_e64 s[12:13], s3, v20
	v_cmp_le_i32_e64 s[16:17], s20, v2
	v_cmp_gt_i32_e32 vcc, s3, v20
	s_or_b64 s[12:13], s[16:17], s[12:13]
	s_and_saveexec_b64 s[16:17], s[12:13]
	s_xor_b64 s[12:13], exec, s[16:17]
; %bb.16:                               ;   in Loop: Header=BB19_12 Depth=1
	v_add_u32_e32 v2, v165, v173
	ds_write_b32 v2, v49
                                        ; implicit-def: $vgpr2
; %bb.17:                               ;   in Loop: Header=BB19_12 Depth=1
	s_or_saveexec_b64 s[12:13], s[12:13]
	s_movk_i32 s64, 0x47
	s_xor_b64 exec, exec, s[12:13]
	s_cbranch_execz .LBB19_19
; %bb.18:                               ;   in Loop: Header=BB19_12 Depth=1
	v_mad_u64_u32 v[2:3], s[16:17], v2, s59, v[110:111]
	v_ashrrev_i32_e32 v3, 31, v2
	v_lshl_add_u64 v[2:3], v[2:3], 3, s[90:91]
	global_load_dwordx2 v[2:3], v[2:3], off
	s_waitcnt vmcnt(0)
	v_cvt_pk_f16_f32 v2, v2, v3
	v_pk_mul_f16 v2, v2, v167
	v_add_u32_e32 v3, v165, v173
	ds_write_b32 v3, v2
.LBB19_19:                              ;   in Loop: Header=BB19_12 Depth=1
	s_or_b64 exec, exec, s[12:13]
	v_add_u32_e32 v2, s11, v142
	v_cmp_le_i32_e64 s[12:13], s20, v2
	s_xor_b64 s[16:17], vcc, -1
	s_or_b64 s[12:13], s[12:13], s[16:17]
	s_and_saveexec_b64 s[16:17], s[12:13]
	s_xor_b64 s[12:13], exec, s[16:17]
; %bb.20:                               ;   in Loop: Header=BB19_12 Depth=1
	v_add_u32_e32 v2, v165, v173
	ds_write_b32 v2, v49 offset:1920
                                        ; implicit-def: $vgpr2
; %bb.21:                               ;   in Loop: Header=BB19_12 Depth=1
	s_andn2_saveexec_b64 s[12:13], s[12:13]
	s_cbranch_execz .LBB19_23
; %bb.22:                               ;   in Loop: Header=BB19_12 Depth=1
	v_mad_u64_u32 v[2:3], s[16:17], v2, s59, v[110:111]
	v_ashrrev_i32_e32 v3, 31, v2
	v_lshl_add_u64 v[2:3], v[2:3], 3, s[90:91]
	global_load_dwordx2 v[2:3], v[2:3], off
	s_waitcnt vmcnt(0)
	v_cvt_pk_f16_f32 v2, v2, v3
	v_pk_mul_f16 v2, v2, v167
	v_add_u32_e32 v3, v165, v173
	ds_write_b32 v3, v2 offset:1920
.LBB19_23:                              ;   in Loop: Header=BB19_12 Depth=1
	s_or_b64 exec, exec, s[12:13]
	v_add_u32_e32 v2, s11, v134
	v_or_b32_e32 v3, s4, v169
	v_cmp_le_i32_e32 vcc, s20, v2
	v_cmp_le_i32_e64 s[12:13], s3, v3
	s_or_b64 s[12:13], vcc, s[12:13]
	s_and_saveexec_b64 s[16:17], s[12:13]
	s_xor_b64 s[12:13], exec, s[16:17]
; %bb.24:                               ;   in Loop: Header=BB19_12 Depth=1
	ds_write_b32 v136, v49 offset:128
                                        ; implicit-def: $vgpr2
; %bb.25:                               ;   in Loop: Header=BB19_12 Depth=1
	s_andn2_saveexec_b64 s[12:13], s[12:13]
	s_cbranch_execz .LBB19_27
; %bb.26:                               ;   in Loop: Header=BB19_12 Depth=1
	v_mad_u64_u32 v[2:3], s[16:17], v2, s59, v[92:93]
	v_ashrrev_i32_e32 v3, 31, v2
	v_lshl_add_u64 v[2:3], v[2:3], 3, s[90:91]
	global_load_dwordx2 v[2:3], v[2:3], off
	s_waitcnt vmcnt(0)
	v_cvt_pk_f16_f32 v2, v2, v3
	v_pk_mul_f16 v2, v2, v167
	ds_write_b32 v136, v2 offset:128
.LBB19_27:                              ;   in Loop: Header=BB19_12 Depth=1
	s_or_b64 exec, exec, s[12:13]
	s_mov_b64 s[16:17], exec
	v_readlane_b32 s12, v194, 17
	v_readlane_b32 s13, v194, 18
	s_and_b64 s[12:13], s[16:17], s[12:13]
	s_mov_b64 exec, s[12:13]
	s_cbranch_execz .LBB19_32
; %bb.28:                               ;   in Loop: Header=BB19_12 Depth=1
	v_or_b32_e32 v2, s11, v139
	v_or_b32_e32 v3, s4, v94
	v_cmp_le_i32_e32 vcc, s20, v2
	v_cmp_le_i32_e64 s[12:13], s3, v3
	s_or_b64 s[12:13], vcc, s[12:13]
	s_and_saveexec_b64 s[96:97], s[12:13]
	s_xor_b64 s[12:13], exec, s[96:97]
; %bb.29:                               ;   in Loop: Header=BB19_12 Depth=1
	ds_write_b32 v137, v49 offset:192
                                        ; implicit-def: $vgpr2
; %bb.30:                               ;   in Loop: Header=BB19_12 Depth=1
	s_andn2_saveexec_b64 s[12:13], s[12:13]
	s_cbranch_execz .LBB19_32
; %bb.31:                               ;   in Loop: Header=BB19_12 Depth=1
	v_mad_u64_u32 v[2:3], s[12:13], v2, s59, v[96:97]
	v_ashrrev_i32_e32 v3, 31, v2
	v_lshl_add_u64 v[2:3], v[2:3], 3, s[90:91]
	global_load_dwordx2 v[2:3], v[2:3], off
	s_waitcnt vmcnt(0)
	v_cvt_pk_f16_f32 v2, v2, v3
	v_pk_mul_f16 v2, v2, v167
	ds_write_b32 v137, v2 offset:192
.LBB19_32:                              ;   in Loop: Header=BB19_12 Depth=1
	s_or_b64 exec, exec, s[16:17]
	s_waitcnt lgkmcnt(0)
	s_barrier
	ds_read2_b64 v[10:13], v77 offset1:4
	ds_read2_b64 v[6:9], v77 offset0:8 offset1:12
	ds_read2_b64 v[2:5], v77 offset0:16 offset1:20
	ds_read_b64 v[14:15], v77 offset:192
	s_add_i32 s61, s15, -1
	s_cmp_ge_i32 s60, s61
	s_waitcnt lgkmcnt(0)
	s_barrier
	s_cbranch_scc1 .LBB19_42
; %bb.33:                               ;   in Loop: Header=BB19_12 Depth=1
	v_add_u32_e32 v16, s11, v57
	v_mul_hi_u32 v17, s28, v16
	v_and_b32_e32 v18, 64, v166
	v_add_u32_e32 v17, v16, v17
	v_add_u32_e32 v18, 64, v18
	v_xor_b32_e32 v19, 32, v166
	v_lshrrev_b32_e32 v17, s29, v17
	v_cmp_lt_i32_e32 vcc, v19, v18
	v_mul_lo_u32 v17, v17, s20
	v_readlane_b32 s12, v194, 28
	v_cndmask_b32_e32 v19, v166, v19, vcc
	v_sub_u32_e32 v16, v16, v17
	v_readlane_b32 s13, v194, 29
	v_lshlrev_b32_e32 v21, 2, v19
	v_xor_b32_e32 v19, 16, v166
	v_mad_i64_i32 v[16:17], s[12:13], v16, s12, 0
	v_cmp_lt_i32_e32 vcc, v19, v18
	v_lshl_add_u64 v[16:17], v[16:17], 1, s[82:83]
	v_lshlrev_b32_e32 v48, 1, v42
	v_cndmask_b32_e32 v18, v166, v19, vcc
	v_lshl_add_u64 v[16:17], v[16:17], 0, v[48:49]
	v_lshlrev_b32_e32 v22, 2, v18
	s_lshl_b32 s12, s60, 6
	v_mov_b32_e32 v23, 0
	v_mov_b32_e32 v112, 0xfeffffff
	;; [unrolled: 1-line block ×16, first 2 shown]
	s_ashr_i32 s13, s12, 31
	s_and_saveexec_b64 s[16:17], s[6:7]
	s_cbranch_execz .LBB19_35
.LBB19_34:                              ;   in Loop: Header=BB19_12 Depth=1
	v_lshl_add_u64 v[18:19], s[12:13], 1, v[16:17]
	global_load_dword v18, v[18:19], off
	s_waitcnt vmcnt(0)
	ds_write_b32 v93, v18 offset:15360
.LBB19_35:                              ;   Parent Loop BB19_12 Depth=1
                                        ; =>  This Inner Loop Header: Depth=2
	s_or_b64 exec, exec, s[16:17]
	s_mul_hi_i32 s17, s12, s22
	s_mul_i32 s16, s12, s22
	s_lshl_b64 s[16:17], s[16:17], 2
	s_add_u32 s16, s33, s16
	s_addc_u32 s17, s70, s17
	s_and_saveexec_b64 s[96:97], s[8:9]
	s_cbranch_execz .LBB19_37
; %bb.36:                               ;   in Loop: Header=BB19_35 Depth=2
	v_lshl_add_u64 v[18:19], v[62:63], 2, s[16:17]
	v_lshlrev_b32_e32 v48, 2, v46
	v_lshl_add_u64 v[18:19], v[18:19], 0, v[48:49]
	global_load_dwordx4 v[114:117], v[18:19], off offset:192
	s_waitcnt vmcnt(0)
	ds_write_b128 v99, v[114:117]
.LBB19_37:                              ;   in Loop: Header=BB19_35 Depth=2
	s_or_b64 exec, exec, s[96:97]
	v_lshl_add_u64 v[18:19], v[52:53], 2, s[16:17]
	v_lshlrev_b32_e32 v48, 2, v44
	v_lshl_add_u64 v[114:115], v[18:19], 0, v[48:49]
	v_lshl_add_u64 v[116:117], v[58:59], 2, s[16:17]
	v_lshlrev_b32_e32 v18, 2, v56
	v_mov_b32_e32 v19, v49
	v_lshl_add_u64 v[118:119], v[116:117], 0, v[18:19]
	v_lshl_add_u64 v[116:117], v[60:61], 2, s[16:17]
	;; [unrolled: 1-line block ×3, first 2 shown]
	global_load_dwordx4 v[114:117], v[114:115], off offset:128
	v_add_u32_e32 v37, 0x3c00, v101
	s_mul_hi_i32 s17, s12, s18
	s_mul_i32 s16, s12, s18
	s_lshl_b64 s[16:17], s[16:17], 2
	s_add_u32 s16, s5, s16
	s_addc_u32 s17, s71, s17
	s_waitcnt vmcnt(0)
	ds_write_b128 v95, v[114:117]
	global_load_dwordx4 v[114:117], v[118:119], off
	s_waitcnt vmcnt(0)
	ds_write_b128 v138, v[114:117]
	global_load_dwordx4 v[114:117], v[120:121], off
	s_waitcnt vmcnt(0)
	ds_write_b128 v170, v[114:117]
	s_waitcnt lgkmcnt(0)
	s_barrier
	ds_read2_b64 v[114:117], v97 offset1:4
	s_waitcnt lgkmcnt(0)
	v_mfma_f32_16x16x16_f16 v[118:121], v[114:115], v[10:11], 0
	v_mfma_f32_16x16x16_f16 v[114:117], v[116:117], v[12:13], v[118:121]
	s_nop 6
	ds_read2_b64 v[118:121], v97 offset0:8 offset1:12
	s_waitcnt lgkmcnt(0)
	v_mfma_f32_16x16x16_f16 v[114:117], v[118:119], v[6:7], v[114:117]
	v_mfma_f32_16x16x16_f16 v[114:117], v[120:121], v[8:9], v[114:117]
	ds_read2_b64 v[118:121], v97 offset0:16 offset1:20
	s_waitcnt lgkmcnt(0)
	v_mfma_f32_16x16x16_f16 v[114:117], v[118:119], v[2:3], v[114:117]
	ds_read_b64 v[118:119], v97 offset:192
	s_waitcnt lgkmcnt(0)
	s_barrier
	v_mfma_f32_16x16x16_f16 v[114:117], v[120:121], v[4:5], v[114:117]
	v_mfma_f32_16x16x16_f16 v[116:119], v[118:119], v[14:15], v[114:117]
	s_nop 6
	ds_read2_b32 v[114:115], v37 offset1:1
	s_waitcnt lgkmcnt(0)
	v_cvt_f32_f16_e32 v37, v114
	v_cvt_f32_f16_sdwa v113, v114 dst_sel:DWORD dst_unused:UNUSED_PAD src0_sel:WORD_1
	v_add_f32_e32 v116, v116, v37
	v_add_f32_e32 v114, v117, v113
	v_cvt_f32_f16_e32 v37, v115
	v_cvt_f32_f16_sdwa v113, v115 dst_sel:DWORD dst_unused:UNUSED_PAD src0_sel:WORD_1
	v_add_f32_e32 v117, 0x40051340, v114
	v_add_f32_e32 v115, v118, v37
	;; [unrolled: 1-line block ×4, first 2 shown]
	v_max3_f32 v37, v112, v37, v117
	v_add_f32_e32 v117, 0x40051340, v115
	v_add_f32_e32 v118, 0x40051340, v113
	v_max3_f32 v37, v37, v117, v118
	ds_bpermute_b32 v117, v21, v37
	s_waitcnt lgkmcnt(0)
	v_max_f32_e32 v117, v117, v117
	v_max_f32_e32 v37, v37, v117
	ds_bpermute_b32 v117, v22, v37
	s_and_saveexec_b64 s[96:97], s[8:9]
	s_cbranch_execz .LBB19_39
; %bb.38:                               ;   in Loop: Header=BB19_35 Depth=2
	v_lshl_add_u64 v[118:119], v[64:65], 2, s[16:17]
	v_lshlrev_b32_e32 v120, 2, v46
	v_mov_b32_e32 v121, v49
	v_lshl_add_u64 v[118:119], v[118:119], 0, v[120:121]
	global_load_dwordx4 v[118:121], v[118:119], off offset:192
	s_waitcnt vmcnt(0)
	ds_write_b128 v99, v[118:121]
.LBB19_39:                              ;   in Loop: Header=BB19_35 Depth=2
	s_or_b64 exec, exec, s[96:97]
	s_waitcnt lgkmcnt(0)
	v_max_f32_e32 v117, v117, v117
	v_max_f32_e32 v37, v37, v37
	;; [unrolled: 1-line block ×3, first 2 shown]
	v_sub_f32_e32 v128, v116, v37
	v_lshl_add_u64 v[116:117], v[70:71], 2, s[16:17]
	v_lshl_add_u64 v[118:119], v[68:69], 2, s[16:17]
	;; [unrolled: 1-line block ×4, first 2 shown]
	global_load_dwordx4 v[116:119], v[116:117], off offset:128
	s_nop 0
	global_load_dwordx4 v[120:123], v[120:121], off
	v_lshl_add_u64 v[124:125], v[66:67], 2, s[16:17]
	v_lshl_add_u64 v[18:19], v[124:125], 0, v[18:19]
	global_load_dwordx4 v[124:127], v[18:19], off
	v_mul_f32_e32 v129, 0x3fb8aa3b, v128
	v_fma_f32 v130, v128, s69, -v129
	v_rndne_f32_e32 v18, v129
	v_fmac_f32_e32 v130, 0x32a5705f, v128
	v_sub_f32_e32 v19, v129, v18
	v_add_f32_e32 v19, v19, v130
	v_exp_f32_e32 v19, v19
	v_cvt_i32_f32_e32 v18, v18
	v_cmp_ngt_f32_e32 vcc, s68, v128
	v_sub_f32_e32 v112, v112, v37
	s_add_i32 s60, s60, 1
	v_ldexp_f32 v18, v19, v18
	v_sub_f32_e32 v19, v114, v37
	v_mul_f32_e32 v48, 0x3fb8aa3b, v19
	v_fma_f32 v114, v19, s69, -v48
	v_rndne_f32_e32 v129, v48
	v_fmac_f32_e32 v114, 0x32a5705f, v19
	v_sub_f32_e32 v48, v48, v129
	v_add_f32_e32 v48, v48, v114
	v_exp_f32_e32 v48, v48
	v_cvt_i32_f32_e32 v114, v129
	v_cndmask_b32_e32 v18, 0, v18, vcc
	v_cmp_nlt_f32_e32 vcc, s26, v128
	s_add_i32 s12, s12, 64
	s_cmp_lt_i32 s60, s61
	v_cndmask_b32_e32 v128, v179, v18, vcc
	v_ldexp_f32 v18, v48, v114
	v_sub_f32_e32 v48, v115, v37
	v_mul_f32_e32 v114, 0x3fb8aa3b, v48
	v_fma_f32 v115, v48, s69, -v114
	v_rndne_f32_e32 v129, v114
	v_fmac_f32_e32 v115, 0x32a5705f, v48
	v_sub_f32_e32 v114, v114, v129
	v_add_f32_e32 v114, v114, v115
	v_exp_f32_e32 v114, v114
	v_cvt_i32_f32_e32 v115, v129
	v_cmp_ngt_f32_e32 vcc, s68, v19
	s_waitcnt vmcnt(2)
	ds_write_b128 v95, v[116:119]
	s_waitcnt vmcnt(1)
	ds_write_b128 v138, v[120:123]
	;; [unrolled: 2-line block ×3, first 2 shown]
	v_cndmask_b32_e32 v18, 0, v18, vcc
	v_cmp_nlt_f32_e32 vcc, s26, v19
	v_sub_f32_e32 v19, v113, v37
	v_mul_f32_e32 v113, 0x3fb8aa3b, v19
	v_cndmask_b32_e32 v129, v179, v18, vcc
	v_ldexp_f32 v18, v114, v115
	v_fma_f32 v114, v19, s69, -v113
	v_rndne_f32_e32 v115, v113
	v_fmac_f32_e32 v114, 0x32a5705f, v19
	v_sub_f32_e32 v113, v113, v115
	v_add_f32_e32 v113, v113, v114
	v_cvt_i32_f32_e32 v114, v115
	v_mul_f32_e32 v115, 0x3fb8aa3b, v112
	v_fma_f32 v130, v112, s69, -v115
	v_rndne_f32_e32 v131, v115
	v_fmac_f32_e32 v130, 0x32a5705f, v112
	v_sub_f32_e32 v115, v115, v131
	v_add_f32_e32 v115, v115, v130
	v_exp_f32_e32 v113, v113
	v_exp_f32_e32 v115, v115
	v_cvt_i32_f32_e32 v130, v131
	v_cmp_ngt_f32_e32 vcc, s68, v48
	s_waitcnt lgkmcnt(0)
	s_barrier
	v_cndmask_b32_e32 v18, 0, v18, vcc
	v_cmp_nlt_f32_e32 vcc, s26, v48
	v_cvt_pk_f16_f32 v132, v128, v129
	s_nop 0
	v_cndmask_b32_e32 v48, v179, v18, vcc
	v_ldexp_f32 v18, v113, v114
	v_ldexp_f32 v113, v115, v130
	v_cmp_ngt_f32_e32 vcc, s68, v112
	s_nop 1
	v_cndmask_b32_e32 v113, 0, v113, vcc
	v_cmp_nlt_f32_e32 vcc, s26, v112
	s_nop 1
	v_cndmask_b32_e32 v113, v179, v113, vcc
	v_cmp_le_f32_e32 vcc, s55, v112
	s_nop 1
	v_cndmask_b32_e32 v180, 0, v113, vcc
	v_cvt_f16_f32_e32 v112, v180
	v_cmp_ngt_f32_e32 vcc, s68, v19
	v_mul_u32_u24_e32 v130, 0x10001, v112
	s_nop 0
	v_cndmask_b32_e32 v18, 0, v18, vcc
	v_cmp_nlt_f32_e32 vcc, s26, v19
	v_pk_mul_f16 v36, v36, v130
	v_pk_mul_f16 v35, v35, v130
	v_cndmask_b32_e32 v181, v179, v18, vcc
	ds_read_u16 v18, v107
	ds_read_u16 v19, v105
	ds_read_u16 v120, v105 offset:32
	ds_read_u16 v121, v103 offset:272
	;; [unrolled: 1-line block ×10, first 2 shown]
	s_waitcnt lgkmcnt(10)
	v_perm_b32 v19, v18, v19, s14
	ds_read_u16 v18, v103 offset:240
	ds_read_u16 v112, v103
	ds_read_u16 v123, v103 offset:32
	ds_read_u16 v127, v103 offset:64
	;; [unrolled: 1-line block ×6, first 2 shown]
	s_waitcnt lgkmcnt(6)
	v_perm_b32 v18, v18, v112, s14
	v_cvt_f32_f16_e32 v112, v36
	v_cvt_f32_f16_sdwa v113, v36 dst_sel:DWORD dst_unused:UNUSED_PAD src0_sel:WORD_1
	v_cvt_f32_f16_e32 v114, v35
	v_cvt_f32_f16_sdwa v115, v35 dst_sel:DWORD dst_unused:UNUSED_PAD src0_sel:WORD_1
	v_cvt_pk_f16_f32 v133, v48, v181
	v_pk_mul_f16 v34, v34, v130
	v_pk_mul_f16 v33, v33, v130
	v_mfma_f32_16x16x16_f16 v[116:119], v[18:19], v[132:133], v[112:115]
	v_perm_b32 v19, v122, v120, s14
	s_waitcnt lgkmcnt(5)
	v_perm_b32 v18, v121, v123, s14
	v_pk_mul_f16 v31, v31, v130
	v_cvt_f32_f16_e32 v112, v34
	v_cvt_f32_f16_sdwa v113, v34 dst_sel:DWORD dst_unused:UNUSED_PAD src0_sel:WORD_1
	v_cvt_f32_f16_e32 v114, v33
	v_cvt_f32_f16_sdwa v115, v33 dst_sel:DWORD dst_unused:UNUSED_PAD src0_sel:WORD_1
	ds_read_u16 v33, v105 offset:64
	ds_read_u16 v36, v105 offset:96
	;; [unrolled: 1-line block ×4, first 2 shown]
	v_pk_mul_f16 v34, v32, v130
	v_mfma_f32_16x16x16_f16 v[120:123], v[18:19], v[132:133], v[112:115]
	s_waitcnt lgkmcnt(3)
	v_perm_b32 v19, v126, v33, s14
	v_perm_b32 v18, v124, v127, s14
	v_cvt_f32_f16_e32 v32, v34
	v_cvt_f32_f16_sdwa v33, v34 dst_sel:DWORD dst_unused:UNUSED_PAD src0_sel:WORD_1
	v_cvt_f32_f16_e32 v34, v31
	v_cvt_f32_f16_sdwa v35, v31 dst_sel:DWORD dst_unused:UNUSED_PAD src0_sel:WORD_1
	ds_read_u16 v31, v107 offset:96
	v_pk_mul_f16 v30, v30, v130
	v_pk_mul_f16 v29, v29, v130
	v_mfma_f32_16x16x16_f16 v[32:35], v[18:19], v[132:133], v[32:35]
	v_perm_b32 v18, v125, v185, s14
	s_waitcnt lgkmcnt(0)
	v_perm_b32 v19, v31, v36, s14
	v_cvt_f32_f16_e32 v112, v30
	v_cvt_f32_f16_sdwa v113, v30 dst_sel:DWORD dst_unused:UNUSED_PAD src0_sel:WORD_1
	v_cvt_f32_f16_e32 v114, v29
	v_cvt_f32_f16_sdwa v115, v29 dst_sel:DWORD dst_unused:UNUSED_PAD src0_sel:WORD_1
	ds_read_u16 v191, v107 offset:128
	ds_read_u16 v192, v107 offset:160
	;; [unrolled: 1-line block ×3, first 2 shown]
	v_pk_mul_f16 v29, v28, v130
	v_pk_mul_f16 v27, v27, v130
	v_mfma_f32_16x16x16_f16 v[124:127], v[18:19], v[132:133], v[112:115]
	s_waitcnt lgkmcnt(2)
	v_perm_b32 v19, v191, v189, s14
	v_perm_b32 v18, v131, v186, s14
	v_cvt_f32_f16_e32 v28, v29
	v_cvt_f32_f16_sdwa v29, v29 dst_sel:DWORD dst_unused:UNUSED_PAD src0_sel:WORD_1
	v_cvt_f32_f16_e32 v30, v27
	v_cvt_f32_f16_sdwa v31, v27 dst_sel:DWORD dst_unused:UNUSED_PAD src0_sel:WORD_1
	v_pk_mul_f16 v23, v23, v130
	v_pk_mul_f16 v24, v24, v130
	v_mfma_f32_16x16x16_f16 v[28:31], v[18:19], v[132:133], v[28:31]
	s_waitcnt lgkmcnt(1)
	v_perm_b32 v19, v192, v190, s14
	v_perm_b32 v18, v182, v187, s14
	v_cvt_f32_f16_e32 v112, v23
	v_cvt_f32_f16_sdwa v113, v23 dst_sel:DWORD dst_unused:UNUSED_PAD src0_sel:WORD_1
	v_cvt_f32_f16_e32 v114, v24
	v_cvt_f32_f16_sdwa v115, v24 dst_sel:DWORD dst_unused:UNUSED_PAD src0_sel:WORD_1
	v_pk_mul_f16 v36, v25, v130
	v_pk_mul_f16 v131, v26, v130
	v_mfma_f32_16x16x16_f16 v[24:27], v[18:19], v[132:133], v[112:115]
	s_waitcnt lgkmcnt(0)
	v_perm_b32 v19, v193, v184, s14
	v_perm_b32 v18, v183, v188, s14
	v_add_f32_e32 v23, v128, v129
	v_cvt_f32_f16_e32 v128, v36
	v_cvt_f32_f16_sdwa v129, v36 dst_sel:DWORD dst_unused:UNUSED_PAD src0_sel:WORD_1
	v_cvt_f32_f16_e32 v130, v131
	v_cvt_f32_f16_sdwa v131, v131 dst_sel:DWORD dst_unused:UNUSED_PAD src0_sel:WORD_1
	v_add_f32_e32 v23, v48, v23
	v_add_f32_e32 v115, v181, v23
	v_mfma_f32_16x16x16_f16 v[128:131], v[18:19], v[132:133], v[128:131]
	v_fmac_f32_e32 v115, v111, v180
	v_cvt_pk_f16_f32 v23, v24, v25
	v_cvt_pk_f16_f32 v24, v26, v27
	;; [unrolled: 1-line block ×14, first 2 shown]
	s_barrier
	s_cbranch_scc0 .LBB19_43
; %bb.40:                               ;   in Loop: Header=BB19_35 Depth=2
	v_mov_b32_e32 v111, v115
	v_mov_b32_e32 v112, v37
	s_ashr_i32 s13, s12, 31
	s_and_saveexec_b64 s[16:17], s[6:7]
	s_cbranch_execnz .LBB19_34
	s_branch .LBB19_35
.LBB19_41:                              ;   in Loop: Header=BB19_12 Depth=1
	s_movk_i32 s64, 0x47
	s_cbranch_execz .LBB19_11
	s_branch .LBB19_122
.LBB19_42:                              ;   in Loop: Header=BB19_12 Depth=1
	v_mov_b32_e32 v37, 0xfeffffff
	v_mov_b32_e32 v115, 0
	;; [unrolled: 1-line block ×16, first 2 shown]
.LBB19_43:                              ;   in Loop: Header=BB19_12 Depth=1
	s_lshl_b32 s12, s60, 6
	s_ashr_i32 s13, s12, 31
	s_and_saveexec_b64 s[16:17], s[6:7]
	s_cbranch_execz .LBB19_45
; %bb.44:                               ;   in Loop: Header=BB19_12 Depth=1
	v_or_b32_e32 v16, s11, v57
	v_mul_hi_u32 v17, s28, v16
	v_add_u32_e32 v17, v16, v17
	v_lshrrev_b32_e32 v17, s29, v17
	s_lshl_b64 s[60:61], s[12:13], 1
	v_mul_lo_u32 v17, v17, s20
	v_readlane_b32 s96, v194, 28
	s_add_u32 s60, s82, s60
	v_sub_u32_e32 v16, v16, v17
	v_readlane_b32 s97, v194, 29
	s_addc_u32 s61, s83, s61
	v_mad_i64_i32 v[16:17], s[96:97], v16, s96, 0
	v_lshl_add_u64 v[16:17], v[16:17], 1, s[60:61]
	v_lshlrev_b32_e32 v48, 1, v42
	v_lshl_add_u64 v[16:17], v[16:17], 0, v[48:49]
	global_load_dword v16, v[16:17], off
	s_waitcnt vmcnt(0)
	ds_write_b32 v93, v16 offset:15360
.LBB19_45:                              ;   in Loop: Header=BB19_12 Depth=1
	s_or_b64 exec, exec, s[16:17]
	s_mul_hi_i32 s17, s12, s22
	s_mul_i32 s16, s12, s22
	s_lshl_b64 s[16:17], s[16:17], 2
	s_add_u32 s16, s33, s16
	s_addc_u32 s17, s70, s17
	s_and_saveexec_b64 s[96:97], s[8:9]
	s_cbranch_execz .LBB19_47
; %bb.46:                               ;   in Loop: Header=BB19_12 Depth=1
	v_lshl_add_u64 v[16:17], v[62:63], 2, s[16:17]
	v_lshlrev_b32_e32 v48, 2, v46
	v_lshl_add_u64 v[16:17], v[16:17], 0, v[48:49]
	global_load_dwordx4 v[16:19], v[16:17], off offset:192
	s_waitcnt vmcnt(0)
	ds_write_b128 v99, v[16:19]
.LBB19_47:                              ;   in Loop: Header=BB19_12 Depth=1
	s_or_b64 exec, exec, s[96:97]
	v_lshl_add_u64 v[16:17], v[52:53], 2, s[16:17]
	v_lshlrev_b32_e32 v48, 2, v44
	v_lshl_add_u64 v[18:19], v[16:17], 0, v[48:49]
	v_lshlrev_b32_e32 v16, 2, v56
	v_mov_b32_e32 v17, v49
	v_lshl_add_u64 v[116:117], v[60:61], 2, s[16:17]
	v_lshl_add_u64 v[120:121], v[116:117], 0, v[16:17]
	global_load_dwordx4 v[116:119], v[18:19], off offset:128
	v_lshl_add_u64 v[112:113], v[58:59], 2, s[16:17]
	v_lshl_add_u64 v[112:113], v[112:113], 0, v[16:17]
	s_mul_hi_i32 s13, s12, s18
	s_mul_i32 s12, s12, s18
	s_lshl_b64 s[12:13], s[12:13], 2
	s_add_u32 s12, s5, s12
	s_addc_u32 s13, s71, s13
	s_waitcnt vmcnt(0)
	ds_write_b128 v95, v[116:119]
	global_load_dwordx4 v[116:119], v[112:113], off
	s_waitcnt vmcnt(0)
	ds_write_b128 v138, v[116:119]
	global_load_dwordx4 v[116:119], v[120:121], off
	s_waitcnt vmcnt(0)
	ds_write_b128 v170, v[116:119]
	s_waitcnt lgkmcnt(0)
	s_barrier
	ds_read2_b64 v[116:119], v97 offset1:4
	s_waitcnt lgkmcnt(0)
	v_mfma_f32_16x16x16_f16 v[120:123], v[116:117], v[10:11], 0
	v_mfma_f32_16x16x16_f16 v[10:13], v[118:119], v[12:13], v[120:123]
	ds_read2_b64 v[116:119], v97 offset0:8 offset1:12
	s_waitcnt lgkmcnt(0)
	v_mfma_f32_16x16x16_f16 v[10:13], v[116:117], v[6:7], v[10:13]
	v_mfma_f32_16x16x16_f16 v[6:9], v[118:119], v[8:9], v[10:13]
	s_nop 6
	ds_read2_b64 v[10:13], v97 offset0:16 offset1:20
	s_waitcnt lgkmcnt(0)
	v_mfma_f32_16x16x16_f16 v[6:9], v[10:11], v[2:3], v[6:9]
	v_mfma_f32_16x16x16_f16 v[2:5], v[12:13], v[4:5], v[6:9]
	s_nop 6
	ds_read_b64 v[6:7], v97 offset:192
	s_waitcnt lgkmcnt(0)
	v_mfma_f32_16x16x16_f16 v[6:9], v[6:7], v[14:15], v[2:5]
	s_nop 2
	v_add_u32_e32 v2, 0x3c00, v101
	s_barrier
	ds_read2_b32 v[2:3], v2 offset1:1
	s_waitcnt lgkmcnt(0)
	v_cvt_f32_f16_e32 v4, v2
	v_cvt_f32_f16_sdwa v2, v2 dst_sel:DWORD dst_unused:UNUSED_PAD src0_sel:WORD_1
	v_add_f32_e32 v5, v6, v4
	v_add_f32_e32 v4, v7, v2
	v_cvt_f32_f16_e32 v2, v3
	v_cvt_f32_f16_sdwa v6, v3 dst_sel:DWORD dst_unused:UNUSED_PAD src0_sel:WORD_1
	v_add_f32_e32 v7, 0x40051340, v4
	v_add_f32_e32 v3, v8, v2
	;; [unrolled: 1-line block ×4, first 2 shown]
	v_max3_f32 v6, v37, v6, v7
	v_add_f32_e32 v7, 0x40051340, v3
	v_add_f32_e32 v8, 0x40051340, v2
	v_max3_f32 v6, v6, v7, v8
	v_and_b32_e32 v7, 64, v166
	v_add_u32_e32 v7, 64, v7
	v_xor_b32_e32 v8, 32, v166
	v_cmp_lt_i32_e32 vcc, v8, v7
	s_nop 1
	v_cndmask_b32_e32 v8, v166, v8, vcc
	v_lshlrev_b32_e32 v21, 2, v8
	ds_bpermute_b32 v8, v21, v6
	s_waitcnt lgkmcnt(0)
	v_max_f32_e32 v8, v8, v8
	v_max_f32_e32 v6, v6, v8
	v_xor_b32_e32 v8, 16, v166
	v_cmp_lt_i32_e32 vcc, v8, v7
	s_nop 1
	v_cndmask_b32_e32 v7, v166, v8, vcc
	v_lshlrev_b32_e32 v22, 2, v7
	ds_bpermute_b32 v7, v22, v6
	s_and_saveexec_b64 s[16:17], s[8:9]
	s_cbranch_execz .LBB19_49
; %bb.48:                               ;   in Loop: Header=BB19_12 Depth=1
	v_lshl_add_u64 v[8:9], v[64:65], 2, s[12:13]
	v_lshlrev_b32_e32 v10, 2, v46
	v_mov_b32_e32 v11, v49
	v_lshl_add_u64 v[8:9], v[8:9], 0, v[10:11]
	global_load_dwordx4 v[8:11], v[8:9], off offset:192
	s_waitcnt vmcnt(0)
	ds_write_b128 v99, v[8:11]
.LBB19_49:                              ;   in Loop: Header=BB19_12 Depth=1
	s_or_b64 exec, exec, s[16:17]
	s_waitcnt lgkmcnt(0)
	v_max_f32_e32 v7, v7, v7
	v_max_f32_e32 v6, v6, v6
	v_max_f32_e32 v18, v6, v7
	v_sub_f32_e32 v5, v5, v18
	v_mul_f32_e32 v6, 0x3fb8aa3b, v5
	v_fma_f32 v7, v5, s69, -v6
	v_rndne_f32_e32 v8, v6
	v_fmac_f32_e32 v7, 0x32a5705f, v5
	v_sub_f32_e32 v6, v6, v8
	v_add_f32_e32 v6, v6, v7
	v_exp_f32_e32 v6, v6
	v_cvt_i32_f32_e32 v7, v8
	v_cmp_ngt_f32_e32 vcc, s68, v5
	v_sub_f32_e32 v4, v4, v18
	v_sub_f32_e32 v3, v3, v18
	v_ldexp_f32 v6, v6, v7
	v_cndmask_b32_e32 v6, 0, v6, vcc
	v_cmp_nlt_f32_e32 vcc, s26, v5
	v_mul_f32_e32 v5, 0x3fb8aa3b, v4
	v_rndne_f32_e32 v7, v5
	v_cndmask_b32_e32 v111, v179, v6, vcc
	v_fma_f32 v6, v4, s69, -v5
	v_fmac_f32_e32 v6, 0x32a5705f, v4
	v_sub_f32_e32 v5, v5, v7
	v_add_f32_e32 v5, v5, v6
	v_exp_f32_e32 v5, v5
	v_cvt_i32_f32_e32 v6, v7
	v_cmp_ngt_f32_e32 vcc, s68, v4
	v_sub_f32_e32 v2, v2, v18
	s_cmp_lg_u64 s[80:81], 0
	v_ldexp_f32 v5, v5, v6
	v_cndmask_b32_e32 v5, 0, v5, vcc
	v_cmp_nlt_f32_e32 vcc, s26, v4
	s_nop 1
	v_cndmask_b32_e32 v112, v179, v5, vcc
	v_mul_f32_e32 v5, 0x3fb8aa3b, v3
	v_fma_f32 v6, v3, s69, -v5
	v_rndne_f32_e32 v7, v5
	v_fmac_f32_e32 v6, 0x32a5705f, v3
	v_sub_f32_e32 v5, v5, v7
	v_add_f32_e32 v5, v5, v6
	v_exp_f32_e32 v5, v5
	v_cvt_i32_f32_e32 v6, v7
	v_cmp_ngt_f32_e32 vcc, s68, v3
	v_add_f32_e32 v4, v111, v112
	v_ldexp_f32 v5, v5, v6
	v_cndmask_b32_e32 v5, 0, v5, vcc
	v_cmp_nlt_f32_e32 vcc, s26, v3
	s_nop 1
	v_cndmask_b32_e32 v113, v179, v5, vcc
	v_add_f32_e32 v3, v113, v4
	v_mul_f32_e32 v4, 0x3fb8aa3b, v2
	v_fma_f32 v5, v2, s69, -v4
	v_rndne_f32_e32 v6, v4
	v_fmac_f32_e32 v5, 0x32a5705f, v2
	v_sub_f32_e32 v4, v4, v6
	v_add_f32_e32 v4, v4, v5
	v_exp_f32_e32 v4, v4
	v_cvt_i32_f32_e32 v5, v6
	v_cmp_ngt_f32_e32 vcc, s68, v2
	v_ldexp_f32 v4, v4, v5
	s_nop 0
	v_cndmask_b32_e32 v4, 0, v4, vcc
	v_cmp_nlt_f32_e32 vcc, s26, v2
	v_sub_f32_e32 v2, v37, v18
	s_nop 0
	v_cndmask_b32_e32 v114, v179, v4, vcc
	v_add_f32_e32 v19, v114, v3
	v_mul_f32_e32 v3, 0x3fb8aa3b, v2
	v_fma_f32 v4, v2, s69, -v3
	v_rndne_f32_e32 v5, v3
	v_fmac_f32_e32 v4, 0x32a5705f, v2
	v_sub_f32_e32 v3, v3, v5
	v_add_f32_e32 v3, v3, v4
	v_exp_f32_e32 v3, v3
	v_cvt_i32_f32_e32 v4, v5
	v_cmp_ngt_f32_e32 vcc, s68, v2
	v_ldexp_f32 v3, v3, v4
	s_nop 0
	v_cndmask_b32_e32 v3, 0, v3, vcc
	v_cmp_nlt_f32_e32 vcc, s26, v2
	s_nop 1
	v_cndmask_b32_e32 v3, v179, v3, vcc
	v_cmp_le_f32_e32 vcc, s55, v2
	s_nop 1
	v_cndmask_b32_e32 v2, 0, v3, vcc
	v_fmac_f32_e32 v19, v115, v2
	v_cvt_f16_f32_e32 v2, v2
	v_mul_u32_u24_e32 v2, 0x10001, v2
	v_pk_mul_f16 v36, v36, v2
	v_pk_mul_f16 v35, v35, v2
	;; [unrolled: 1-line block ×14, first 2 shown]
	v_lshl_add_u64 v[2:3], v[70:71], 2, s[12:13]
	v_lshl_add_u64 v[2:3], v[2:3], 0, v[48:49]
	global_load_dwordx4 v[2:5], v[2:3], off offset:128
	v_cvt_f32_f16_sdwa v115, v8 dst_sel:DWORD dst_unused:UNUSED_PAD src0_sel:WORD_1
	v_cvt_f32_f16_e32 v116, v14
	v_cvt_f32_f16_sdwa v117, v14 dst_sel:DWORD dst_unused:UNUSED_PAD src0_sel:WORD_1
	s_waitcnt vmcnt(0)
	ds_write_b128 v95, v[2:5]
	v_lshl_add_u64 v[2:3], v[68:69], 2, s[12:13]
	v_lshl_add_u64 v[2:3], v[2:3], 0, v[16:17]
	global_load_dwordx4 v[2:5], v[2:3], off
	s_waitcnt vmcnt(0)
	ds_write_b128 v138, v[2:5]
	v_lshl_add_u64 v[2:3], v[66:67], 2, s[12:13]
	v_lshl_add_u64 v[2:3], v[2:3], 0, v[16:17]
	global_load_dwordx4 v[2:5], v[2:3], off
	v_cvt_pk_f16_f32 v17, v113, v114
	v_cvt_pk_f16_f32 v16, v111, v112
	v_cvt_f32_f16_e32 v112, v9
	v_cvt_f32_f16_sdwa v113, v9 dst_sel:DWORD dst_unused:UNUSED_PAD src0_sel:WORD_1
	v_cvt_f32_f16_e32 v114, v8
	s_cselect_b64 s[12:13], -1, 0
	s_and_b64 s[16:17], s[0:1], s[12:13]
	s_waitcnt vmcnt(0)
	ds_write_b128 v170, v[2:5]
	s_waitcnt lgkmcnt(0)
	s_barrier
	ds_read_u16 v2, v103 offset:240
	ds_read_u16 v3, v105
	ds_read_u16 v28, v105 offset:32
	ds_read_u16 v4, v107
	ds_read_u16 v29, v107 offset:32
	v_cvt_f32_f16_sdwa v5, v35 dst_sel:DWORD dst_unused:UNUSED_PAD src0_sel:WORD_1
	s_waitcnt lgkmcnt(1)
	v_perm_b32 v27, v4, v3, s14
	ds_read_u16 v3, v103
	ds_read_u16 v30, v103 offset:32
	v_cvt_f32_f16_e32 v4, v35
	s_waitcnt lgkmcnt(1)
	v_perm_b32 v26, v2, v3, s14
	v_cvt_f32_f16_e32 v2, v36
	v_cvt_f32_f16_sdwa v3, v36 dst_sel:DWORD dst_unused:UNUSED_PAD src0_sel:WORD_1
	s_nop 1
	v_mfma_f32_16x16x16_f16 v[2:5], v[26:27], v[16:17], v[2:5]
	v_cvt_f32_f16_e32 v26, v7
	v_cvt_f32_f16_sdwa v27, v7 dst_sel:DWORD dst_unused:UNUSED_PAD src0_sel:WORD_1
	s_nop 5
	v_cvt_f16_f32_e32 v4, v4
	v_cvt_f16_f32_e32 v5, v5
	v_cvt_f16_f32_e32 v31, v2
	v_cvt_f16_f32_e32 v32, v3
	v_perm_b32 v25, v5, v4, s14
	ds_read_u16 v4, v103 offset:272
	v_perm_b32 v5, v29, v28, s14
	v_cvt_f32_f16_e32 v28, v6
	v_cvt_f32_f16_sdwa v29, v6 dst_sel:DWORD dst_unused:UNUSED_PAD src0_sel:WORD_1
	v_perm_b32 v31, v32, v31, s14
	s_waitcnt lgkmcnt(0)
	v_perm_b32 v4, v4, v30, s14
	s_nop 1
	v_mfma_f32_16x16x16_f16 v[4:7], v[4:5], v[16:17], v[26:29]
	s_nop 7
	v_cvt_f16_f32_e32 v6, v6
	v_cvt_f16_f32_e32 v7, v7
	;; [unrolled: 1-line block ×4, first 2 shown]
	v_perm_b32 v26, v7, v6, s14
	ds_read_u16 v6, v103 offset:64
	ds_read_u16 v27, v103 offset:304
	;; [unrolled: 1-line block ×4, first 2 shown]
	v_perm_b32 v33, v34, v33, s14
	s_waitcnt lgkmcnt(2)
	v_perm_b32 v6, v27, v6, s14
	s_waitcnt lgkmcnt(0)
	v_perm_b32 v7, v28, v7, s14
	s_nop 1
	v_mfma_f32_16x16x16_f16 v[6:9], v[6:7], v[16:17], v[112:115]
	s_nop 2
	v_cvt_f32_f16_e32 v112, v11
	v_cvt_f32_f16_sdwa v113, v11 dst_sel:DWORD dst_unused:UNUSED_PAD src0_sel:WORD_1
	v_cvt_f32_f16_e32 v114, v10
	s_nop 1
	v_cvt_f16_f32_e32 v8, v8
	v_cvt_f16_f32_e32 v9, v9
	v_cvt_f32_f16_sdwa v115, v10 dst_sel:DWORD dst_unused:UNUSED_PAD src0_sel:WORD_1
	v_cvt_f16_f32_e32 v35, v6
	v_cvt_f16_f32_e32 v36, v7
	v_perm_b32 v27, v9, v8, s14
	ds_read_u16 v8, v103 offset:96
	ds_read_u16 v28, v103 offset:336
	;; [unrolled: 1-line block ×4, first 2 shown]
	v_perm_b32 v35, v36, v35, s14
	s_waitcnt lgkmcnt(2)
	v_perm_b32 v8, v28, v8, s14
	s_waitcnt lgkmcnt(0)
	v_perm_b32 v9, v29, v9, s14
	s_nop 1
	v_mfma_f32_16x16x16_f16 v[8:11], v[8:9], v[16:17], v[112:115]
	s_nop 2
	v_cvt_f32_f16_e32 v112, v13
	v_cvt_f32_f16_sdwa v113, v13 dst_sel:DWORD dst_unused:UNUSED_PAD src0_sel:WORD_1
	v_cvt_f32_f16_e32 v114, v12
	s_nop 1
	v_cvt_f16_f32_e32 v10, v10
	v_cvt_f16_f32_e32 v11, v11
	v_cvt_f32_f16_sdwa v115, v12 dst_sel:DWORD dst_unused:UNUSED_PAD src0_sel:WORD_1
	v_cvt_f16_f32_e32 v37, v8
	v_cvt_f16_f32_e32 v48, v9
	v_perm_b32 v28, v11, v10, s14
	ds_read_u16 v10, v103 offset:128
	ds_read_u16 v29, v103 offset:368
	;; [unrolled: 1-line block ×4, first 2 shown]
	s_waitcnt lgkmcnt(2)
	v_perm_b32 v10, v29, v10, s14
	s_waitcnt lgkmcnt(0)
	v_perm_b32 v11, v30, v11, s14
	s_nop 1
	v_mfma_f32_16x16x16_f16 v[10:13], v[10:11], v[16:17], v[112:115]
	s_nop 2
	v_cvt_f32_f16_e32 v114, v15
	v_cvt_f32_f16_sdwa v115, v15 dst_sel:DWORD dst_unused:UNUSED_PAD src0_sel:WORD_1
	s_nop 2
	v_cvt_f16_f32_e32 v12, v12
	v_cvt_f16_f32_e32 v13, v13
	;; [unrolled: 1-line block ×4, first 2 shown]
	v_perm_b32 v29, v13, v12, s14
	ds_read_u16 v12, v103 offset:160
	ds_read_u16 v30, v103 offset:400
	;; [unrolled: 1-line block ×4, first 2 shown]
	s_waitcnt lgkmcnt(2)
	v_perm_b32 v12, v30, v12, s14
	s_waitcnt lgkmcnt(0)
	v_perm_b32 v13, v113, v13, s14
	s_nop 1
	v_mfma_f32_16x16x16_f16 v[12:15], v[12:13], v[16:17], v[114:117]
	s_nop 2
	v_cvt_f32_f16_e32 v116, v23
	v_cvt_f32_f16_sdwa v117, v23 dst_sel:DWORD dst_unused:UNUSED_PAD src0_sel:WORD_1
	v_perm_b32 v23, v112, v111, s14
	s_nop 1
	v_cvt_f16_f32_e32 v14, v14
	v_cvt_f16_f32_e32 v15, v15
	;; [unrolled: 1-line block ×4, first 2 shown]
	v_perm_b32 v30, v15, v14, s14
	ds_read_u16 v14, v103 offset:192
	ds_read_u16 v114, v103 offset:432
	;; [unrolled: 1-line block ×4, first 2 shown]
	s_waitcnt lgkmcnt(0)
	s_barrier
	v_perm_b32 v14, v114, v14, s14
	v_cvt_f32_f16_e32 v114, v24
	v_perm_b32 v15, v115, v15, s14
	v_cvt_f32_f16_sdwa v115, v24 dst_sel:DWORD dst_unused:UNUSED_PAD src0_sel:WORD_1
	v_perm_b32 v24, v48, v37, s14
	s_nop 0
	v_mfma_f32_16x16x16_f16 v[14:17], v[14:15], v[16:17], v[114:117]
	s_nop 7
	v_cvt_f16_f32_e32 v16, v16
	v_cvt_f16_f32_e32 v17, v17
	;; [unrolled: 1-line block ×4, first 2 shown]
	v_perm_b32 v16, v17, v16, s14
	ds_bpermute_b32 v17, v21, v19
	v_perm_b32 v32, v115, v114, s14
	s_waitcnt lgkmcnt(0)
	v_add_f32_e32 v17, v19, v17
	ds_bpermute_b32 v19, v22, v17
	s_waitcnt lgkmcnt(0)
	v_add_f32_e32 v19, v17, v19
	v_perm_b32 v17, v118, v113, s14
	s_and_saveexec_b64 s[12:13], s[16:17]
	s_cbranch_execz .LBB19_51
; %bb.50:                               ;   in Loop: Header=BB19_12 Depth=1
	v_cvt_pk_f16_f32 v3, v2, v3
	v_lshlrev_b32_e32 v2, 2, v76
	v_cvt_pk_f16_f32 v4, v4, v5
	v_cvt_pk_f16_f32 v5, v6, v7
	;; [unrolled: 1-line block ×3, first 2 shown]
	global_load_dword v10, v2, s[80:81]
	v_max_f32_e32 v11, v18, v18
	v_cvt_pk_f16_f32 v6, v8, v9
	v_cvt_pk_f16_f32 v8, v12, v13
	;; [unrolled: 1-line block ×3, first 2 shown]
	s_waitcnt vmcnt(0)
	v_max_f32_e32 v2, v10, v10
	v_max_f32_e32 v2, v11, v2
	v_sub_f32_e32 v11, v18, v2
	v_mul_f32_e32 v12, 0x3fb8aa3b, v11
	v_fma_f32 v13, v11, s69, -v12
	v_rndne_f32_e32 v14, v12
	v_fmac_f32_e32 v13, 0x32a5705f, v11
	v_sub_f32_e32 v12, v12, v14
	v_add_f32_e32 v12, v12, v13
	v_exp_f32_e32 v12, v12
	v_cvt_i32_f32_e32 v13, v14
	v_cmp_ngt_f32_e32 vcc, s68, v11
	v_sub_f32_e32 v10, v10, v2
	v_ldexp_f32 v12, v12, v13
	v_cndmask_b32_e32 v12, 0, v12, vcc
	v_cmp_nlt_f32_e32 vcc, s26, v11
	s_nop 1
	v_cndmask_b32_e32 v12, v179, v12, vcc
	v_cmp_le_f32_e32 vcc, s55, v11
	s_nop 1
	v_cndmask_b32_e32 v11, 0, v12, vcc
	v_cvt_f16_f32_e32 v12, v11
	v_cmp_ngt_f32_e32 vcc, s68, v10
	v_mul_u32_u24_e32 v12, 0x10001, v12
	v_pk_mul_f16 v31, v3, v12
	v_mul_f32_e32 v3, 0x3fb8aa3b, v10
	v_pk_mul_f16 v33, v4, v12
	v_pk_mul_f16 v35, v5, v12
	v_fma_f32 v4, v10, s69, -v3
	v_rndne_f32_e32 v5, v3
	v_fmac_f32_e32 v4, 0x32a5705f, v10
	v_sub_f32_e32 v3, v3, v5
	v_add_f32_e32 v3, v3, v4
	v_exp_f32_e32 v3, v3
	v_cvt_i32_f32_e32 v4, v5
	v_pk_mul_f16 v25, v25, v12
	v_pk_mul_f16 v26, v26, v12
	;; [unrolled: 1-line block ×3, first 2 shown]
	v_ldexp_f32 v3, v3, v4
	v_cndmask_b32_e32 v3, 0, v3, vcc
	v_cmp_nlt_f32_e32 vcc, s26, v10
	v_pk_mul_f16 v24, v6, v12
	v_pk_mul_f16 v28, v28, v12
	v_cndmask_b32_e32 v3, v179, v3, vcc
	v_fmac_f32_e32 v3, v19, v11
	v_pk_mul_f16 v23, v7, v12
	v_pk_mul_f16 v29, v29, v12
	v_pk_mul_f16 v17, v8, v12
	v_pk_mul_f16 v30, v30, v12
	v_pk_mul_f16 v32, v9, v12
	v_pk_mul_f16 v16, v16, v12
	v_mov_b64_e32 v[18:19], v[2:3]
.LBB19_51:                              ;   in Loop: Header=BB19_12 Depth=1
	s_or_b64 exec, exec, s[12:13]
	s_mov_b64 s[12:13], exec
	v_readlane_b32 s16, v194, 19
	v_readlane_b32 s17, v194, 20
	s_and_b64 s[16:17], s[12:13], s[16:17]
	s_mov_b64 exec, s[16:17]
; %bb.52:                               ;   in Loop: Header=BB19_12 Depth=1
	v_add_u32_e32 v2, 0, v140
	ds_write2_b32 v2, v18, v19 offset0:56 offset1:57
; %bb.53:                               ;   in Loop: Header=BB19_12 Depth=1
	s_or_b64 exec, exec, s[12:13]
	s_waitcnt lgkmcnt(0)
	s_barrier
	s_mov_b64 s[12:13], exec
	v_readlane_b32 s16, v194, 8
	v_readlane_b32 s17, v194, 9
	s_and_b64 s[16:17], s[12:13], s[16:17]
	s_xor_b64 s[12:13], s[16:17], s[12:13]
	s_mov_b64 exec, s[16:17]
	s_cbranch_execz .LBB19_55
; %bb.54:                               ;   in Loop: Header=BB19_12 Depth=1
	s_barrier
                                        ; implicit-def: $vgpr21
                                        ; implicit-def: $vgpr22
.LBB19_55:                              ;   in Loop: Header=BB19_12 Depth=1
	s_andn2_saveexec_b64 s[12:13], s[12:13]
	s_cbranch_execz .LBB19_59
; %bb.56:                               ;   in Loop: Header=BB19_12 Depth=1
	v_add_u32_e32 v3, 0, v140
	ds_read_b64 v[4:5], v3 offset:224
	s_waitcnt lgkmcnt(0)
	s_barrier
	ds_bpermute_b32 v2, v21, v4
	v_max_f32_e32 v6, v4, v4
	s_waitcnt lgkmcnt(0)
	v_max_f32_e32 v2, v2, v2
	v_max_f32_e32 v2, v6, v2
	ds_bpermute_b32 v6, v22, v2
	s_waitcnt lgkmcnt(0)
	v_max_f32_e32 v6, v6, v6
	v_max_f32_e32 v2, v2, v6
	v_sub_f32_e32 v4, v4, v2
	v_mul_f32_e32 v6, 0x3fb8aa3b, v4
	v_fma_f32 v7, v4, s69, -v6
	v_rndne_f32_e32 v8, v6
	v_fmac_f32_e32 v7, 0x32a5705f, v4
	v_sub_f32_e32 v6, v6, v8
	v_add_f32_e32 v6, v6, v7
	v_cvt_i32_f32_e32 v8, v8
	v_exp_f32_e32 v6, v6
	v_cmp_ngt_f32_e32 vcc, s68, v4
	v_ldexp_f32 v6, v6, v8
	s_nop 0
	v_cndmask_b32_e32 v6, 0, v6, vcc
	v_cmp_nlt_f32_e32 vcc, s26, v4
	s_nop 1
	v_cndmask_b32_e32 v4, v179, v6, vcc
	v_mul_f32_e32 v6, v5, v4
	ds_bpermute_b32 v6, v21, v6
	s_waitcnt lgkmcnt(0)
	v_fmac_f32_e32 v6, v5, v4
	ds_bpermute_b32 v5, v22, v6
	s_waitcnt lgkmcnt(0)
	v_add_f32_e32 v5, v6, v5
	ds_write_b64 v3, v[4:5] offset:224
	s_mov_b64 s[16:17], exec
	v_readlane_b32 s60, v194, 19
	v_readlane_b32 s61, v194, 20
	s_and_b64 s[60:61], s[16:17], s[60:61]
	s_mov_b64 exec, s[60:61]
	s_cbranch_execz .LBB19_58
; %bb.57:                               ;   in Loop: Header=BB19_12 Depth=1
	v_mov_b32_e32 v3, v5
	global_store_dwordx2 v[50:51], v[2:3], off
.LBB19_58:                              ;   in Loop: Header=BB19_12 Depth=1
	s_or_b64 exec, exec, s[16:17]
.LBB19_59:                              ;   in Loop: Header=BB19_12 Depth=1
	s_or_b64 exec, exec, s[12:13]
	ds_write2_b32 v109, v31, v25 offset1:1
	ds_write2_b32 v109, v33, v26 offset0:8 offset1:9
	ds_write2_b32 v109, v35, v27 offset0:16 offset1:17
	;; [unrolled: 1-line block ×6, first 2 shown]
	s_waitcnt lgkmcnt(0)
	s_barrier
	s_and_saveexec_b64 s[96:97], s[0:1]
	s_cbranch_execz .LBB19_121
; %bb.60:                               ;   in Loop: Header=BB19_12 Depth=1
	v_add_u32_e32 v3, s11, v174
	v_or_b32_e32 v2, s4, v100
	v_cmp_gt_i32_e64 s[12:13], s20, v3
	v_cmp_gt_i32_e32 vcc, s3, v2
	s_and_b64 s[16:17], s[12:13], vcc
	v_mov_b32_e32 v2, 0x47
	s_and_saveexec_b64 s[12:13], s[16:17]
	s_cbranch_execz .LBB19_62
; %bb.61:                               ;   in Loop: Header=BB19_12 Depth=1
	v_mad_u64_u32 v[2:3], s[16:17], v3, s21, v[100:101]
	v_add_u32_e32 v3, 0, v143
	v_add_u32_e32 v3, 0xe0, v3
	;; [unrolled: 1-line block ×3, first 2 shown]
	ds_read2st64_b32 v[4:5], v3 offset1:15
	ds_read2st64_b32 v[6:7], v10 offset1:15
	ds_read2st64_b32 v[8:9], v3 offset0:30 offset1:45
	ds_read2st64_b32 v[10:11], v10 offset0:30 offset1:45
	v_mad_u64_u32 v[2:3], s[16:17], v2, 56, v[38:39]
	s_waitcnt lgkmcnt(2)
	v_cvt_f32_f16_e32 v12, v6
	v_cvt_f32_f16_sdwa v13, v6 dst_sel:DWORD dst_unused:UNUSED_PAD src0_sel:WORD_1
	v_cvt_f32_f16_e32 v6, v7
	v_cvt_f32_f16_sdwa v7, v7 dst_sel:DWORD dst_unused:UNUSED_PAD src0_sel:WORD_1
	v_ashrrev_i32_e32 v3, 31, v2
	v_pk_fma_f32 v[12:13], v[4:5], v[12:13], 0 op_sel_hi:[0,1,0]
	v_mov_b32_e32 v4, v5
	v_pk_fma_f32 v[4:5], v[4:5], v[6:7], v[12:13] op_sel_hi:[0,1,1]
	s_waitcnt lgkmcnt(0)
	v_cvt_f32_f16_e32 v6, v10
	v_cvt_f32_f16_sdwa v7, v10 dst_sel:DWORD dst_unused:UNUSED_PAD src0_sel:WORD_1
	v_lshl_add_u64 v[2:3], v[2:3], 3, s[78:79]
	v_pk_fma_f32 v[4:5], v[8:9], v[6:7], v[4:5] op_sel_hi:[0,1,1]
	v_cvt_f32_f16_e32 v6, v11
	v_cvt_f32_f16_sdwa v7, v11 dst_sel:DWORD dst_unused:UNUSED_PAD src0_sel:WORD_1
	v_mov_b32_e32 v8, v9
	v_pk_fma_f32 v[4:5], v[8:9], v[6:7], v[4:5] op_sel_hi:[0,1,1]
	global_store_dwordx2 v[2:3], v[4:5], off
	v_mov_b32_e32 v2, 0
.LBB19_62:                              ;   in Loop: Header=BB19_12 Depth=1
	s_or_b64 exec, exec, s[12:13]
	v_cmp_gt_i32_e64 s[12:13], s64, v2
	s_mov_b64 s[16:17], -1
	s_and_saveexec_b64 s[98:99], s[12:13]
; %bb.63:                               ;   in Loop: Header=BB19_12 Depth=1
	v_cmp_eq_u32_e64 s[12:13], 0, v2
	s_orn2_b64 s[16:17], s[12:13], exec
; %bb.64:                               ;   in Loop: Header=BB19_12 Depth=1
	s_or_b64 exec, exec, s[98:99]
	s_and_saveexec_b64 s[98:99], s[16:17]
	s_cbranch_execz .LBB19_97
; %bb.65:                               ;   in Loop: Header=BB19_12 Depth=1
	v_add_u32_e32 v3, s11, v175
	v_or_b32_e32 v2, s4, v102
	v_cmp_gt_i32_e64 s[12:13], s20, v3
	v_cmp_gt_i32_e64 s[16:17], s3, v2
	s_and_b64 s[16:17], s[12:13], s[16:17]
	v_mov_b32_e32 v2, 0x47
	s_and_saveexec_b64 s[12:13], s[16:17]
	s_cbranch_execz .LBB19_67
; %bb.66:                               ;   in Loop: Header=BB19_12 Depth=1
	v_mad_u64_u32 v[2:3], s[16:17], v3, s21, v[102:103]
	v_add_u32_e32 v3, 0, v144
	v_add_u32_e32 v3, 0xe0, v3
	;; [unrolled: 1-line block ×3, first 2 shown]
	ds_read2st64_b32 v[4:5], v3 offset1:15
	ds_read2st64_b32 v[6:7], v10 offset1:15
	ds_read2st64_b32 v[8:9], v3 offset0:30 offset1:45
	ds_read2st64_b32 v[10:11], v10 offset0:30 offset1:45
	v_mad_u64_u32 v[2:3], s[16:17], v2, 56, v[38:39]
	s_waitcnt lgkmcnt(2)
	v_cvt_f32_f16_e32 v12, v6
	v_cvt_f32_f16_sdwa v13, v6 dst_sel:DWORD dst_unused:UNUSED_PAD src0_sel:WORD_1
	v_cvt_f32_f16_e32 v6, v7
	v_cvt_f32_f16_sdwa v7, v7 dst_sel:DWORD dst_unused:UNUSED_PAD src0_sel:WORD_1
	v_ashrrev_i32_e32 v3, 31, v2
	v_pk_fma_f32 v[12:13], v[4:5], v[12:13], 0 op_sel_hi:[0,1,0]
	v_mov_b32_e32 v4, v5
	v_pk_fma_f32 v[4:5], v[4:5], v[6:7], v[12:13] op_sel_hi:[0,1,1]
	s_waitcnt lgkmcnt(0)
	v_cvt_f32_f16_e32 v6, v10
	v_cvt_f32_f16_sdwa v7, v10 dst_sel:DWORD dst_unused:UNUSED_PAD src0_sel:WORD_1
	v_lshl_add_u64 v[2:3], v[2:3], 3, s[78:79]
	v_pk_fma_f32 v[4:5], v[8:9], v[6:7], v[4:5] op_sel_hi:[0,1,1]
	v_cvt_f32_f16_e32 v6, v11
	v_cvt_f32_f16_sdwa v7, v11 dst_sel:DWORD dst_unused:UNUSED_PAD src0_sel:WORD_1
	v_mov_b32_e32 v8, v9
	v_pk_fma_f32 v[4:5], v[8:9], v[6:7], v[4:5] op_sel_hi:[0,1,1]
	global_store_dwordx2 v[2:3], v[4:5], off
	v_mov_b32_e32 v2, 0
.LBB19_67:                              ;   in Loop: Header=BB19_12 Depth=1
	s_or_b64 exec, exec, s[12:13]
	v_cmp_gt_i32_e64 s[12:13], s64, v2
	s_mov_b64 s[16:17], -1
	s_and_saveexec_b64 s[60:61], s[12:13]
; %bb.68:                               ;   in Loop: Header=BB19_12 Depth=1
	v_cmp_eq_u32_e64 s[12:13], 0, v2
	s_orn2_b64 s[16:17], s[12:13], exec
; %bb.69:                               ;   in Loop: Header=BB19_12 Depth=1
	s_or_b64 exec, exec, s[60:61]
	s_and_b64 exec, exec, s[16:17]
	s_cbranch_execz .LBB19_97
; %bb.70:                               ;   in Loop: Header=BB19_12 Depth=1
	v_add_u32_e32 v3, s11, v145
	v_cmp_gt_i32_e64 s[12:13], s20, v3
	s_and_b64 s[16:17], s[12:13], vcc
	v_mov_b32_e32 v2, 0x47
	s_and_saveexec_b64 s[12:13], s[16:17]
	s_cbranch_execz .LBB19_72
; %bb.71:                               ;   in Loop: Header=BB19_12 Depth=1
	v_mad_u64_u32 v[2:3], s[16:17], v3, s21, v[100:101]
	v_add_u32_e32 v3, 0, v146
	v_add_u32_e32 v3, 0xe0, v3
	;; [unrolled: 1-line block ×3, first 2 shown]
	ds_read2st64_b32 v[4:5], v3 offset1:15
	ds_read2st64_b32 v[6:7], v10 offset1:15
	ds_read2st64_b32 v[8:9], v3 offset0:30 offset1:45
	ds_read2st64_b32 v[10:11], v10 offset0:30 offset1:45
	v_mad_u64_u32 v[2:3], s[16:17], v2, 56, v[38:39]
	s_waitcnt lgkmcnt(2)
	v_cvt_f32_f16_e32 v12, v6
	v_cvt_f32_f16_sdwa v13, v6 dst_sel:DWORD dst_unused:UNUSED_PAD src0_sel:WORD_1
	v_cvt_f32_f16_e32 v6, v7
	v_cvt_f32_f16_sdwa v7, v7 dst_sel:DWORD dst_unused:UNUSED_PAD src0_sel:WORD_1
	v_ashrrev_i32_e32 v3, 31, v2
	v_pk_fma_f32 v[12:13], v[4:5], v[12:13], 0 op_sel_hi:[0,1,0]
	v_mov_b32_e32 v4, v5
	v_pk_fma_f32 v[4:5], v[4:5], v[6:7], v[12:13] op_sel_hi:[0,1,1]
	s_waitcnt lgkmcnt(0)
	v_cvt_f32_f16_e32 v6, v10
	v_cvt_f32_f16_sdwa v7, v10 dst_sel:DWORD dst_unused:UNUSED_PAD src0_sel:WORD_1
	v_lshl_add_u64 v[2:3], v[2:3], 3, s[78:79]
	v_pk_fma_f32 v[4:5], v[8:9], v[6:7], v[4:5] op_sel_hi:[0,1,1]
	v_cvt_f32_f16_e32 v6, v11
	v_cvt_f32_f16_sdwa v7, v11 dst_sel:DWORD dst_unused:UNUSED_PAD src0_sel:WORD_1
	v_mov_b32_e32 v8, v9
	v_pk_fma_f32 v[4:5], v[8:9], v[6:7], v[4:5] op_sel_hi:[0,1,1]
	global_store_dwordx2 v[2:3], v[4:5], off
	v_mov_b32_e32 v2, 0
.LBB19_72:                              ;   in Loop: Header=BB19_12 Depth=1
	s_or_b64 exec, exec, s[12:13]
	v_cmp_gt_i32_e64 s[12:13], s64, v2
	s_mov_b64 s[16:17], -1
	s_and_saveexec_b64 s[60:61], s[12:13]
; %bb.73:                               ;   in Loop: Header=BB19_12 Depth=1
	v_cmp_eq_u32_e64 s[12:13], 0, v2
	s_orn2_b64 s[16:17], s[12:13], exec
; %bb.74:                               ;   in Loop: Header=BB19_12 Depth=1
	s_or_b64 exec, exec, s[60:61]
	s_and_b64 exec, exec, s[16:17]
	s_cbranch_execz .LBB19_97
; %bb.75:                               ;   in Loop: Header=BB19_12 Depth=1
	v_add_u32_e32 v3, s11, v176
	v_or_b32_e32 v2, s4, v104
	v_cmp_gt_i32_e64 s[12:13], s20, v3
	v_cmp_gt_i32_e64 s[16:17], s3, v2
	s_and_b64 s[16:17], s[12:13], s[16:17]
	v_mov_b32_e32 v2, 0x47
	s_and_saveexec_b64 s[12:13], s[16:17]
	s_cbranch_execz .LBB19_77
; %bb.76:                               ;   in Loop: Header=BB19_12 Depth=1
	v_mad_u64_u32 v[2:3], s[16:17], v3, s21, v[104:105]
	v_add_u32_e32 v3, 0, v147
	v_add_u32_e32 v3, 0xe0, v3
	;; [unrolled: 1-line block ×3, first 2 shown]
	ds_read2st64_b32 v[4:5], v3 offset1:15
	ds_read2st64_b32 v[6:7], v10 offset1:15
	ds_read2st64_b32 v[8:9], v3 offset0:30 offset1:45
	ds_read2st64_b32 v[10:11], v10 offset0:30 offset1:45
	v_mad_u64_u32 v[2:3], s[16:17], v2, 56, v[38:39]
	s_waitcnt lgkmcnt(2)
	v_cvt_f32_f16_e32 v12, v6
	v_cvt_f32_f16_sdwa v13, v6 dst_sel:DWORD dst_unused:UNUSED_PAD src0_sel:WORD_1
	v_cvt_f32_f16_e32 v6, v7
	v_cvt_f32_f16_sdwa v7, v7 dst_sel:DWORD dst_unused:UNUSED_PAD src0_sel:WORD_1
	v_ashrrev_i32_e32 v3, 31, v2
	v_pk_fma_f32 v[12:13], v[4:5], v[12:13], 0 op_sel_hi:[0,1,0]
	v_mov_b32_e32 v4, v5
	v_pk_fma_f32 v[4:5], v[4:5], v[6:7], v[12:13] op_sel_hi:[0,1,1]
	s_waitcnt lgkmcnt(0)
	v_cvt_f32_f16_e32 v6, v10
	v_cvt_f32_f16_sdwa v7, v10 dst_sel:DWORD dst_unused:UNUSED_PAD src0_sel:WORD_1
	v_lshl_add_u64 v[2:3], v[2:3], 3, s[78:79]
	v_pk_fma_f32 v[4:5], v[8:9], v[6:7], v[4:5] op_sel_hi:[0,1,1]
	v_cvt_f32_f16_e32 v6, v11
	v_cvt_f32_f16_sdwa v7, v11 dst_sel:DWORD dst_unused:UNUSED_PAD src0_sel:WORD_1
	v_mov_b32_e32 v8, v9
	v_pk_fma_f32 v[4:5], v[8:9], v[6:7], v[4:5] op_sel_hi:[0,1,1]
	global_store_dwordx2 v[2:3], v[4:5], off
	v_mov_b32_e32 v2, 0
.LBB19_77:                              ;   in Loop: Header=BB19_12 Depth=1
	s_or_b64 exec, exec, s[12:13]
	v_cmp_gt_i32_e64 s[12:13], s64, v2
	s_mov_b64 s[16:17], -1
	s_and_saveexec_b64 s[60:61], s[12:13]
; %bb.78:                               ;   in Loop: Header=BB19_12 Depth=1
	v_cmp_eq_u32_e64 s[12:13], 0, v2
	s_orn2_b64 s[16:17], s[12:13], exec
; %bb.79:                               ;   in Loop: Header=BB19_12 Depth=1
	s_or_b64 exec, exec, s[60:61]
	s_and_b64 exec, exec, s[16:17]
	s_cbranch_execz .LBB19_97
; %bb.80:                               ;   in Loop: Header=BB19_12 Depth=1
	v_add_u32_e32 v3, s11, v148
	v_cmp_gt_i32_e64 s[12:13], s20, v3
	s_and_b64 s[16:17], s[12:13], vcc
	v_mov_b32_e32 v2, 0x47
	s_and_saveexec_b64 s[12:13], s[16:17]
	s_cbranch_execz .LBB19_82
; %bb.81:                               ;   in Loop: Header=BB19_12 Depth=1
	v_mad_u64_u32 v[2:3], s[16:17], v3, s21, v[100:101]
	v_add_u32_e32 v3, 0, v149
	v_add_u32_e32 v3, 0xe0, v3
	;; [unrolled: 1-line block ×3, first 2 shown]
	ds_read2st64_b32 v[4:5], v3 offset1:15
	ds_read2st64_b32 v[6:7], v10 offset1:15
	ds_read2st64_b32 v[8:9], v3 offset0:30 offset1:45
	ds_read2st64_b32 v[10:11], v10 offset0:30 offset1:45
	v_mad_u64_u32 v[2:3], s[16:17], v2, 56, v[38:39]
	s_waitcnt lgkmcnt(2)
	v_cvt_f32_f16_e32 v12, v6
	v_cvt_f32_f16_sdwa v13, v6 dst_sel:DWORD dst_unused:UNUSED_PAD src0_sel:WORD_1
	v_cvt_f32_f16_e32 v6, v7
	v_cvt_f32_f16_sdwa v7, v7 dst_sel:DWORD dst_unused:UNUSED_PAD src0_sel:WORD_1
	v_ashrrev_i32_e32 v3, 31, v2
	v_pk_fma_f32 v[12:13], v[4:5], v[12:13], 0 op_sel_hi:[0,1,0]
	v_mov_b32_e32 v4, v5
	v_pk_fma_f32 v[4:5], v[4:5], v[6:7], v[12:13] op_sel_hi:[0,1,1]
	s_waitcnt lgkmcnt(0)
	v_cvt_f32_f16_e32 v6, v10
	v_cvt_f32_f16_sdwa v7, v10 dst_sel:DWORD dst_unused:UNUSED_PAD src0_sel:WORD_1
	v_lshl_add_u64 v[2:3], v[2:3], 3, s[78:79]
	v_pk_fma_f32 v[4:5], v[8:9], v[6:7], v[4:5] op_sel_hi:[0,1,1]
	v_cvt_f32_f16_e32 v6, v11
	v_cvt_f32_f16_sdwa v7, v11 dst_sel:DWORD dst_unused:UNUSED_PAD src0_sel:WORD_1
	v_mov_b32_e32 v8, v9
	v_pk_fma_f32 v[4:5], v[8:9], v[6:7], v[4:5] op_sel_hi:[0,1,1]
	global_store_dwordx2 v[2:3], v[4:5], off
	v_mov_b32_e32 v2, 0
.LBB19_82:                              ;   in Loop: Header=BB19_12 Depth=1
	s_or_b64 exec, exec, s[12:13]
	v_cmp_gt_i32_e64 s[12:13], s64, v2
	s_mov_b64 s[16:17], -1
	s_and_saveexec_b64 s[60:61], s[12:13]
; %bb.83:                               ;   in Loop: Header=BB19_12 Depth=1
	v_cmp_eq_u32_e64 s[12:13], 0, v2
	s_orn2_b64 s[16:17], s[12:13], exec
; %bb.84:                               ;   in Loop: Header=BB19_12 Depth=1
	s_or_b64 exec, exec, s[60:61]
	s_and_b64 exec, exec, s[16:17]
	s_cbranch_execz .LBB19_97
; %bb.85:                               ;   in Loop: Header=BB19_12 Depth=1
	v_add_u32_e32 v3, s11, v177
	v_or_b32_e32 v2, s4, v106
	v_cmp_gt_i32_e64 s[12:13], s20, v3
	v_cmp_gt_i32_e64 s[16:17], s3, v2
	s_and_b64 s[16:17], s[12:13], s[16:17]
	v_mov_b32_e32 v2, 0x47
	s_and_saveexec_b64 s[12:13], s[16:17]
	s_cbranch_execz .LBB19_87
; %bb.86:                               ;   in Loop: Header=BB19_12 Depth=1
	v_mad_u64_u32 v[2:3], s[16:17], v3, s21, v[106:107]
	v_add_u32_e32 v3, 0, v150
	v_add_u32_e32 v3, 0xe0, v3
	;; [unrolled: 1-line block ×3, first 2 shown]
	ds_read2st64_b32 v[4:5], v3 offset1:15
	ds_read2st64_b32 v[6:7], v10 offset1:15
	ds_read2st64_b32 v[8:9], v3 offset0:30 offset1:45
	ds_read2st64_b32 v[10:11], v10 offset0:30 offset1:45
	v_mad_u64_u32 v[2:3], s[16:17], v2, 56, v[38:39]
	s_waitcnt lgkmcnt(2)
	v_cvt_f32_f16_e32 v12, v6
	v_cvt_f32_f16_sdwa v13, v6 dst_sel:DWORD dst_unused:UNUSED_PAD src0_sel:WORD_1
	v_cvt_f32_f16_e32 v6, v7
	v_cvt_f32_f16_sdwa v7, v7 dst_sel:DWORD dst_unused:UNUSED_PAD src0_sel:WORD_1
	v_ashrrev_i32_e32 v3, 31, v2
	v_pk_fma_f32 v[12:13], v[4:5], v[12:13], 0 op_sel_hi:[0,1,0]
	v_mov_b32_e32 v4, v5
	v_pk_fma_f32 v[4:5], v[4:5], v[6:7], v[12:13] op_sel_hi:[0,1,1]
	s_waitcnt lgkmcnt(0)
	v_cvt_f32_f16_e32 v6, v10
	v_cvt_f32_f16_sdwa v7, v10 dst_sel:DWORD dst_unused:UNUSED_PAD src0_sel:WORD_1
	v_lshl_add_u64 v[2:3], v[2:3], 3, s[78:79]
	v_pk_fma_f32 v[4:5], v[8:9], v[6:7], v[4:5] op_sel_hi:[0,1,1]
	v_cvt_f32_f16_e32 v6, v11
	v_cvt_f32_f16_sdwa v7, v11 dst_sel:DWORD dst_unused:UNUSED_PAD src0_sel:WORD_1
	v_mov_b32_e32 v8, v9
	v_pk_fma_f32 v[4:5], v[8:9], v[6:7], v[4:5] op_sel_hi:[0,1,1]
	global_store_dwordx2 v[2:3], v[4:5], off
	v_mov_b32_e32 v2, 0
.LBB19_87:                              ;   in Loop: Header=BB19_12 Depth=1
	s_or_b64 exec, exec, s[12:13]
	v_cmp_gt_i32_e64 s[12:13], s64, v2
	s_mov_b64 s[16:17], -1
	s_and_saveexec_b64 s[60:61], s[12:13]
; %bb.88:                               ;   in Loop: Header=BB19_12 Depth=1
	v_cmp_eq_u32_e64 s[12:13], 0, v2
	s_orn2_b64 s[16:17], s[12:13], exec
; %bb.89:                               ;   in Loop: Header=BB19_12 Depth=1
	s_or_b64 exec, exec, s[60:61]
	s_and_b64 exec, exec, s[16:17]
	s_cbranch_execz .LBB19_97
; %bb.90:                               ;   in Loop: Header=BB19_12 Depth=1
	v_add_u32_e32 v3, s11, v151
	v_cmp_gt_i32_e64 s[12:13], s20, v3
	s_and_b64 s[16:17], s[12:13], vcc
	v_mov_b32_e32 v2, 0x47
	s_and_saveexec_b64 s[12:13], s[16:17]
	s_cbranch_execz .LBB19_92
; %bb.91:                               ;   in Loop: Header=BB19_12 Depth=1
	v_mad_u64_u32 v[2:3], s[16:17], v3, s21, v[100:101]
	v_add_u32_e32 v3, 0, v152
	v_add_u32_e32 v3, 0xe0, v3
	;; [unrolled: 1-line block ×3, first 2 shown]
	ds_read2st64_b32 v[4:5], v3 offset1:15
	ds_read2st64_b32 v[6:7], v10 offset1:15
	ds_read2st64_b32 v[8:9], v3 offset0:30 offset1:45
	ds_read2st64_b32 v[10:11], v10 offset0:30 offset1:45
	v_mad_u64_u32 v[2:3], s[16:17], v2, 56, v[38:39]
	s_waitcnt lgkmcnt(2)
	v_cvt_f32_f16_e32 v12, v6
	v_cvt_f32_f16_sdwa v13, v6 dst_sel:DWORD dst_unused:UNUSED_PAD src0_sel:WORD_1
	v_cvt_f32_f16_e32 v6, v7
	v_cvt_f32_f16_sdwa v7, v7 dst_sel:DWORD dst_unused:UNUSED_PAD src0_sel:WORD_1
	v_ashrrev_i32_e32 v3, 31, v2
	v_pk_fma_f32 v[12:13], v[4:5], v[12:13], 0 op_sel_hi:[0,1,0]
	v_mov_b32_e32 v4, v5
	v_pk_fma_f32 v[4:5], v[4:5], v[6:7], v[12:13] op_sel_hi:[0,1,1]
	s_waitcnt lgkmcnt(0)
	v_cvt_f32_f16_e32 v6, v10
	v_cvt_f32_f16_sdwa v7, v10 dst_sel:DWORD dst_unused:UNUSED_PAD src0_sel:WORD_1
	v_lshl_add_u64 v[2:3], v[2:3], 3, s[78:79]
	v_pk_fma_f32 v[4:5], v[8:9], v[6:7], v[4:5] op_sel_hi:[0,1,1]
	v_cvt_f32_f16_e32 v6, v11
	v_cvt_f32_f16_sdwa v7, v11 dst_sel:DWORD dst_unused:UNUSED_PAD src0_sel:WORD_1
	v_mov_b32_e32 v8, v9
	v_pk_fma_f32 v[4:5], v[8:9], v[6:7], v[4:5] op_sel_hi:[0,1,1]
	global_store_dwordx2 v[2:3], v[4:5], off
	v_mov_b32_e32 v2, 0
.LBB19_92:                              ;   in Loop: Header=BB19_12 Depth=1
	s_or_b64 exec, exec, s[12:13]
	v_cmp_gt_i32_e32 vcc, s64, v2
	s_mov_b64 s[12:13], -1
	s_and_saveexec_b64 s[16:17], vcc
; %bb.93:                               ;   in Loop: Header=BB19_12 Depth=1
	v_cmp_eq_u32_e32 vcc, 0, v2
	s_orn2_b64 s[12:13], vcc, exec
; %bb.94:                               ;   in Loop: Header=BB19_12 Depth=1
	s_or_b64 exec, exec, s[16:17]
	s_and_b64 exec, exec, s[12:13]
	s_cbranch_execz .LBB19_97
; %bb.95:                               ;   in Loop: Header=BB19_12 Depth=1
	v_add_u32_e32 v2, s11, v178
	v_or_b32_e32 v3, s4, v108
	v_cmp_gt_i32_e32 vcc, s20, v2
	v_cmp_gt_i32_e64 s[12:13], s3, v3
	s_and_b64 s[12:13], vcc, s[12:13]
	s_and_b64 exec, exec, s[12:13]
	s_cbranch_execz .LBB19_97
; %bb.96:                               ;   in Loop: Header=BB19_12 Depth=1
	v_mad_u64_u32 v[2:3], s[12:13], v2, s21, v[108:109]
	v_add_u32_e32 v3, 0, v153
	v_add_u32_e32 v3, 0xe0, v3
	;; [unrolled: 1-line block ×3, first 2 shown]
	ds_read2st64_b32 v[4:5], v3 offset1:15
	ds_read2st64_b32 v[6:7], v10 offset1:15
	ds_read2st64_b32 v[8:9], v3 offset0:30 offset1:45
	ds_read2st64_b32 v[10:11], v10 offset0:30 offset1:45
	v_mad_u64_u32 v[2:3], s[12:13], v2, 56, v[38:39]
	s_waitcnt lgkmcnt(2)
	v_cvt_f32_f16_e32 v12, v6
	v_cvt_f32_f16_sdwa v13, v6 dst_sel:DWORD dst_unused:UNUSED_PAD src0_sel:WORD_1
	v_cvt_f32_f16_e32 v6, v7
	v_cvt_f32_f16_sdwa v7, v7 dst_sel:DWORD dst_unused:UNUSED_PAD src0_sel:WORD_1
	v_ashrrev_i32_e32 v3, 31, v2
	v_pk_fma_f32 v[12:13], v[4:5], v[12:13], 0 op_sel_hi:[0,1,0]
	v_mov_b32_e32 v4, v5
	v_pk_fma_f32 v[4:5], v[4:5], v[6:7], v[12:13] op_sel_hi:[0,1,1]
	s_waitcnt lgkmcnt(0)
	v_cvt_f32_f16_e32 v6, v10
	v_cvt_f32_f16_sdwa v7, v10 dst_sel:DWORD dst_unused:UNUSED_PAD src0_sel:WORD_1
	v_lshl_add_u64 v[2:3], v[2:3], 3, s[78:79]
	v_pk_fma_f32 v[4:5], v[8:9], v[6:7], v[4:5] op_sel_hi:[0,1,1]
	v_cvt_f32_f16_e32 v6, v11
	v_cvt_f32_f16_sdwa v7, v11 dst_sel:DWORD dst_unused:UNUSED_PAD src0_sel:WORD_1
	v_mov_b32_e32 v8, v9
	v_pk_fma_f32 v[4:5], v[8:9], v[6:7], v[4:5] op_sel_hi:[0,1,1]
	global_store_dwordx2 v[2:3], v[4:5], off
.LBB19_97:                              ;   in Loop: Header=BB19_12 Depth=1
	s_or_b64 exec, exec, s[98:99]
	v_add_u32_e32 v3, s11, v171
	v_or_b32_e32 v2, s4, v98
	v_cmp_gt_i32_e64 s[12:13], s20, v3
	v_cmp_gt_i32_e32 vcc, s3, v2
	s_and_b64 s[16:17], s[12:13], vcc
	v_mov_b32_e32 v2, 0x47
	s_and_saveexec_b64 s[12:13], s[16:17]
	s_cbranch_execz .LBB19_99
; %bb.98:                               ;   in Loop: Header=BB19_12 Depth=1
	v_mad_u64_u32 v[2:3], s[16:17], v3, s21, v[98:99]
	v_add_u32_e32 v3, 0, v154
	v_add_u32_e32 v6, v135, v154
	;; [unrolled: 1-line block ×4, first 2 shown]
	ds_read2st64_b32 v[4:5], v3 offset1:15
	ds_read2st64_b32 v[6:7], v10 offset1:15
	ds_read2st64_b32 v[8:9], v3 offset0:30 offset1:45
	ds_read2st64_b32 v[10:11], v10 offset0:30 offset1:45
	v_mul_lo_u32 v2, v2, 56
	v_ashrrev_i32_e32 v3, 31, v2
	s_waitcnt lgkmcnt(2)
	v_cvt_f32_f16_e32 v12, v6
	v_cvt_f32_f16_sdwa v13, v6 dst_sel:DWORD dst_unused:UNUSED_PAD src0_sel:WORD_1
	v_cvt_f32_f16_e32 v6, v7
	v_cvt_f32_f16_sdwa v7, v7 dst_sel:DWORD dst_unused:UNUSED_PAD src0_sel:WORD_1
	v_lshl_add_u64 v[2:3], v[2:3], 0, v[40:41]
	v_pk_fma_f32 v[12:13], v[4:5], v[12:13], 0 op_sel_hi:[0,1,0]
	v_mov_b32_e32 v4, v5
	v_pk_fma_f32 v[4:5], v[4:5], v[6:7], v[12:13] op_sel_hi:[0,1,1]
	s_waitcnt lgkmcnt(0)
	v_cvt_f32_f16_e32 v6, v10
	v_cvt_f32_f16_sdwa v7, v10 dst_sel:DWORD dst_unused:UNUSED_PAD src0_sel:WORD_1
	v_lshl_add_u64 v[2:3], v[2:3], 3, s[78:79]
	v_pk_fma_f32 v[4:5], v[8:9], v[6:7], v[4:5] op_sel_hi:[0,1,1]
	v_cvt_f32_f16_e32 v6, v11
	v_cvt_f32_f16_sdwa v7, v11 dst_sel:DWORD dst_unused:UNUSED_PAD src0_sel:WORD_1
	v_mov_b32_e32 v8, v9
	v_pk_fma_f32 v[4:5], v[8:9], v[6:7], v[4:5] op_sel_hi:[0,1,1]
	global_store_dwordx2 v[2:3], v[4:5], off offset:256
	v_mov_b32_e32 v2, 0
.LBB19_99:                              ;   in Loop: Header=BB19_12 Depth=1
	s_or_b64 exec, exec, s[12:13]
	v_cmp_gt_i32_e64 s[12:13], s64, v2
	s_mov_b64 s[98:99], -1
	s_and_saveexec_b64 s[16:17], s[12:13]
; %bb.100:                              ;   in Loop: Header=BB19_12 Depth=1
	v_cmp_eq_u32_e64 s[12:13], 0, v2
	s_orn2_b64 s[98:99], s[12:13], exec
; %bb.101:                              ;   in Loop: Header=BB19_12 Depth=1
	s_or_b64 exec, exec, s[16:17]
	s_and_saveexec_b64 s[16:17], s[98:99]
	s_cbranch_execz .LBB19_114
; %bb.102:                              ;   in Loop: Header=BB19_12 Depth=1
	v_add_u32_e32 v3, s11, v155
	v_cmp_gt_i32_e64 s[12:13], s20, v3
	s_and_b64 s[60:61], s[12:13], vcc
	v_mov_b32_e32 v2, 0x47
	s_and_saveexec_b64 s[12:13], s[60:61]
	s_cbranch_execz .LBB19_104
; %bb.103:                              ;   in Loop: Header=BB19_12 Depth=1
	v_mad_u64_u32 v[2:3], s[60:61], v3, s21, v[98:99]
	v_add_u32_e32 v3, 0, v156
	v_add_u32_e32 v6, v135, v156
	;; [unrolled: 1-line block ×4, first 2 shown]
	ds_read2st64_b32 v[4:5], v3 offset1:15
	ds_read2st64_b32 v[6:7], v10 offset1:15
	ds_read2st64_b32 v[8:9], v3 offset0:30 offset1:45
	ds_read2st64_b32 v[10:11], v10 offset0:30 offset1:45
	v_mul_lo_u32 v2, v2, 56
	v_ashrrev_i32_e32 v3, 31, v2
	s_waitcnt lgkmcnt(2)
	v_cvt_f32_f16_e32 v12, v6
	v_cvt_f32_f16_sdwa v13, v6 dst_sel:DWORD dst_unused:UNUSED_PAD src0_sel:WORD_1
	v_cvt_f32_f16_e32 v6, v7
	v_cvt_f32_f16_sdwa v7, v7 dst_sel:DWORD dst_unused:UNUSED_PAD src0_sel:WORD_1
	v_lshl_add_u64 v[2:3], v[2:3], 0, v[40:41]
	v_pk_fma_f32 v[12:13], v[4:5], v[12:13], 0 op_sel_hi:[0,1,0]
	v_mov_b32_e32 v4, v5
	v_pk_fma_f32 v[4:5], v[4:5], v[6:7], v[12:13] op_sel_hi:[0,1,1]
	s_waitcnt lgkmcnt(0)
	v_cvt_f32_f16_e32 v6, v10
	v_cvt_f32_f16_sdwa v7, v10 dst_sel:DWORD dst_unused:UNUSED_PAD src0_sel:WORD_1
	v_lshl_add_u64 v[2:3], v[2:3], 3, s[78:79]
	v_pk_fma_f32 v[4:5], v[8:9], v[6:7], v[4:5] op_sel_hi:[0,1,1]
	v_cvt_f32_f16_e32 v6, v11
	v_cvt_f32_f16_sdwa v7, v11 dst_sel:DWORD dst_unused:UNUSED_PAD src0_sel:WORD_1
	v_mov_b32_e32 v8, v9
	v_pk_fma_f32 v[4:5], v[8:9], v[6:7], v[4:5] op_sel_hi:[0,1,1]
	global_store_dwordx2 v[2:3], v[4:5], off offset:256
	v_mov_b32_e32 v2, 0
.LBB19_104:                             ;   in Loop: Header=BB19_12 Depth=1
	s_or_b64 exec, exec, s[12:13]
	v_cmp_gt_i32_e64 s[12:13], s64, v2
	s_mov_b64 s[98:99], -1
	s_and_saveexec_b64 s[60:61], s[12:13]
; %bb.105:                              ;   in Loop: Header=BB19_12 Depth=1
	v_cmp_eq_u32_e64 s[12:13], 0, v2
	s_orn2_b64 s[98:99], s[12:13], exec
; %bb.106:                              ;   in Loop: Header=BB19_12 Depth=1
	s_or_b64 exec, exec, s[60:61]
	s_and_b64 exec, exec, s[98:99]
	s_cbranch_execz .LBB19_114
; %bb.107:                              ;   in Loop: Header=BB19_12 Depth=1
	v_add_u32_e32 v3, s11, v157
	v_cmp_gt_i32_e64 s[12:13], s20, v3
	s_and_b64 s[60:61], s[12:13], vcc
	v_mov_b32_e32 v2, 0x47
	s_and_saveexec_b64 s[12:13], s[60:61]
	s_cbranch_execz .LBB19_109
; %bb.108:                              ;   in Loop: Header=BB19_12 Depth=1
	v_mad_u64_u32 v[2:3], s[60:61], v3, s21, v[98:99]
	v_add_u32_e32 v3, 0, v158
	v_add_u32_e32 v6, v135, v158
	;; [unrolled: 1-line block ×4, first 2 shown]
	ds_read2st64_b32 v[4:5], v3 offset1:15
	ds_read2st64_b32 v[6:7], v10 offset1:15
	ds_read2st64_b32 v[8:9], v3 offset0:30 offset1:45
	ds_read2st64_b32 v[10:11], v10 offset0:30 offset1:45
	v_mul_lo_u32 v2, v2, 56
	v_ashrrev_i32_e32 v3, 31, v2
	s_waitcnt lgkmcnt(2)
	v_cvt_f32_f16_e32 v12, v6
	v_cvt_f32_f16_sdwa v13, v6 dst_sel:DWORD dst_unused:UNUSED_PAD src0_sel:WORD_1
	v_cvt_f32_f16_e32 v6, v7
	v_cvt_f32_f16_sdwa v7, v7 dst_sel:DWORD dst_unused:UNUSED_PAD src0_sel:WORD_1
	v_lshl_add_u64 v[2:3], v[2:3], 0, v[40:41]
	v_pk_fma_f32 v[12:13], v[4:5], v[12:13], 0 op_sel_hi:[0,1,0]
	v_mov_b32_e32 v4, v5
	v_pk_fma_f32 v[4:5], v[4:5], v[6:7], v[12:13] op_sel_hi:[0,1,1]
	s_waitcnt lgkmcnt(0)
	v_cvt_f32_f16_e32 v6, v10
	v_cvt_f32_f16_sdwa v7, v10 dst_sel:DWORD dst_unused:UNUSED_PAD src0_sel:WORD_1
	v_lshl_add_u64 v[2:3], v[2:3], 3, s[78:79]
	v_pk_fma_f32 v[4:5], v[8:9], v[6:7], v[4:5] op_sel_hi:[0,1,1]
	v_cvt_f32_f16_e32 v6, v11
	v_cvt_f32_f16_sdwa v7, v11 dst_sel:DWORD dst_unused:UNUSED_PAD src0_sel:WORD_1
	v_mov_b32_e32 v8, v9
	v_pk_fma_f32 v[4:5], v[8:9], v[6:7], v[4:5] op_sel_hi:[0,1,1]
	global_store_dwordx2 v[2:3], v[4:5], off offset:256
	v_mov_b32_e32 v2, 0
.LBB19_109:                             ;   in Loop: Header=BB19_12 Depth=1
	s_or_b64 exec, exec, s[12:13]
	v_cmp_gt_i32_e64 s[12:13], s64, v2
	s_mov_b64 s[98:99], -1
	s_and_saveexec_b64 s[60:61], s[12:13]
; %bb.110:                              ;   in Loop: Header=BB19_12 Depth=1
	v_cmp_eq_u32_e64 s[12:13], 0, v2
	s_orn2_b64 s[98:99], s[12:13], exec
; %bb.111:                              ;   in Loop: Header=BB19_12 Depth=1
	s_or_b64 exec, exec, s[60:61]
	s_and_b64 exec, exec, s[98:99]
	s_cbranch_execz .LBB19_114
; %bb.112:                              ;   in Loop: Header=BB19_12 Depth=1
	v_add_u32_e32 v2, s11, v159
	v_cmp_gt_i32_e64 s[12:13], s20, v2
	s_and_b64 s[12:13], s[12:13], vcc
	s_and_b64 exec, exec, s[12:13]
	s_cbranch_execz .LBB19_114
; %bb.113:                              ;   in Loop: Header=BB19_12 Depth=1
	v_mad_u64_u32 v[2:3], s[12:13], v2, s21, v[98:99]
	v_add_u32_e32 v3, 0, v160
	v_add_u32_e32 v6, v135, v160
	;; [unrolled: 1-line block ×4, first 2 shown]
	ds_read2st64_b32 v[4:5], v3 offset1:15
	ds_read2st64_b32 v[6:7], v10 offset1:15
	ds_read2st64_b32 v[8:9], v3 offset0:30 offset1:45
	ds_read2st64_b32 v[10:11], v10 offset0:30 offset1:45
	v_mul_lo_u32 v2, v2, 56
	v_ashrrev_i32_e32 v3, 31, v2
	s_waitcnt lgkmcnt(2)
	v_cvt_f32_f16_e32 v12, v6
	v_cvt_f32_f16_sdwa v13, v6 dst_sel:DWORD dst_unused:UNUSED_PAD src0_sel:WORD_1
	v_cvt_f32_f16_e32 v6, v7
	v_cvt_f32_f16_sdwa v7, v7 dst_sel:DWORD dst_unused:UNUSED_PAD src0_sel:WORD_1
	v_lshl_add_u64 v[2:3], v[2:3], 0, v[40:41]
	v_pk_fma_f32 v[12:13], v[4:5], v[12:13], 0 op_sel_hi:[0,1,0]
	v_mov_b32_e32 v4, v5
	v_pk_fma_f32 v[4:5], v[4:5], v[6:7], v[12:13] op_sel_hi:[0,1,1]
	s_waitcnt lgkmcnt(0)
	v_cvt_f32_f16_e32 v6, v10
	v_cvt_f32_f16_sdwa v7, v10 dst_sel:DWORD dst_unused:UNUSED_PAD src0_sel:WORD_1
	v_lshl_add_u64 v[2:3], v[2:3], 3, s[78:79]
	v_pk_fma_f32 v[4:5], v[8:9], v[6:7], v[4:5] op_sel_hi:[0,1,1]
	v_cvt_f32_f16_e32 v6, v11
	v_cvt_f32_f16_sdwa v7, v11 dst_sel:DWORD dst_unused:UNUSED_PAD src0_sel:WORD_1
	v_mov_b32_e32 v8, v9
	v_pk_fma_f32 v[4:5], v[8:9], v[6:7], v[4:5] op_sel_hi:[0,1,1]
	global_store_dwordx2 v[2:3], v[4:5], off offset:256
.LBB19_114:                             ;   in Loop: Header=BB19_12 Depth=1
	s_or_b64 exec, exec, s[16:17]
	v_or_b32_e32 v2, s4, v94
	v_add_u32_e32 v3, s11, v161
	v_cmp_gt_i32_e32 vcc, s3, v2
	v_cmp_gt_i32_e64 s[12:13], s20, v3
	s_and_b64 s[16:17], s[12:13], vcc
	v_mov_b32_e32 v2, 0x47
	s_and_saveexec_b64 s[12:13], s[16:17]
	s_cbranch_execz .LBB19_116
; %bb.115:                              ;   in Loop: Header=BB19_12 Depth=1
	v_mad_u64_u32 v[2:3], s[16:17], v3, s21, v[94:95]
	v_mul_lo_u32 v10, v2, 56
	v_add_u32_e32 v2, 0, v162
	v_add_u32_e32 v4, v141, v162
	;; [unrolled: 1-line block ×4, first 2 shown]
	ds_read2st64_b32 v[2:3], v6 offset1:15
	ds_read2st64_b32 v[4:5], v8 offset1:15
	ds_read2st64_b32 v[6:7], v6 offset0:30 offset1:45
	ds_read2st64_b32 v[8:9], v8 offset0:30 offset1:45
	v_ashrrev_i32_e32 v11, 31, v10
	v_or_b32_e32 v10, v10, v54
	s_waitcnt lgkmcnt(2)
	v_cvt_f32_f16_e32 v12, v4
	v_cvt_f32_f16_sdwa v13, v4 dst_sel:DWORD dst_unused:UNUSED_PAD src0_sel:WORD_1
	v_cvt_f32_f16_e32 v4, v5
	v_cvt_f32_f16_sdwa v5, v5 dst_sel:DWORD dst_unused:UNUSED_PAD src0_sel:WORD_1
	v_lshl_add_u64 v[10:11], v[10:11], 3, s[78:79]
	v_pk_fma_f32 v[12:13], v[2:3], v[12:13], 0 op_sel_hi:[0,1,0]
	v_mov_b32_e32 v2, v3
	v_pk_fma_f32 v[2:3], v[2:3], v[4:5], v[12:13] op_sel_hi:[0,1,1]
	s_waitcnt lgkmcnt(0)
	v_cvt_f32_f16_e32 v4, v8
	v_cvt_f32_f16_sdwa v5, v8 dst_sel:DWORD dst_unused:UNUSED_PAD src0_sel:WORD_1
	v_pk_fma_f32 v[2:3], v[6:7], v[4:5], v[2:3] op_sel_hi:[0,1,1]
	v_cvt_f32_f16_e32 v4, v9
	v_cvt_f32_f16_sdwa v5, v9 dst_sel:DWORD dst_unused:UNUSED_PAD src0_sel:WORD_1
	v_mov_b32_e32 v6, v7
	v_pk_fma_f32 v[2:3], v[6:7], v[4:5], v[2:3] op_sel_hi:[0,1,1]
	global_store_dwordx2 v[10:11], v[2:3], off offset:384
	v_mov_b32_e32 v2, 0
.LBB19_116:                             ;   in Loop: Header=BB19_12 Depth=1
	s_or_b64 exec, exec, s[12:13]
	v_cmp_gt_i32_e64 s[12:13], s64, v2
	s_mov_b64 s[16:17], -1
	s_and_saveexec_b64 s[60:61], s[12:13]
; %bb.117:                              ;   in Loop: Header=BB19_12 Depth=1
	v_cmp_eq_u32_e64 s[12:13], 0, v2
	s_orn2_b64 s[16:17], s[12:13], exec
; %bb.118:                              ;   in Loop: Header=BB19_12 Depth=1
	s_or_b64 exec, exec, s[60:61]
	s_and_b64 exec, exec, s[16:17]
	s_cbranch_execz .LBB19_121
; %bb.119:                              ;   in Loop: Header=BB19_12 Depth=1
	v_add_u32_e32 v2, s11, v163
	v_cmp_gt_i32_e64 s[12:13], s20, v2
	s_and_b64 s[12:13], s[12:13], vcc
	s_and_b64 exec, exec, s[12:13]
	s_cbranch_execz .LBB19_121
; %bb.120:                              ;   in Loop: Header=BB19_12 Depth=1
	v_mad_u64_u32 v[2:3], s[12:13], v2, s21, v[94:95]
	v_mul_lo_u32 v10, v2, 56
	v_add_u32_e32 v2, 0, v164
	v_add_u32_e32 v4, v141, v164
	v_add_u32_e32 v6, 0xe0, v2
	v_add_u32_e32 v8, 0xc0, v4
	ds_read2st64_b32 v[2:3], v6 offset1:15
	ds_read2st64_b32 v[4:5], v8 offset1:15
	ds_read2st64_b32 v[6:7], v6 offset0:30 offset1:45
	ds_read2st64_b32 v[8:9], v8 offset0:30 offset1:45
	v_ashrrev_i32_e32 v11, 31, v10
	v_or_b32_e32 v10, v10, v54
	s_waitcnt lgkmcnt(2)
	v_cvt_f32_f16_e32 v12, v4
	v_cvt_f32_f16_sdwa v13, v4 dst_sel:DWORD dst_unused:UNUSED_PAD src0_sel:WORD_1
	v_cvt_f32_f16_e32 v4, v5
	v_cvt_f32_f16_sdwa v5, v5 dst_sel:DWORD dst_unused:UNUSED_PAD src0_sel:WORD_1
	v_lshl_add_u64 v[10:11], v[10:11], 3, s[78:79]
	v_pk_fma_f32 v[12:13], v[2:3], v[12:13], 0 op_sel_hi:[0,1,0]
	v_mov_b32_e32 v2, v3
	v_pk_fma_f32 v[2:3], v[2:3], v[4:5], v[12:13] op_sel_hi:[0,1,1]
	s_waitcnt lgkmcnt(0)
	v_cvt_f32_f16_e32 v4, v8
	v_cvt_f32_f16_sdwa v5, v8 dst_sel:DWORD dst_unused:UNUSED_PAD src0_sel:WORD_1
	v_pk_fma_f32 v[2:3], v[6:7], v[4:5], v[2:3] op_sel_hi:[0,1,1]
	v_cvt_f32_f16_e32 v4, v9
	v_cvt_f32_f16_sdwa v5, v9 dst_sel:DWORD dst_unused:UNUSED_PAD src0_sel:WORD_1
	v_mov_b32_e32 v6, v7
	v_pk_fma_f32 v[2:3], v[6:7], v[4:5], v[2:3] op_sel_hi:[0,1,1]
	global_store_dwordx2 v[10:11], v[2:3], off offset:384
.LBB19_121:                             ;   in Loop: Header=BB19_12 Depth=1
	s_or_b64 exec, exec, s[96:97]
	s_barrier
	s_branch .LBB19_11
.LBB19_122:                             ;   in Loop: Header=BB19_12 Depth=1
	s_lshl_b32 s60, s10, 2
	v_add_u32_e32 v2, s60, v172
	v_cmp_le_i32_e64 s[12:13], s3, v20
	v_cmp_le_i32_e64 s[16:17], s20, v2
	v_cmp_gt_i32_e32 vcc, s3, v20
	s_or_b64 s[10:11], s[16:17], s[12:13]
	s_and_saveexec_b64 s[12:13], s[10:11]
	s_xor_b64 s[12:13], exec, s[12:13]
; %bb.123:                              ;   in Loop: Header=BB19_12 Depth=1
	v_add_u32_e32 v2, v165, v173
	ds_write_b32 v2, v49
                                        ; implicit-def: $vgpr2
; %bb.124:                              ;   in Loop: Header=BB19_12 Depth=1
	s_andn2_saveexec_b64 s[12:13], s[12:13]
	s_cbranch_execz .LBB19_126
; %bb.125:                              ;   in Loop: Header=BB19_12 Depth=1
	v_mad_u64_u32 v[2:3], s[10:11], v2, s59, v[110:111]
	v_ashrrev_i32_e32 v3, 31, v2
	v_lshl_add_u64 v[2:3], v[2:3], 3, s[90:91]
	global_load_dwordx2 v[2:3], v[2:3], off
	s_waitcnt vmcnt(0)
	v_cvt_pk_f16_f32 v2, v2, v3
	v_pk_mul_f16 v2, v2, v167
	v_add_u32_e32 v3, v165, v173
	ds_write_b32 v3, v2
.LBB19_126:                             ;   in Loop: Header=BB19_12 Depth=1
	s_or_b64 exec, exec, s[12:13]
	v_add_u32_e32 v2, s60, v142
	v_cmp_le_i32_e64 s[12:13], s20, v2
	s_xor_b64 s[10:11], vcc, -1
	s_or_b64 s[10:11], s[12:13], s[10:11]
	s_and_saveexec_b64 s[12:13], s[10:11]
	s_xor_b64 s[12:13], exec, s[12:13]
; %bb.127:                              ;   in Loop: Header=BB19_12 Depth=1
	v_add_u32_e32 v2, v165, v173
	ds_write_b32 v2, v49 offset:1920
                                        ; implicit-def: $vgpr2
; %bb.128:                              ;   in Loop: Header=BB19_12 Depth=1
	s_andn2_saveexec_b64 s[12:13], s[12:13]
	s_cbranch_execz .LBB19_130
; %bb.129:                              ;   in Loop: Header=BB19_12 Depth=1
	v_mad_u64_u32 v[2:3], s[10:11], v2, s59, v[110:111]
	v_ashrrev_i32_e32 v3, 31, v2
	v_lshl_add_u64 v[2:3], v[2:3], 3, s[90:91]
	global_load_dwordx2 v[2:3], v[2:3], off
	s_waitcnt vmcnt(0)
	v_cvt_pk_f16_f32 v2, v2, v3
	v_pk_mul_f16 v2, v2, v167
	v_add_u32_e32 v3, v165, v173
	ds_write_b32 v3, v2 offset:1920
.LBB19_130:                             ;   in Loop: Header=BB19_12 Depth=1
	s_or_b64 exec, exec, s[12:13]
	v_add_u32_e32 v2, s60, v134
	v_or_b32_e32 v3, s4, v169
	v_cmp_le_i32_e32 vcc, s20, v2
	v_cmp_le_i32_e64 s[12:13], s3, v3
	s_or_b64 s[10:11], vcc, s[12:13]
	s_and_saveexec_b64 s[12:13], s[10:11]
	s_xor_b64 s[12:13], exec, s[12:13]
; %bb.131:                              ;   in Loop: Header=BB19_12 Depth=1
	ds_write_b32 v136, v49 offset:128
                                        ; implicit-def: $vgpr2
; %bb.132:                              ;   in Loop: Header=BB19_12 Depth=1
	s_andn2_saveexec_b64 s[12:13], s[12:13]
	s_cbranch_execz .LBB19_134
; %bb.133:                              ;   in Loop: Header=BB19_12 Depth=1
	v_mad_u64_u32 v[2:3], s[10:11], v2, s59, v[92:93]
	v_ashrrev_i32_e32 v3, 31, v2
	v_lshl_add_u64 v[2:3], v[2:3], 3, s[90:91]
	global_load_dwordx2 v[2:3], v[2:3], off
	s_waitcnt vmcnt(0)
	v_cvt_pk_f16_f32 v2, v2, v3
	v_pk_mul_f16 v2, v2, v167
	ds_write_b32 v136, v2 offset:128
.LBB19_134:                             ;   in Loop: Header=BB19_12 Depth=1
	s_or_b64 exec, exec, s[12:13]
	s_mov_b64 s[16:17], exec
	v_readlane_b32 s10, v194, 17
	v_readlane_b32 s11, v194, 18
	s_and_b64 s[10:11], s[16:17], s[10:11]
	s_mov_b64 exec, s[10:11]
	s_cbranch_execz .LBB19_139
; %bb.135:                              ;   in Loop: Header=BB19_12 Depth=1
	v_or_b32_e32 v2, s60, v139
	v_or_b32_e32 v3, s4, v94
	v_cmp_le_i32_e32 vcc, s20, v2
	v_cmp_le_i32_e64 s[12:13], s3, v3
	s_or_b64 s[10:11], vcc, s[12:13]
	s_and_saveexec_b64 s[12:13], s[10:11]
	s_xor_b64 s[12:13], exec, s[12:13]
; %bb.136:                              ;   in Loop: Header=BB19_12 Depth=1
	ds_write_b32 v137, v49 offset:192
                                        ; implicit-def: $vgpr2
; %bb.137:                              ;   in Loop: Header=BB19_12 Depth=1
	s_andn2_saveexec_b64 s[10:11], s[12:13]
	s_cbranch_execz .LBB19_139
; %bb.138:                              ;   in Loop: Header=BB19_12 Depth=1
	v_mad_u64_u32 v[2:3], s[10:11], v2, s59, v[96:97]
	v_ashrrev_i32_e32 v3, 31, v2
	v_lshl_add_u64 v[2:3], v[2:3], 3, s[90:91]
	global_load_dwordx2 v[2:3], v[2:3], off
	s_waitcnt vmcnt(0)
	v_cvt_pk_f16_f32 v2, v2, v3
	v_pk_mul_f16 v2, v2, v167
	ds_write_b32 v137, v2 offset:192
.LBB19_139:                             ;   in Loop: Header=BB19_12 Depth=1
	s_or_b64 exec, exec, s[16:17]
	s_waitcnt lgkmcnt(0)
	s_barrier
	ds_read2_b64 v[10:13], v77 offset1:4
	ds_read2_b64 v[6:9], v77 offset0:8 offset1:12
	ds_read2_b64 v[2:5], v77 offset0:16 offset1:20
	ds_read_b64 v[112:113], v77 offset:192
	s_cmp_lt_i32 s15, 2
	s_waitcnt lgkmcnt(0)
	s_barrier
	s_cbranch_scc1 .LBB19_148
; %bb.140:                              ;   in Loop: Header=BB19_12 Depth=1
	v_add_u32_e32 v14, s60, v57
	v_mul_hi_u32 v15, s28, v14
	v_add_u32_e32 v15, v14, v15
	v_lshrrev_b32_e32 v15, s29, v15
	v_mul_lo_u32 v15, v15, s20
	v_sub_u32_e32 v16, v14, v15
	v_and_b32_e32 v14, 64, v166
	v_add_u32_e32 v14, 64, v14
	v_xor_b32_e32 v15, 32, v166
	v_cmp_lt_i32_e32 vcc, v15, v14
	v_readlane_b32 s12, v194, 30
	v_readlane_b32 s13, v194, 31
	v_cndmask_b32_e32 v15, v166, v15, vcc
	v_lshlrev_b32_e32 v48, 2, v15
	v_xor_b32_e32 v15, 16, v166
	v_cmp_lt_i32_e32 vcc, v15, v14
	s_add_i32 s10, s15, -1
	v_lshl_add_u64 v[116:117], v[74:75], 0, s[94:95]
	v_cndmask_b32_e32 v14, v166, v15, vcc
	v_lshlrev_b32_e32 v181, 2, v14
	v_mov_b64_e32 v[14:15], s[92:93]
	v_mad_i64_i32 v[14:15], s[12:13], s12, v16, v[14:15]
	v_lshl_add_u64 v[114:115], v[72:73], 0, v[14:15]
	v_lshl_add_u64 v[118:119], v[78:79], 0, s[94:95]
	;; [unrolled: 1-line block ×8, first 2 shown]
	v_mov_b32_e32 v34, 0
	v_mov_b32_e32 v15, 0xfeffffff
	;; [unrolled: 1-line block ×3, first 2 shown]
	s_mov_b32 s11, s10
	v_mov_b32_e32 v35, 0
	v_mov_b32_e32 v31, 0
	;; [unrolled: 1-line block ×13, first 2 shown]
	s_and_saveexec_b64 s[12:13], s[6:7]
	s_cbranch_execz .LBB19_142
.LBB19_141:                             ;   in Loop: Header=BB19_12 Depth=1
	global_load_dword v20, v[114:115], off
	s_waitcnt vmcnt(0)
	ds_write_b32 v93, v20 offset:15360
.LBB19_142:                             ;   Parent Loop BB19_12 Depth=1
                                        ; =>  This Inner Loop Header: Depth=2
	s_or_b64 exec, exec, s[12:13]
	s_and_saveexec_b64 s[12:13], s[8:9]
	s_cbranch_execz .LBB19_144
; %bb.143:                              ;   in Loop: Header=BB19_142 Depth=2
	v_lshl_add_u64 v[20:21], v[130:131], 0, s[84:85]
	global_load_dwordx4 v[20:23], v[20:21], off
	s_waitcnt vmcnt(0)
	ds_write_b128 v99, v[20:23]
.LBB19_144:                             ;   in Loop: Header=BB19_142 Depth=2
	s_or_b64 exec, exec, s[12:13]
	v_lshl_add_u64 v[20:21], v[124:125], 0, s[84:85]
	global_load_dwordx4 v[20:23], v[20:21], off
	v_lshl_add_u64 v[32:33], v[126:127], 0, s[84:85]
	v_lshl_add_u64 v[36:37], v[128:129], 0, s[84:85]
	s_waitcnt vmcnt(0)
	ds_write_b128 v95, v[20:23]
	global_load_dwordx4 v[20:23], v[32:33], off
	s_waitcnt vmcnt(0)
	ds_write_b128 v138, v[20:23]
	global_load_dwordx4 v[20:23], v[36:37], off
	s_waitcnt vmcnt(0)
	ds_write_b128 v170, v[20:23]
	s_waitcnt lgkmcnt(0)
	s_barrier
	ds_read2_b64 v[20:23], v97 offset1:4
	ds_read_b64 v[32:33], v97 offset:192
	s_waitcnt lgkmcnt(1)
	v_mfma_f32_16x16x16_f16 v[182:185], v[20:21], v[10:11], 0
	v_mfma_f32_16x16x16_f16 v[20:23], v[22:23], v[12:13], v[182:185]
	s_nop 6
	ds_read2_b64 v[182:185], v97 offset0:8 offset1:12
	s_waitcnt lgkmcnt(0)
	v_mfma_f32_16x16x16_f16 v[20:23], v[182:183], v[6:7], v[20:23]
	v_mfma_f32_16x16x16_f16 v[20:23], v[184:185], v[8:9], v[20:23]
	ds_read2_b64 v[182:185], v97 offset0:16 offset1:20
	s_waitcnt lgkmcnt(0)
	s_barrier
	v_mfma_f32_16x16x16_f16 v[20:23], v[182:183], v[2:3], v[20:23]
	v_mfma_f32_16x16x16_f16 v[20:23], v[184:185], v[4:5], v[20:23]
	;; [unrolled: 1-line block ×3, first 2 shown]
	s_nop 6
	v_add_u32_e32 v20, 0x3c00, v101
	ds_read2_b32 v[22:23], v20 offset1:1
	s_waitcnt lgkmcnt(0)
	v_cvt_f32_f16_e32 v20, v22
	v_cvt_f32_f16_sdwa v21, v22 dst_sel:DWORD dst_unused:UNUSED_PAD src0_sel:WORD_1
	v_cvt_f32_f16_e32 v22, v23
	v_cvt_f32_f16_sdwa v32, v23 dst_sel:DWORD dst_unused:UNUSED_PAD src0_sel:WORD_1
	v_add_f32_e32 v20, v182, v20
	v_add_f32_e32 v21, v183, v21
	;; [unrolled: 1-line block ×6, first 2 shown]
	v_max3_f32 v32, v15, v32, v33
	v_add_f32_e32 v33, 0x40051340, v23
	v_add_f32_e32 v36, 0x40051340, v22
	v_max3_f32 v32, v32, v33, v36
	ds_bpermute_b32 v33, v48, v32
	s_waitcnt lgkmcnt(0)
	v_max_f32_e32 v33, v33, v33
	v_max_f32_e32 v32, v32, v33
	ds_bpermute_b32 v33, v181, v32
	s_and_saveexec_b64 s[12:13], s[8:9]
	s_cbranch_execz .LBB19_146
; %bb.145:                              ;   in Loop: Header=BB19_142 Depth=2
	v_lshl_add_u64 v[36:37], v[116:117], 0, s[86:87]
	global_load_dwordx4 v[182:185], v[36:37], off
	s_waitcnt vmcnt(0)
	ds_write_b128 v99, v[182:185]
.LBB19_146:                             ;   in Loop: Header=BB19_142 Depth=2
	s_or_b64 exec, exec, s[12:13]
	s_waitcnt lgkmcnt(0)
	v_max_f32_e32 v33, v33, v33
	v_max_f32_e32 v32, v32, v32
	;; [unrolled: 1-line block ×3, first 2 shown]
	v_sub_f32_e32 v20, v20, v111
	v_mul_f32_e32 v32, 0x3fb8aa3b, v20
	v_fma_f32 v33, v20, s69, -v32
	v_rndne_f32_e32 v36, v32
	v_fmac_f32_e32 v33, 0x32a5705f, v20
	v_sub_f32_e32 v32, v32, v36
	v_add_f32_e32 v32, v32, v33
	v_exp_f32_e32 v32, v32
	v_cvt_i32_f32_e32 v33, v36
	v_cmp_ngt_f32_e32 vcc, s68, v20
	v_sub_f32_e32 v21, v21, v111
	v_sub_f32_e32 v23, v23, v111
	v_ldexp_f32 v32, v32, v33
	v_cndmask_b32_e32 v32, 0, v32, vcc
	v_cmp_nlt_f32_e32 vcc, s26, v20
	v_sub_f32_e32 v22, v22, v111
	v_sub_f32_e32 v15, v15, v111
	v_cndmask_b32_e32 v20, v179, v32, vcc
	v_mul_f32_e32 v32, 0x3fb8aa3b, v21
	v_fma_f32 v33, v21, s69, -v32
	v_rndne_f32_e32 v36, v32
	v_fmac_f32_e32 v33, 0x32a5705f, v21
	v_sub_f32_e32 v32, v32, v36
	v_add_f32_e32 v32, v32, v33
	v_exp_f32_e32 v32, v32
	v_cvt_i32_f32_e32 v33, v36
	v_cmp_ngt_f32_e32 vcc, s68, v21
	s_add_i32 s11, s11, -1
	v_lshl_add_u64 v[114:115], v[114:115], 0, s[74:75]
	v_ldexp_f32 v32, v32, v33
	v_cndmask_b32_e32 v32, 0, v32, vcc
	v_cmp_nlt_f32_e32 vcc, s26, v21
	v_lshl_add_u64 v[116:117], v[116:117], 0, s[72:73]
	v_lshl_add_u64 v[124:125], v[124:125], 0, s[76:77]
	v_cndmask_b32_e32 v21, v179, v32, vcc
	v_mul_f32_e32 v32, 0x3fb8aa3b, v23
	v_fma_f32 v36, v23, s69, -v32
	v_rndne_f32_e32 v37, v32
	v_fmac_f32_e32 v36, 0x32a5705f, v23
	v_sub_f32_e32 v32, v32, v37
	v_add_f32_e32 v32, v32, v36
	v_exp_f32_e32 v32, v32
	v_cvt_i32_f32_e32 v36, v37
	v_cmp_ngt_f32_e32 vcc, s68, v23
	v_add_f32_e32 v33, v20, v21
	v_cvt_pk_f16_f32 v132, v20, v21
	v_ldexp_f32 v32, v32, v36
	v_cndmask_b32_e32 v32, 0, v32, vcc
	v_cmp_nlt_f32_e32 vcc, s26, v23
	v_lshl_add_u64 v[126:127], v[126:127], 0, s[76:77]
	v_lshl_add_u64 v[128:129], v[128:129], 0, s[76:77]
	v_cndmask_b32_e32 v32, v179, v32, vcc
	v_add_f32_e32 v23, v32, v33
	v_mul_f32_e32 v33, 0x3fb8aa3b, v22
	v_fma_f32 v36, v22, s69, -v33
	v_rndne_f32_e32 v37, v33
	v_fmac_f32_e32 v36, 0x32a5705f, v22
	v_sub_f32_e32 v33, v33, v37
	v_add_f32_e32 v33, v33, v36
	v_exp_f32_e32 v33, v33
	v_cvt_i32_f32_e32 v36, v37
	v_cmp_ngt_f32_e32 vcc, s68, v22
	v_lshl_add_u64 v[130:131], v[130:131], 0, s[76:77]
	s_cmp_lg_u32 s11, 0
	v_ldexp_f32 v33, v33, v36
	v_cndmask_b32_e32 v33, 0, v33, vcc
	v_cmp_nlt_f32_e32 vcc, s26, v22
	v_mul_f32_e32 v22, 0x3fb8aa3b, v15
	v_rndne_f32_e32 v36, v22
	v_cndmask_b32_e32 v33, v179, v33, vcc
	v_add_f32_e32 v180, v33, v23
	v_fma_f32 v23, v15, s69, -v22
	v_fmac_f32_e32 v23, 0x32a5705f, v15
	v_sub_f32_e32 v22, v22, v36
	v_add_f32_e32 v22, v22, v23
	v_exp_f32_e32 v22, v22
	v_cvt_i32_f32_e32 v23, v36
	v_cmp_ngt_f32_e32 vcc, s68, v15
	v_cvt_pk_f16_f32 v133, v32, v33
	v_ldexp_f32 v22, v22, v23
	v_cndmask_b32_e32 v22, 0, v22, vcc
	v_cmp_nlt_f32_e32 vcc, s26, v15
	s_nop 1
	v_cndmask_b32_e32 v22, v179, v22, vcc
	v_cmp_le_f32_e32 vcc, s55, v15
	s_nop 1
	v_cndmask_b32_e32 v15, 0, v22, vcc
	v_fmac_f32_e32 v180, v14, v15
	v_cvt_f16_f32_e32 v14, v15
	v_mul_u32_u24_e32 v14, 0x10001, v14
	v_pk_mul_f16 v29, v29, v14
	v_pk_mul_f16 v25, v25, v14
	;; [unrolled: 1-line block ×14, first 2 shown]
	v_lshl_add_u64 v[14:15], v[118:119], 0, s[86:87]
	global_load_dwordx4 v[14:17], v[14:15], off
	v_cvt_f32_f16_e32 v184, v19
	v_cvt_f32_f16_sdwa v185, v19 dst_sel:DWORD dst_unused:UNUSED_PAD src0_sel:WORD_1
	v_cvt_f32_f16_e32 v186, v18
	v_cvt_f32_f16_sdwa v187, v18 dst_sel:DWORD dst_unused:UNUSED_PAD src0_sel:WORD_1
	v_lshl_add_u64 v[118:119], v[118:119], 0, s[72:73]
	s_waitcnt vmcnt(0)
	ds_write_b128 v95, v[14:17]
	v_lshl_add_u64 v[14:15], v[120:121], 0, s[86:87]
	global_load_dwordx4 v[14:17], v[14:15], off
	v_lshl_add_u64 v[120:121], v[120:121], 0, s[72:73]
	s_waitcnt vmcnt(0)
	ds_write_b128 v138, v[14:17]
	v_lshl_add_u64 v[14:15], v[122:123], 0, s[86:87]
	global_load_dwordx4 v[14:17], v[14:15], off
	v_lshl_add_u64 v[122:123], v[122:123], 0, s[72:73]
	s_waitcnt vmcnt(0)
	ds_write_b128 v170, v[14:17]
	s_waitcnt lgkmcnt(0)
	s_barrier
	ds_read_u16 v14, v103 offset:240
	ds_read_u16 v15, v105
	ds_read_u16 v24, v105 offset:32
	ds_read_u16 v16, v107
	ds_read_u16 v28, v107 offset:32
	v_cvt_f32_f16_sdwa v17, v25 dst_sel:DWORD dst_unused:UNUSED_PAD src0_sel:WORD_1
	s_waitcnt lgkmcnt(1)
	v_perm_b32 v21, v16, v15, s14
	ds_read_u16 v15, v103
	ds_read_u16 v32, v103 offset:32
	v_cvt_f32_f16_e32 v16, v25
	s_waitcnt lgkmcnt(1)
	v_perm_b32 v20, v14, v15, s14
	v_cvt_f32_f16_e32 v14, v29
	v_cvt_f32_f16_sdwa v15, v29 dst_sel:DWORD dst_unused:UNUSED_PAD src0_sel:WORD_1
	s_nop 1
	v_mfma_f32_16x16x16_f16 v[14:17], v[20:21], v[132:133], v[14:17]
	ds_read_u16 v20, v103 offset:272
	v_perm_b32 v21, v28, v24, s14
	ds_read_u16 v24, v103 offset:64
	ds_read_u16 v28, v103 offset:304
	;; [unrolled: 1-line block ×4, first 2 shown]
	s_waitcnt lgkmcnt(4)
	v_perm_b32 v20, v20, v32, s14
	s_waitcnt lgkmcnt(2)
	v_perm_b32 v24, v28, v24, s14
	;; [unrolled: 2-line block ×3, first 2 shown]
	ds_read_u16 v28, v103 offset:96
	ds_read_u16 v32, v103 offset:336
	;; [unrolled: 1-line block ×4, first 2 shown]
	v_mfma_f32_16x16x16_f16 v[18:21], v[20:21], v[132:133], v[184:187]
	s_waitcnt lgkmcnt(2)
	v_perm_b32 v28, v32, v28, s14
	s_waitcnt lgkmcnt(0)
	v_perm_b32 v29, v33, v29, s14
	v_cvt_f32_f16_e32 v184, v23
	v_cvt_f32_f16_sdwa v185, v23 dst_sel:DWORD dst_unused:UNUSED_PAD src0_sel:WORD_1
	v_cvt_f32_f16_e32 v186, v22
	v_cvt_f32_f16_sdwa v187, v22 dst_sel:DWORD dst_unused:UNUSED_PAD src0_sel:WORD_1
	ds_read_u16 v32, v103 offset:128
	ds_read_u16 v35, v103 offset:368
	;; [unrolled: 1-line block ×4, first 2 shown]
	v_mfma_f32_16x16x16_f16 v[22:25], v[24:25], v[132:133], v[184:187]
	s_waitcnt lgkmcnt(2)
	v_perm_b32 v32, v35, v32, s14
	s_nop 0
	v_cvt_f32_f16_e32 v184, v27
	v_cvt_f32_f16_sdwa v185, v27 dst_sel:DWORD dst_unused:UNUSED_PAD src0_sel:WORD_1
	v_cvt_f32_f16_e32 v186, v26
	v_cvt_f32_f16_sdwa v187, v26 dst_sel:DWORD dst_unused:UNUSED_PAD src0_sel:WORD_1
	s_waitcnt lgkmcnt(0)
	v_perm_b32 v33, v37, v33, s14
	v_cvt_pk_f16_f32 v24, v24, v25
	v_mfma_f32_16x16x16_f16 v[26:29], v[28:29], v[132:133], v[184:187]
	v_cvt_pk_f16_f32 v19, v18, v19
	v_cvt_pk_f16_f32 v18, v20, v21
	s_nop 0
	v_cvt_f32_f16_e32 v184, v31
	v_cvt_f32_f16_sdwa v185, v31 dst_sel:DWORD dst_unused:UNUSED_PAD src0_sel:WORD_1
	v_cvt_f32_f16_e32 v186, v30
	v_cvt_f32_f16_sdwa v187, v30 dst_sel:DWORD dst_unused:UNUSED_PAD src0_sel:WORD_1
	s_nop 0
	v_cvt_pk_f16_f32 v27, v26, v27
	v_cvt_pk_f16_f32 v26, v28, v29
	v_mfma_f32_16x16x16_f16 v[30:33], v[32:33], v[132:133], v[184:187]
	ds_read_u16 v35, v103 offset:160
	ds_read_u16 v37, v103 offset:400
	s_nop 0
	ds_read_u16 v184, v105 offset:160
	ds_read_u16 v185, v107 offset:160
	v_cvt_f32_f16_e32 v186, v34
	v_cvt_f32_f16_sdwa v187, v34 dst_sel:DWORD dst_unused:UNUSED_PAD src0_sel:WORD_1
	s_waitcnt lgkmcnt(2)
	v_perm_b32 v188, v37, v35, s14
	v_cvt_pk_f16_f32 v31, v30, v31
	s_waitcnt lgkmcnt(0)
	v_perm_b32 v189, v185, v184, s14
	v_cvt_f32_f16_e32 v184, v36
	v_cvt_f32_f16_sdwa v185, v36 dst_sel:DWORD dst_unused:UNUSED_PAD src0_sel:WORD_1
	v_cvt_pk_f16_f32 v30, v32, v33
	v_cvt_pk_f16_f32 v28, v22, v23
	v_mfma_f32_16x16x16_f16 v[34:37], v[188:189], v[132:133], v[184:187]
	s_nop 2
	ds_read_u16 v184, v103 offset:192
	ds_read_u16 v185, v103 offset:432
	;; [unrolled: 1-line block ×4, first 2 shown]
	v_cvt_pk_f16_f32 v29, v14, v15
	v_cvt_pk_f16_f32 v25, v16, v17
	s_waitcnt lgkmcnt(2)
	v_perm_b32 v188, v185, v184, s14
	v_cvt_f32_f16_e32 v184, v183
	s_waitcnt lgkmcnt(0)
	v_perm_b32 v189, v187, v186, s14
	v_cvt_f32_f16_sdwa v185, v183 dst_sel:DWORD dst_unused:UNUSED_PAD src0_sel:WORD_1
	v_cvt_f32_f16_e32 v186, v182
	v_cvt_f32_f16_sdwa v187, v182 dst_sel:DWORD dst_unused:UNUSED_PAD src0_sel:WORD_1
	v_cvt_pk_f16_f32 v34, v34, v35
	v_cvt_pk_f16_f32 v35, v36, v37
	v_mfma_f32_16x16x16_f16 v[182:185], v[188:189], v[132:133], v[184:187]
	s_barrier
	s_nop 6
	v_cvt_pk_f16_f32 v17, v182, v183
	v_cvt_pk_f16_f32 v16, v184, v185
	s_cbranch_scc0 .LBB19_149
; %bb.147:                              ;   in Loop: Header=BB19_142 Depth=2
	v_mov_b32_e32 v14, v180
	v_mov_b32_e32 v15, v111
	s_and_saveexec_b64 s[12:13], s[6:7]
	s_cbranch_execnz .LBB19_141
	s_branch .LBB19_142
.LBB19_148:                             ;   in Loop: Header=BB19_12 Depth=1
	v_mov_b32_e32 v111, 0xfeffffff
	v_mov_b32_e32 v180, 0
	s_mov_b64 s[12:13], 0
	v_mov_b32_e32 v16, 0
	v_mov_b32_e32 v17, 0
	;; [unrolled: 1-line block ×14, first 2 shown]
	s_and_saveexec_b64 s[16:17], s[6:7]
	s_cbranch_execnz .LBB19_150
	s_branch .LBB19_151
.LBB19_149:                             ;   in Loop: Header=BB19_12 Depth=1
	s_lshl_b32 s64, s10, 6
	s_mov_b64 s[12:13], s[64:65]
	s_movk_i32 s64, 0x47
	s_and_saveexec_b64 s[16:17], s[6:7]
	s_cbranch_execz .LBB19_151
.LBB19_150:                             ;   in Loop: Header=BB19_12 Depth=1
	v_or_b32_e32 v14, s60, v57
	v_mul_hi_u32 v15, s28, v14
	s_lshl_b64 s[10:11], s[12:13], 1
	v_add_u32_e32 v15, v14, v15
	s_add_u32 s10, s82, s10
	v_lshrrev_b32_e32 v15, s29, v15
	s_addc_u32 s11, s83, s11
	v_mul_lo_u32 v15, v15, s20
	v_readlane_b32 s82, v194, 28
	v_sub_u32_e32 v14, v14, v15
	v_readlane_b32 s83, v194, 29
	v_mad_i64_i32 v[14:15], s[82:83], v14, s82, 0
	v_lshl_add_u64 v[14:15], v[14:15], 1, s[10:11]
	v_lshlrev_b32_e32 v48, 1, v42
	v_lshl_add_u64 v[14:15], v[14:15], 0, v[48:49]
	global_load_dword v14, v[14:15], off
	s_waitcnt vmcnt(0)
	ds_write_b32 v93, v14 offset:15360
.LBB19_151:                             ;   in Loop: Header=BB19_12 Depth=1
	s_or_b64 exec, exec, s[16:17]
	s_mul_i32 s10, s12, s23
	s_mul_hi_u32 s11, s12, s22
	s_add_i32 s11, s11, s10
	s_mul_i32 s10, s12, s22
	s_lshl_b64 s[10:11], s[10:11], 2
	s_add_u32 s16, s33, s10
	s_addc_u32 s17, s70, s11
	s_and_saveexec_b64 s[82:83], s[8:9]
	s_cbranch_execz .LBB19_153
; %bb.152:                              ;   in Loop: Header=BB19_12 Depth=1
	v_lshl_add_u64 v[14:15], v[62:63], 2, s[16:17]
	v_lshlrev_b32_e32 v48, 2, v46
	v_lshl_add_u64 v[14:15], v[14:15], 0, v[48:49]
	global_load_dwordx4 v[20:23], v[14:15], off offset:192
	s_waitcnt vmcnt(0)
	ds_write_b128 v99, v[20:23]
.LBB19_153:                             ;   in Loop: Header=BB19_12 Depth=1
	s_or_b64 exec, exec, s[82:83]
	v_lshl_add_u64 v[14:15], v[52:53], 2, s[16:17]
	v_lshlrev_b32_e32 v48, 2, v44
	v_lshl_add_u64 v[20:21], v[14:15], 0, v[48:49]
	v_lshl_add_u64 v[22:23], v[58:59], 2, s[16:17]
	v_lshlrev_b32_e32 v14, 2, v56
	v_mov_b32_e32 v15, v49
	v_lshl_add_u64 v[32:33], v[22:23], 0, v[14:15]
	v_lshl_add_u64 v[22:23], v[60:61], 2, s[16:17]
	;; [unrolled: 1-line block ×3, first 2 shown]
	global_load_dwordx4 v[20:23], v[20:21], off offset:128
	s_mul_i32 s10, s12, s19
	s_mul_hi_u32 s11, s12, s18
	s_add_i32 s11, s11, s10
	s_mul_i32 s10, s12, s18
	s_lshl_b64 s[10:11], s[10:11], 2
	s_add_u32 s12, s5, s10
	s_addc_u32 s13, s71, s11
	s_waitcnt vmcnt(0)
	ds_write_b128 v95, v[20:23]
	global_load_dwordx4 v[20:23], v[32:33], off
	s_waitcnt vmcnt(0)
	ds_write_b128 v138, v[20:23]
	global_load_dwordx4 v[20:23], v[36:37], off
	s_waitcnt vmcnt(0)
	ds_write_b128 v170, v[20:23]
	s_waitcnt lgkmcnt(0)
	s_barrier
	ds_read2_b64 v[20:23], v97 offset1:4
	s_waitcnt lgkmcnt(0)
	v_mfma_f32_16x16x16_f16 v[114:117], v[20:21], v[10:11], 0
	v_mfma_f32_16x16x16_f16 v[10:13], v[22:23], v[12:13], v[114:117]
	ds_read2_b64 v[20:23], v97 offset0:8 offset1:12
	s_waitcnt lgkmcnt(0)
	v_mfma_f32_16x16x16_f16 v[10:13], v[20:21], v[6:7], v[10:13]
	v_mfma_f32_16x16x16_f16 v[6:9], v[22:23], v[8:9], v[10:13]
	s_nop 6
	ds_read2_b64 v[10:13], v97 offset0:16 offset1:20
	s_waitcnt lgkmcnt(0)
	v_mfma_f32_16x16x16_f16 v[6:9], v[10:11], v[2:3], v[6:9]
	v_mfma_f32_16x16x16_f16 v[2:5], v[12:13], v[4:5], v[6:9]
	s_nop 6
	ds_read_b64 v[6:7], v97 offset:192
	s_waitcnt lgkmcnt(0)
	v_mfma_f32_16x16x16_f16 v[6:9], v[6:7], v[112:113], v[2:5]
	s_nop 2
	v_add_u32_e32 v2, 0x3c00, v101
	s_barrier
	ds_read2_b32 v[2:3], v2 offset1:1
	s_waitcnt lgkmcnt(0)
	v_cvt_f32_f16_e32 v4, v2
	v_cvt_f32_f16_sdwa v2, v2 dst_sel:DWORD dst_unused:UNUSED_PAD src0_sel:WORD_1
	v_add_f32_e32 v5, v6, v4
	v_add_f32_e32 v4, v7, v2
	v_cvt_f32_f16_e32 v2, v3
	v_cvt_f32_f16_sdwa v6, v3 dst_sel:DWORD dst_unused:UNUSED_PAD src0_sel:WORD_1
	v_add_f32_e32 v7, 0x40051340, v4
	v_add_f32_e32 v3, v8, v2
	;; [unrolled: 1-line block ×4, first 2 shown]
	v_max3_f32 v6, v111, v6, v7
	v_add_f32_e32 v7, 0x40051340, v3
	v_add_f32_e32 v8, 0x40051340, v2
	v_max3_f32 v6, v6, v7, v8
	v_and_b32_e32 v7, 64, v166
	v_add_u32_e32 v7, 64, v7
	v_xor_b32_e32 v8, 32, v166
	v_cmp_lt_i32_e32 vcc, v8, v7
	s_nop 1
	v_cndmask_b32_e32 v8, v166, v8, vcc
	v_lshlrev_b32_e32 v22, 2, v8
	ds_bpermute_b32 v8, v22, v6
	s_waitcnt lgkmcnt(0)
	v_max_f32_e32 v8, v8, v8
	v_max_f32_e32 v6, v6, v8
	v_xor_b32_e32 v8, 16, v166
	v_cmp_lt_i32_e32 vcc, v8, v7
	s_nop 1
	v_cndmask_b32_e32 v7, v166, v8, vcc
	v_lshlrev_b32_e32 v23, 2, v7
	ds_bpermute_b32 v7, v23, v6
	s_and_saveexec_b64 s[16:17], s[8:9]
	s_cbranch_execz .LBB19_155
; %bb.154:                              ;   in Loop: Header=BB19_12 Depth=1
	v_lshl_add_u64 v[8:9], v[64:65], 2, s[12:13]
	v_lshlrev_b32_e32 v10, 2, v46
	v_mov_b32_e32 v11, v49
	v_lshl_add_u64 v[8:9], v[8:9], 0, v[10:11]
	global_load_dwordx4 v[8:11], v[8:9], off offset:192
	s_waitcnt vmcnt(0)
	ds_write_b128 v99, v[8:11]
.LBB19_155:                             ;   in Loop: Header=BB19_12 Depth=1
	s_or_b64 exec, exec, s[16:17]
	s_waitcnt lgkmcnt(0)
	v_max_f32_e32 v7, v7, v7
	v_max_f32_e32 v6, v6, v6
	;; [unrolled: 1-line block ×3, first 2 shown]
	v_sub_f32_e32 v5, v5, v20
	v_mul_f32_e32 v6, 0x3fb8aa3b, v5
	v_fma_f32 v7, v5, s69, -v6
	v_rndne_f32_e32 v8, v6
	v_fmac_f32_e32 v7, 0x32a5705f, v5
	v_sub_f32_e32 v6, v6, v8
	v_add_f32_e32 v6, v6, v7
	v_exp_f32_e32 v6, v6
	v_cvt_i32_f32_e32 v7, v8
	v_cmp_ngt_f32_e32 vcc, s68, v5
	v_sub_f32_e32 v4, v4, v20
	v_sub_f32_e32 v3, v3, v20
	v_ldexp_f32 v6, v6, v7
	v_cndmask_b32_e32 v6, 0, v6, vcc
	v_cmp_nlt_f32_e32 vcc, s26, v5
	v_mul_f32_e32 v5, 0x3fb8aa3b, v4
	v_rndne_f32_e32 v7, v5
	v_cndmask_b32_e32 v32, v179, v6, vcc
	v_fma_f32 v6, v4, s69, -v5
	v_fmac_f32_e32 v6, 0x32a5705f, v4
	v_sub_f32_e32 v5, v5, v7
	v_add_f32_e32 v5, v5, v6
	v_exp_f32_e32 v5, v5
	v_cvt_i32_f32_e32 v6, v7
	v_cmp_ngt_f32_e32 vcc, s68, v4
	v_sub_f32_e32 v2, v2, v20
	s_cmp_lg_u64 s[80:81], 0
	v_ldexp_f32 v5, v5, v6
	v_cndmask_b32_e32 v5, 0, v5, vcc
	v_cmp_nlt_f32_e32 vcc, s26, v4
	s_cselect_b64 s[10:11], -1, 0
	s_and_b64 s[10:11], s[0:1], s[10:11]
	v_cndmask_b32_e32 v33, v179, v5, vcc
	v_mul_f32_e32 v5, 0x3fb8aa3b, v3
	v_fma_f32 v6, v3, s69, -v5
	v_rndne_f32_e32 v7, v5
	v_fmac_f32_e32 v6, 0x32a5705f, v3
	v_sub_f32_e32 v5, v5, v7
	v_add_f32_e32 v5, v5, v6
	v_exp_f32_e32 v5, v5
	v_cvt_i32_f32_e32 v6, v7
	v_cmp_ngt_f32_e32 vcc, s68, v3
	v_add_f32_e32 v4, v32, v33
	v_ldexp_f32 v5, v5, v6
	v_cndmask_b32_e32 v5, 0, v5, vcc
	v_cmp_nlt_f32_e32 vcc, s26, v3
	s_nop 1
	v_cndmask_b32_e32 v36, v179, v5, vcc
	v_add_f32_e32 v3, v36, v4
	v_mul_f32_e32 v4, 0x3fb8aa3b, v2
	v_fma_f32 v5, v2, s69, -v4
	v_rndne_f32_e32 v6, v4
	v_fmac_f32_e32 v5, 0x32a5705f, v2
	v_sub_f32_e32 v4, v4, v6
	v_add_f32_e32 v4, v4, v5
	v_exp_f32_e32 v4, v4
	v_cvt_i32_f32_e32 v5, v6
	v_cmp_ngt_f32_e32 vcc, s68, v2
	v_ldexp_f32 v4, v4, v5
	s_nop 0
	v_cndmask_b32_e32 v4, 0, v4, vcc
	v_cmp_nlt_f32_e32 vcc, s26, v2
	v_sub_f32_e32 v2, v111, v20
	s_nop 0
	v_cndmask_b32_e32 v112, v179, v4, vcc
	v_add_f32_e32 v21, v112, v3
	v_mul_f32_e32 v3, 0x3fb8aa3b, v2
	v_fma_f32 v4, v2, s69, -v3
	v_rndne_f32_e32 v5, v3
	v_fmac_f32_e32 v4, 0x32a5705f, v2
	v_sub_f32_e32 v3, v3, v5
	v_add_f32_e32 v3, v3, v4
	v_exp_f32_e32 v3, v3
	v_cvt_i32_f32_e32 v4, v5
	v_cmp_ngt_f32_e32 vcc, s68, v2
	v_ldexp_f32 v3, v3, v4
	s_nop 0
	v_cndmask_b32_e32 v3, 0, v3, vcc
	v_cmp_nlt_f32_e32 vcc, s26, v2
	s_nop 1
	v_cndmask_b32_e32 v3, v179, v3, vcc
	v_cmp_le_f32_e32 vcc, s55, v2
	s_nop 1
	v_cndmask_b32_e32 v2, 0, v3, vcc
	v_fmac_f32_e32 v21, v180, v2
	v_cvt_f16_f32_e32 v2, v2
	v_mul_u32_u24_e32 v2, 0x10001, v2
	v_pk_mul_f16 v111, v29, v2
	v_pk_mul_f16 v37, v25, v2
	;; [unrolled: 1-line block ×14, first 2 shown]
	v_lshl_add_u64 v[2:3], v[70:71], 2, s[12:13]
	v_lshl_add_u64 v[2:3], v[2:3], 0, v[48:49]
	global_load_dwordx4 v[2:5], v[2:3], off offset:128
	v_cvt_pk_f16_f32 v19, v36, v112
	v_cvt_pk_f16_f32 v18, v32, v33
	v_cvt_f32_f16_e32 v114, v13
	v_cvt_f32_f16_sdwa v115, v13 dst_sel:DWORD dst_unused:UNUSED_PAD src0_sel:WORD_1
	v_cvt_f32_f16_e32 v116, v12
	v_cvt_f32_f16_sdwa v117, v12 dst_sel:DWORD dst_unused:UNUSED_PAD src0_sel:WORD_1
	s_waitcnt vmcnt(0)
	ds_write_b128 v95, v[2:5]
	v_lshl_add_u64 v[2:3], v[68:69], 2, s[12:13]
	v_lshl_add_u64 v[2:3], v[2:3], 0, v[14:15]
	global_load_dwordx4 v[2:5], v[2:3], off
	s_waitcnt vmcnt(0)
	ds_write_b128 v138, v[2:5]
	v_lshl_add_u64 v[2:3], v[66:67], 2, s[12:13]
	v_lshl_add_u64 v[2:3], v[2:3], 0, v[14:15]
	global_load_dwordx4 v[2:5], v[2:3], off
	s_waitcnt vmcnt(0)
	ds_write_b128 v170, v[2:5]
	s_waitcnt lgkmcnt(0)
	s_barrier
	ds_read_u16 v2, v103 offset:240
	ds_read_u16 v3, v105
	ds_read_u16 v16, v105 offset:32
	ds_read_u16 v4, v107
	ds_read_u16 v17, v107 offset:32
	v_cvt_f32_f16_sdwa v5, v37 dst_sel:DWORD dst_unused:UNUSED_PAD src0_sel:WORD_1
	s_waitcnt lgkmcnt(1)
	v_perm_b32 v15, v4, v3, s14
	ds_read_u16 v3, v103
	ds_read_u16 v27, v103 offset:32
	v_cvt_f32_f16_e32 v4, v37
	s_waitcnt lgkmcnt(1)
	v_perm_b32 v14, v2, v3, s14
	v_cvt_f32_f16_e32 v2, v111
	v_cvt_f32_f16_sdwa v3, v111 dst_sel:DWORD dst_unused:UNUSED_PAD src0_sel:WORD_1
	s_nop 1
	v_mfma_f32_16x16x16_f16 v[2:5], v[14:15], v[18:19], v[2:5]
	v_cvt_f32_f16_e32 v14, v7
	v_cvt_f32_f16_sdwa v15, v7 dst_sel:DWORD dst_unused:UNUSED_PAD src0_sel:WORD_1
	s_nop 5
	v_cvt_f16_f32_e32 v4, v4
	v_cvt_f16_f32_e32 v5, v5
	;; [unrolled: 1-line block ×4, first 2 shown]
	v_perm_b32 v26, v5, v4, s14
	ds_read_u16 v4, v103 offset:272
	v_perm_b32 v5, v17, v16, s14
	v_cvt_f32_f16_e32 v16, v6
	v_cvt_f32_f16_sdwa v17, v6 dst_sel:DWORD dst_unused:UNUSED_PAD src0_sel:WORD_1
	v_perm_b32 v32, v33, v32, s14
	s_waitcnt lgkmcnt(0)
	v_perm_b32 v4, v4, v27, s14
	s_nop 1
	v_mfma_f32_16x16x16_f16 v[4:7], v[4:5], v[18:19], v[14:17]
	s_nop 2
	v_cvt_f32_f16_e32 v16, v8
	v_cvt_f32_f16_sdwa v17, v8 dst_sel:DWORD dst_unused:UNUSED_PAD src0_sel:WORD_1
	s_nop 2
	v_cvt_f16_f32_e32 v6, v6
	v_cvt_f16_f32_e32 v7, v7
	v_cvt_f16_f32_e32 v34, v4
	v_cvt_f16_f32_e32 v35, v5
	v_perm_b32 v27, v7, v6, s14
	ds_read_u16 v6, v103 offset:64
	ds_read_u16 v14, v103 offset:304
	ds_read_u16 v7, v105 offset:64
	ds_read_u16 v15, v107 offset:64
	s_waitcnt lgkmcnt(2)
	v_perm_b32 v6, v14, v6, s14
	v_cvt_f32_f16_e32 v14, v9
	s_waitcnt lgkmcnt(0)
	v_perm_b32 v7, v15, v7, s14
	v_cvt_f32_f16_sdwa v15, v9 dst_sel:DWORD dst_unused:UNUSED_PAD src0_sel:WORD_1
	s_nop 1
	v_mfma_f32_16x16x16_f16 v[6:9], v[6:7], v[18:19], v[14:17]
	s_nop 2
	v_cvt_f32_f16_e32 v16, v10
	v_cvt_f32_f16_sdwa v17, v10 dst_sel:DWORD dst_unused:UNUSED_PAD src0_sel:WORD_1
	s_nop 2
	v_cvt_f16_f32_e32 v8, v8
	v_cvt_f16_f32_e32 v9, v9
	v_cvt_f16_f32_e32 v36, v6
	v_cvt_f16_f32_e32 v37, v7
	v_perm_b32 v30, v9, v8, s14
	ds_read_u16 v8, v103 offset:96
	ds_read_u16 v14, v103 offset:336
	ds_read_u16 v9, v105 offset:96
	ds_read_u16 v15, v107 offset:96
	s_waitcnt lgkmcnt(2)
	v_perm_b32 v8, v14, v8, s14
	v_cvt_f32_f16_e32 v14, v11
	s_waitcnt lgkmcnt(0)
	v_perm_b32 v9, v15, v9, s14
	v_cvt_f32_f16_sdwa v15, v11 dst_sel:DWORD dst_unused:UNUSED_PAD src0_sel:WORD_1
	;; [unrolled: 21-line block ×3, first 2 shown]
	s_nop 1
	v_mfma_f32_16x16x16_f16 v[14:17], v[10:11], v[18:19], v[14:17]
	s_nop 7
	v_cvt_f16_f32_e32 v10, v16
	v_cvt_f16_f32_e32 v11, v17
	;; [unrolled: 1-line block ×4, first 2 shown]
	v_perm_b32 v28, v11, v10, s14
	ds_read_u16 v10, v103 offset:160
	ds_read_u16 v16, v103 offset:400
	;; [unrolled: 1-line block ×4, first 2 shown]
	s_waitcnt lgkmcnt(2)
	v_perm_b32 v10, v16, v10, s14
	s_waitcnt lgkmcnt(0)
	v_perm_b32 v11, v17, v11, s14
	s_nop 1
	v_mfma_f32_16x16x16_f16 v[10:13], v[10:11], v[18:19], v[114:117]
	s_nop 2
	v_cvt_f32_f16_sdwa v115, v25 dst_sel:DWORD dst_unused:UNUSED_PAD src0_sel:WORD_1
	v_cvt_f32_f16_e32 v116, v24
	v_cvt_f32_f16_sdwa v117, v24 dst_sel:DWORD dst_unused:UNUSED_PAD src0_sel:WORD_1
	s_nop 1
	v_cvt_f16_f32_e32 v12, v12
	v_cvt_f16_f32_e32 v13, v13
	;; [unrolled: 1-line block ×4, first 2 shown]
	v_perm_b32 v24, v111, v48, s14
	v_perm_b32 v12, v13, v12, s14
	ds_read_u16 v13, v103 offset:192
	ds_read_u16 v16, v103 offset:432
	;; [unrolled: 1-line block ×4, first 2 shown]
	s_waitcnt lgkmcnt(0)
	s_barrier
	v_perm_b32 v16, v16, v13, s14
	v_perm_b32 v17, v114, v17, s14
	v_cvt_f32_f16_e32 v114, v25
	v_perm_b32 v25, v37, v36, s14
	s_nop 0
	v_mfma_f32_16x16x16_f16 v[16:19], v[16:17], v[18:19], v[114:117]
	s_nop 7
	v_cvt_f16_f32_e32 v13, v18
	v_cvt_f16_f32_e32 v18, v19
	;; [unrolled: 1-line block ×4, first 2 shown]
	v_perm_b32 v13, v18, v13, s14
	ds_bpermute_b32 v18, v22, v21
	v_perm_b32 v33, v115, v114, s14
	s_waitcnt lgkmcnt(0)
	v_add_f32_e32 v18, v21, v18
	ds_bpermute_b32 v19, v23, v18
	s_waitcnt lgkmcnt(0)
	v_add_f32_e32 v21, v18, v19
	v_perm_b32 v18, v118, v113, s14
	v_perm_b32 v19, v112, v29, s14
	;; [unrolled: 1-line block ×3, first 2 shown]
	s_and_saveexec_b64 s[12:13], s[10:11]
	s_cbranch_execz .LBB19_157
; %bb.156:                              ;   in Loop: Header=BB19_12 Depth=1
	v_lshlrev_b32_e32 v18, 2, v76
	global_load_dword v18, v18, s[80:81]
	v_cvt_pk_f16_f32 v19, v2, v3
	v_max_f32_e32 v2, v20, v20
	v_cvt_pk_f16_f32 v4, v4, v5
	v_cvt_pk_f16_f32 v5, v6, v7
	;; [unrolled: 1-line block ×6, first 2 shown]
	s_waitcnt vmcnt(0)
	v_max_f32_e32 v3, v18, v18
	v_max_f32_e32 v2, v2, v3
	v_sub_f32_e32 v3, v20, v2
	v_sub_f32_e32 v8, v18, v2
	v_mul_f32_e32 v9, 0x3fb8aa3b, v3
	v_mul_f32_e32 v14, 0x3fb8aa3b, v8
	v_fma_f32 v15, v3, s69, -v9
	v_rndne_f32_e32 v18, v9
	v_fma_f32 v20, v8, s69, -v14
	v_rndne_f32_e32 v24, v14
	v_fmac_f32_e32 v15, 0x32a5705f, v3
	v_sub_f32_e32 v9, v9, v18
	v_fmac_f32_e32 v20, 0x32a5705f, v8
	v_sub_f32_e32 v14, v14, v24
	v_add_f32_e32 v9, v9, v15
	v_cvt_i32_f32_e32 v18, v18
	v_add_f32_e32 v14, v14, v20
	v_exp_f32_e32 v9, v9
	v_cvt_i32_f32_e32 v24, v24
	v_exp_f32_e32 v14, v14
	v_cmp_ngt_f32_e32 vcc, s68, v3
	v_ldexp_f32 v9, v9, v18
	v_ldexp_f32 v14, v14, v24
	v_cndmask_b32_e32 v9, 0, v9, vcc
	v_cmp_ngt_f32_e32 vcc, s68, v8
	s_nop 1
	v_cndmask_b32_e32 v14, 0, v14, vcc
	v_cmp_nlt_f32_e32 vcc, s26, v3
	s_nop 1
	v_cndmask_b32_e32 v9, v179, v9, vcc
	v_cmp_le_f32_e32 vcc, s55, v3
	s_nop 1
	v_cndmask_b32_e32 v9, 0, v9, vcc
	v_cvt_f16_f32_e32 v15, v9
	v_cmp_nlt_f32_e32 vcc, s26, v8
	v_mul_u32_u24_e32 v8, 0x10001, v15
	s_nop 0
	v_cndmask_b32_e32 v3, v179, v14, vcc
	v_fmac_f32_e32 v3, v21, v9
	v_pk_mul_f16 v32, v19, v8
	v_pk_mul_f16 v26, v26, v8
	;; [unrolled: 1-line block ×14, first 2 shown]
	v_mov_b64_e32 v[20:21], v[2:3]
.LBB19_157:                             ;   in Loop: Header=BB19_12 Depth=1
	s_or_b64 exec, exec, s[12:13]
	s_mov_b64 s[12:13], exec
	v_readlane_b32 s10, v194, 19
	v_readlane_b32 s11, v194, 20
	s_and_b64 s[10:11], s[12:13], s[10:11]
	s_mov_b64 exec, s[10:11]
; %bb.158:                              ;   in Loop: Header=BB19_12 Depth=1
	v_add_u32_e32 v2, 0, v140
	ds_write2_b32 v2, v20, v21 offset0:56 offset1:57
; %bb.159:                              ;   in Loop: Header=BB19_12 Depth=1
	s_or_b64 exec, exec, s[12:13]
	v_readlane_b32 s12, v194, 8
	v_readlane_b32 s13, v194, 9
	s_waitcnt lgkmcnt(0)
	s_barrier
	s_and_saveexec_b64 s[10:11], s[12:13]
	s_xor_b64 s[12:13], exec, s[10:11]
	s_cbranch_execz .LBB19_161
; %bb.160:                              ;   in Loop: Header=BB19_12 Depth=1
	s_barrier
                                        ; implicit-def: $vgpr22
                                        ; implicit-def: $vgpr23
.LBB19_161:                             ;   in Loop: Header=BB19_12 Depth=1
	s_andn2_saveexec_b64 s[12:13], s[12:13]
	s_cbranch_execz .LBB19_163
; %bb.162:                              ;   in Loop: Header=BB19_12 Depth=1
	v_add_u32_e32 v4, 0, v140
	ds_read_b64 v[2:3], v4 offset:224
	s_waitcnt lgkmcnt(0)
	s_barrier
	ds_bpermute_b32 v5, v22, v2
	v_max_f32_e32 v6, v2, v2
	s_waitcnt lgkmcnt(0)
	v_max_f32_e32 v5, v5, v5
	v_max_f32_e32 v5, v6, v5
	ds_bpermute_b32 v6, v23, v5
	s_waitcnt lgkmcnt(0)
	v_max_f32_e32 v6, v6, v6
	v_max_f32_e32 v5, v5, v6
	v_sub_f32_e32 v2, v2, v5
	v_mul_f32_e32 v5, 0x3fb8aa3b, v2
	v_fma_f32 v6, v2, s69, -v5
	v_rndne_f32_e32 v7, v5
	v_fmac_f32_e32 v6, 0x32a5705f, v2
	v_sub_f32_e32 v5, v5, v7
	v_add_f32_e32 v5, v5, v6
	v_cvt_i32_f32_e32 v7, v7
	v_exp_f32_e32 v5, v5
	v_cmp_ngt_f32_e32 vcc, s68, v2
	v_ldexp_f32 v5, v5, v7
	s_nop 0
	v_cndmask_b32_e32 v5, 0, v5, vcc
	v_cmp_nlt_f32_e32 vcc, s26, v2
	s_nop 1
	v_cndmask_b32_e32 v2, v179, v5, vcc
	v_mul_f32_e32 v5, v3, v2
	ds_bpermute_b32 v5, v22, v5
	s_waitcnt lgkmcnt(0)
	v_fmac_f32_e32 v5, v3, v2
	ds_bpermute_b32 v3, v23, v5
	s_waitcnt lgkmcnt(0)
	v_add_f32_e32 v3, v5, v3
	ds_write_b64 v4, v[2:3] offset:224
.LBB19_163:                             ;   in Loop: Header=BB19_12 Depth=1
	s_or_b64 exec, exec, s[12:13]
	ds_write2_b32 v109, v32, v26 offset1:1
	ds_write2_b32 v109, v29, v27 offset0:8 offset1:9
	ds_write2_b32 v109, v25, v30 offset0:16 offset1:17
	;; [unrolled: 1-line block ×6, first 2 shown]
	s_waitcnt lgkmcnt(0)
	s_barrier
	s_and_saveexec_b64 s[80:81], s[0:1]
	s_cbranch_execz .LBB19_10
; %bb.164:                              ;   in Loop: Header=BB19_12 Depth=1
	v_add_u32_e32 v3, s60, v174
	v_or_b32_e32 v2, s4, v100
	v_cmp_gt_i32_e32 vcc, s20, v3
	v_cmp_gt_i32_e64 s[12:13], s3, v2
	s_and_b64 s[10:11], vcc, s[12:13]
	v_mov_b32_e32 v2, 0x47
	s_and_saveexec_b64 s[16:17], s[10:11]
	s_cbranch_execz .LBB19_166
; %bb.165:                              ;   in Loop: Header=BB19_12 Depth=1
	v_mad_u64_u32 v[2:3], s[10:11], v3, s21, v[100:101]
	v_add_u32_e32 v3, v165, v143
	ds_read2st64_b32 v[6:7], v3 offset1:15
	v_add_u32_e32 v12, 0, v143
	ds_read2_b32 v[4:5], v12 offset0:56 offset1:57
	v_add_u32_e32 v8, 0xe0, v12
	ds_read2st64_b32 v[8:9], v8 offset0:15 offset1:30
	ds_read2st64_b32 v[10:11], v3 offset0:30 offset1:45
	ds_read_b32 v12, v12 offset:11744
	s_waitcnt lgkmcnt(4)
	v_cvt_f32_f16_e32 v14, v6
	v_cvt_f32_f16_sdwa v15, v6 dst_sel:DWORD dst_unused:UNUSED_PAD src0_sel:WORD_1
	v_cvt_f32_f16_e32 v6, v7
	v_cvt_f32_f16_sdwa v7, v7 dst_sel:DWORD dst_unused:UNUSED_PAD src0_sel:WORD_1
	v_mad_u64_u32 v[2:3], s[10:11], v2, 56, v[38:39]
	s_waitcnt lgkmcnt(3)
	v_pk_fma_f32 v[14:15], v[4:5], v[14:15], 0 op_sel_hi:[0,1,0]
	s_waitcnt lgkmcnt(2)
	v_pk_fma_f32 v[6:7], v[8:9], v[6:7], v[14:15] op_sel_hi:[0,1,1]
	s_waitcnt lgkmcnt(1)
	v_cvt_f32_f16_e32 v14, v10
	v_cvt_f32_f16_sdwa v15, v10 dst_sel:DWORD dst_unused:UNUSED_PAD src0_sel:WORD_1
	v_mov_b32_e32 v4, v9
	v_cvt_f32_f16_e32 v8, v11
	v_cvt_f32_f16_sdwa v9, v11 dst_sel:DWORD dst_unused:UNUSED_PAD src0_sel:WORD_1
	v_pk_fma_f32 v[6:7], v[4:5], v[14:15], v[6:7] op_sel_hi:[0,1,1]
	v_ashrrev_i32_e32 v3, 31, v2
	v_lshl_add_u64 v[2:3], v[2:3], 3, s[78:79]
	s_waitcnt lgkmcnt(0)
	v_pk_fma_f32 v[6:7], v[12:13], v[8:9], v[6:7] op_sel_hi:[0,1,1]
	v_div_scale_f32 v4, s[10:11], v5, v5, v7
	v_rcp_f32_e32 v8, v4
	s_nop 0
	v_fma_f32 v9, -v4, v8, 1.0
	v_fmac_f32_e32 v8, v9, v8
	v_div_scale_f32 v9, vcc, v7, v5, v7
	v_mul_f32_e32 v10, v9, v8
	v_fma_f32 v11, -v4, v10, v9
	v_fmac_f32_e32 v10, v11, v8
	v_fma_f32 v4, -v4, v10, v9
	v_div_fmas_f32 v4, v4, v8, v10
	v_div_fixup_f32 v7, v4, v5, v7
	v_div_scale_f32 v4, s[10:11], v5, v5, v6
	v_rcp_f32_e32 v8, v4
	s_nop 0
	v_fma_f32 v9, -v4, v8, 1.0
	v_fmac_f32_e32 v8, v9, v8
	v_div_scale_f32 v9, vcc, v6, v5, v6
	v_mul_f32_e32 v10, v9, v8
	v_fma_f32 v11, -v4, v10, v9
	v_fmac_f32_e32 v10, v11, v8
	v_fma_f32 v4, -v4, v10, v9
	v_div_fmas_f32 v4, v4, v8, v10
	v_div_fixup_f32 v6, v4, v5, v6
	global_store_dwordx2 v[2:3], v[6:7], off
	v_mov_b32_e32 v2, 0
.LBB19_166:                             ;   in Loop: Header=BB19_12 Depth=1
	s_or_b64 exec, exec, s[16:17]
	v_cmp_gt_i32_e32 vcc, s64, v2
	s_mov_b64 s[16:17], -1
	s_and_saveexec_b64 s[82:83], vcc
; %bb.167:                              ;   in Loop: Header=BB19_12 Depth=1
	v_cmp_eq_u32_e32 vcc, 0, v2
	s_orn2_b64 s[16:17], vcc, exec
; %bb.168:                              ;   in Loop: Header=BB19_12 Depth=1
	s_or_b64 exec, exec, s[82:83]
	s_and_saveexec_b64 s[82:83], s[16:17]
	s_cbranch_execz .LBB19_201
; %bb.169:                              ;   in Loop: Header=BB19_12 Depth=1
	v_add_u32_e32 v3, s60, v175
	v_or_b32_e32 v2, s4, v102
	v_cmp_gt_i32_e32 vcc, s20, v3
	v_cmp_gt_i32_e64 s[16:17], s3, v2
	s_and_b64 s[10:11], vcc, s[16:17]
	v_mov_b32_e32 v2, 0x47
	s_and_saveexec_b64 s[16:17], s[10:11]
	s_cbranch_execz .LBB19_171
; %bb.170:                              ;   in Loop: Header=BB19_12 Depth=1
	v_mad_u64_u32 v[2:3], s[10:11], v3, s21, v[102:103]
	v_add_u32_e32 v3, v165, v144
	ds_read2st64_b32 v[6:7], v3 offset1:15
	v_add_u32_e32 v12, 0, v144
	ds_read2_b32 v[4:5], v12 offset0:56 offset1:57
	v_add_u32_e32 v8, 0xe0, v12
	ds_read2st64_b32 v[8:9], v8 offset0:15 offset1:30
	ds_read2st64_b32 v[10:11], v3 offset0:30 offset1:45
	ds_read_b32 v12, v12 offset:11744
	s_waitcnt lgkmcnt(4)
	v_cvt_f32_f16_e32 v14, v6
	v_cvt_f32_f16_sdwa v15, v6 dst_sel:DWORD dst_unused:UNUSED_PAD src0_sel:WORD_1
	v_cvt_f32_f16_e32 v6, v7
	v_cvt_f32_f16_sdwa v7, v7 dst_sel:DWORD dst_unused:UNUSED_PAD src0_sel:WORD_1
	v_mad_u64_u32 v[2:3], s[10:11], v2, 56, v[38:39]
	s_waitcnt lgkmcnt(3)
	v_pk_fma_f32 v[14:15], v[4:5], v[14:15], 0 op_sel_hi:[0,1,0]
	s_waitcnt lgkmcnt(2)
	v_pk_fma_f32 v[6:7], v[8:9], v[6:7], v[14:15] op_sel_hi:[0,1,1]
	s_waitcnt lgkmcnt(1)
	v_cvt_f32_f16_e32 v14, v10
	v_cvt_f32_f16_sdwa v15, v10 dst_sel:DWORD dst_unused:UNUSED_PAD src0_sel:WORD_1
	v_mov_b32_e32 v4, v9
	v_cvt_f32_f16_e32 v8, v11
	v_cvt_f32_f16_sdwa v9, v11 dst_sel:DWORD dst_unused:UNUSED_PAD src0_sel:WORD_1
	v_pk_fma_f32 v[6:7], v[4:5], v[14:15], v[6:7] op_sel_hi:[0,1,1]
	v_ashrrev_i32_e32 v3, 31, v2
	v_lshl_add_u64 v[2:3], v[2:3], 3, s[78:79]
	s_waitcnt lgkmcnt(0)
	v_pk_fma_f32 v[6:7], v[12:13], v[8:9], v[6:7] op_sel_hi:[0,1,1]
	v_div_scale_f32 v4, s[10:11], v5, v5, v7
	v_rcp_f32_e32 v8, v4
	s_nop 0
	v_fma_f32 v9, -v4, v8, 1.0
	v_fmac_f32_e32 v8, v9, v8
	v_div_scale_f32 v9, vcc, v7, v5, v7
	v_mul_f32_e32 v10, v9, v8
	v_fma_f32 v11, -v4, v10, v9
	v_fmac_f32_e32 v10, v11, v8
	v_fma_f32 v4, -v4, v10, v9
	v_div_fmas_f32 v4, v4, v8, v10
	v_div_fixup_f32 v7, v4, v5, v7
	v_div_scale_f32 v4, s[10:11], v5, v5, v6
	v_rcp_f32_e32 v8, v4
	s_nop 0
	v_fma_f32 v9, -v4, v8, 1.0
	v_fmac_f32_e32 v8, v9, v8
	v_div_scale_f32 v9, vcc, v6, v5, v6
	v_mul_f32_e32 v10, v9, v8
	v_fma_f32 v11, -v4, v10, v9
	v_fmac_f32_e32 v10, v11, v8
	v_fma_f32 v4, -v4, v10, v9
	v_div_fmas_f32 v4, v4, v8, v10
	v_div_fixup_f32 v6, v4, v5, v6
	global_store_dwordx2 v[2:3], v[6:7], off
	v_mov_b32_e32 v2, 0
.LBB19_171:                             ;   in Loop: Header=BB19_12 Depth=1
	s_or_b64 exec, exec, s[16:17]
	v_cmp_gt_i32_e32 vcc, s64, v2
	s_mov_b64 s[16:17], -1
	s_and_saveexec_b64 s[84:85], vcc
; %bb.172:                              ;   in Loop: Header=BB19_12 Depth=1
	v_cmp_eq_u32_e32 vcc, 0, v2
	s_orn2_b64 s[16:17], vcc, exec
; %bb.173:                              ;   in Loop: Header=BB19_12 Depth=1
	s_or_b64 exec, exec, s[84:85]
	s_and_b64 exec, exec, s[16:17]
	s_cbranch_execz .LBB19_201
; %bb.174:                              ;   in Loop: Header=BB19_12 Depth=1
	v_add_u32_e32 v3, s60, v145
	v_cmp_gt_i32_e32 vcc, s20, v3
	s_and_b64 s[10:11], vcc, s[12:13]
	v_mov_b32_e32 v2, 0x47
	s_and_saveexec_b64 s[16:17], s[10:11]
	s_cbranch_execz .LBB19_176
; %bb.175:                              ;   in Loop: Header=BB19_12 Depth=1
	v_mad_u64_u32 v[2:3], s[10:11], v3, s21, v[100:101]
	v_add_u32_e32 v3, v165, v146
	ds_read2st64_b32 v[6:7], v3 offset1:15
	v_add_u32_e32 v12, 0, v146
	ds_read2_b32 v[4:5], v12 offset0:56 offset1:57
	v_add_u32_e32 v8, 0xe0, v12
	ds_read2st64_b32 v[8:9], v8 offset0:15 offset1:30
	ds_read2st64_b32 v[10:11], v3 offset0:30 offset1:45
	ds_read_b32 v12, v12 offset:11744
	s_waitcnt lgkmcnt(4)
	v_cvt_f32_f16_e32 v14, v6
	v_cvt_f32_f16_sdwa v15, v6 dst_sel:DWORD dst_unused:UNUSED_PAD src0_sel:WORD_1
	v_cvt_f32_f16_e32 v6, v7
	v_cvt_f32_f16_sdwa v7, v7 dst_sel:DWORD dst_unused:UNUSED_PAD src0_sel:WORD_1
	v_mad_u64_u32 v[2:3], s[10:11], v2, 56, v[38:39]
	s_waitcnt lgkmcnt(3)
	v_pk_fma_f32 v[14:15], v[4:5], v[14:15], 0 op_sel_hi:[0,1,0]
	s_waitcnt lgkmcnt(2)
	v_pk_fma_f32 v[6:7], v[8:9], v[6:7], v[14:15] op_sel_hi:[0,1,1]
	s_waitcnt lgkmcnt(1)
	v_cvt_f32_f16_e32 v14, v10
	v_cvt_f32_f16_sdwa v15, v10 dst_sel:DWORD dst_unused:UNUSED_PAD src0_sel:WORD_1
	v_mov_b32_e32 v4, v9
	v_cvt_f32_f16_e32 v8, v11
	v_cvt_f32_f16_sdwa v9, v11 dst_sel:DWORD dst_unused:UNUSED_PAD src0_sel:WORD_1
	v_pk_fma_f32 v[6:7], v[4:5], v[14:15], v[6:7] op_sel_hi:[0,1,1]
	v_ashrrev_i32_e32 v3, 31, v2
	v_lshl_add_u64 v[2:3], v[2:3], 3, s[78:79]
	s_waitcnt lgkmcnt(0)
	v_pk_fma_f32 v[6:7], v[12:13], v[8:9], v[6:7] op_sel_hi:[0,1,1]
	v_div_scale_f32 v4, s[10:11], v5, v5, v7
	v_rcp_f32_e32 v8, v4
	s_nop 0
	v_fma_f32 v9, -v4, v8, 1.0
	v_fmac_f32_e32 v8, v9, v8
	v_div_scale_f32 v9, vcc, v7, v5, v7
	v_mul_f32_e32 v10, v9, v8
	v_fma_f32 v11, -v4, v10, v9
	v_fmac_f32_e32 v10, v11, v8
	v_fma_f32 v4, -v4, v10, v9
	v_div_fmas_f32 v4, v4, v8, v10
	v_div_fixup_f32 v7, v4, v5, v7
	v_div_scale_f32 v4, s[10:11], v5, v5, v6
	v_rcp_f32_e32 v8, v4
	s_nop 0
	v_fma_f32 v9, -v4, v8, 1.0
	v_fmac_f32_e32 v8, v9, v8
	v_div_scale_f32 v9, vcc, v6, v5, v6
	v_mul_f32_e32 v10, v9, v8
	v_fma_f32 v11, -v4, v10, v9
	v_fmac_f32_e32 v10, v11, v8
	v_fma_f32 v4, -v4, v10, v9
	v_div_fmas_f32 v4, v4, v8, v10
	v_div_fixup_f32 v6, v4, v5, v6
	global_store_dwordx2 v[2:3], v[6:7], off
	v_mov_b32_e32 v2, 0
.LBB19_176:                             ;   in Loop: Header=BB19_12 Depth=1
	s_or_b64 exec, exec, s[16:17]
	v_cmp_gt_i32_e32 vcc, s64, v2
	s_mov_b64 s[16:17], -1
	s_and_saveexec_b64 s[84:85], vcc
; %bb.177:                              ;   in Loop: Header=BB19_12 Depth=1
	v_cmp_eq_u32_e32 vcc, 0, v2
	s_orn2_b64 s[16:17], vcc, exec
; %bb.178:                              ;   in Loop: Header=BB19_12 Depth=1
	s_or_b64 exec, exec, s[84:85]
	s_and_b64 exec, exec, s[16:17]
	s_cbranch_execz .LBB19_201
; %bb.179:                              ;   in Loop: Header=BB19_12 Depth=1
	v_add_u32_e32 v3, s60, v176
	v_or_b32_e32 v2, s4, v104
	v_cmp_gt_i32_e32 vcc, s20, v3
	v_cmp_gt_i32_e64 s[16:17], s3, v2
	s_and_b64 s[10:11], vcc, s[16:17]
	v_mov_b32_e32 v2, 0x47
	s_and_saveexec_b64 s[16:17], s[10:11]
	s_cbranch_execz .LBB19_181
; %bb.180:                              ;   in Loop: Header=BB19_12 Depth=1
	v_mad_u64_u32 v[2:3], s[10:11], v3, s21, v[104:105]
	v_add_u32_e32 v3, v165, v147
	ds_read2st64_b32 v[6:7], v3 offset1:15
	v_add_u32_e32 v12, 0, v147
	ds_read2_b32 v[4:5], v12 offset0:56 offset1:57
	v_add_u32_e32 v8, 0xe0, v12
	ds_read2st64_b32 v[8:9], v8 offset0:15 offset1:30
	ds_read2st64_b32 v[10:11], v3 offset0:30 offset1:45
	ds_read_b32 v12, v12 offset:11744
	s_waitcnt lgkmcnt(4)
	v_cvt_f32_f16_e32 v14, v6
	v_cvt_f32_f16_sdwa v15, v6 dst_sel:DWORD dst_unused:UNUSED_PAD src0_sel:WORD_1
	v_cvt_f32_f16_e32 v6, v7
	v_cvt_f32_f16_sdwa v7, v7 dst_sel:DWORD dst_unused:UNUSED_PAD src0_sel:WORD_1
	v_mad_u64_u32 v[2:3], s[10:11], v2, 56, v[38:39]
	s_waitcnt lgkmcnt(3)
	v_pk_fma_f32 v[14:15], v[4:5], v[14:15], 0 op_sel_hi:[0,1,0]
	s_waitcnt lgkmcnt(2)
	v_pk_fma_f32 v[6:7], v[8:9], v[6:7], v[14:15] op_sel_hi:[0,1,1]
	s_waitcnt lgkmcnt(1)
	v_cvt_f32_f16_e32 v14, v10
	v_cvt_f32_f16_sdwa v15, v10 dst_sel:DWORD dst_unused:UNUSED_PAD src0_sel:WORD_1
	v_mov_b32_e32 v4, v9
	v_cvt_f32_f16_e32 v8, v11
	v_cvt_f32_f16_sdwa v9, v11 dst_sel:DWORD dst_unused:UNUSED_PAD src0_sel:WORD_1
	v_pk_fma_f32 v[6:7], v[4:5], v[14:15], v[6:7] op_sel_hi:[0,1,1]
	v_ashrrev_i32_e32 v3, 31, v2
	v_lshl_add_u64 v[2:3], v[2:3], 3, s[78:79]
	s_waitcnt lgkmcnt(0)
	v_pk_fma_f32 v[6:7], v[12:13], v[8:9], v[6:7] op_sel_hi:[0,1,1]
	v_div_scale_f32 v4, s[10:11], v5, v5, v7
	v_rcp_f32_e32 v8, v4
	s_nop 0
	v_fma_f32 v9, -v4, v8, 1.0
	v_fmac_f32_e32 v8, v9, v8
	v_div_scale_f32 v9, vcc, v7, v5, v7
	v_mul_f32_e32 v10, v9, v8
	v_fma_f32 v11, -v4, v10, v9
	v_fmac_f32_e32 v10, v11, v8
	v_fma_f32 v4, -v4, v10, v9
	v_div_fmas_f32 v4, v4, v8, v10
	v_div_fixup_f32 v7, v4, v5, v7
	v_div_scale_f32 v4, s[10:11], v5, v5, v6
	v_rcp_f32_e32 v8, v4
	s_nop 0
	v_fma_f32 v9, -v4, v8, 1.0
	v_fmac_f32_e32 v8, v9, v8
	v_div_scale_f32 v9, vcc, v6, v5, v6
	v_mul_f32_e32 v10, v9, v8
	v_fma_f32 v11, -v4, v10, v9
	v_fmac_f32_e32 v10, v11, v8
	v_fma_f32 v4, -v4, v10, v9
	v_div_fmas_f32 v4, v4, v8, v10
	v_div_fixup_f32 v6, v4, v5, v6
	global_store_dwordx2 v[2:3], v[6:7], off
	v_mov_b32_e32 v2, 0
.LBB19_181:                             ;   in Loop: Header=BB19_12 Depth=1
	s_or_b64 exec, exec, s[16:17]
	v_cmp_gt_i32_e32 vcc, s64, v2
	s_mov_b64 s[16:17], -1
	s_and_saveexec_b64 s[84:85], vcc
; %bb.182:                              ;   in Loop: Header=BB19_12 Depth=1
	v_cmp_eq_u32_e32 vcc, 0, v2
	s_orn2_b64 s[16:17], vcc, exec
; %bb.183:                              ;   in Loop: Header=BB19_12 Depth=1
	s_or_b64 exec, exec, s[84:85]
	s_and_b64 exec, exec, s[16:17]
	s_cbranch_execz .LBB19_201
; %bb.184:                              ;   in Loop: Header=BB19_12 Depth=1
	v_add_u32_e32 v3, s60, v148
	v_cmp_gt_i32_e32 vcc, s20, v3
	s_and_b64 s[10:11], vcc, s[12:13]
	v_mov_b32_e32 v2, 0x47
	s_and_saveexec_b64 s[16:17], s[10:11]
	s_cbranch_execz .LBB19_186
; %bb.185:                              ;   in Loop: Header=BB19_12 Depth=1
	v_mad_u64_u32 v[2:3], s[10:11], v3, s21, v[100:101]
	v_add_u32_e32 v3, v165, v149
	ds_read2st64_b32 v[6:7], v3 offset1:15
	v_add_u32_e32 v12, 0, v149
	ds_read2_b32 v[4:5], v12 offset0:56 offset1:57
	v_add_u32_e32 v8, 0xe0, v12
	ds_read2st64_b32 v[8:9], v8 offset0:15 offset1:30
	ds_read2st64_b32 v[10:11], v3 offset0:30 offset1:45
	ds_read_b32 v12, v12 offset:11744
	s_waitcnt lgkmcnt(4)
	v_cvt_f32_f16_e32 v14, v6
	v_cvt_f32_f16_sdwa v15, v6 dst_sel:DWORD dst_unused:UNUSED_PAD src0_sel:WORD_1
	v_cvt_f32_f16_e32 v6, v7
	v_cvt_f32_f16_sdwa v7, v7 dst_sel:DWORD dst_unused:UNUSED_PAD src0_sel:WORD_1
	v_mad_u64_u32 v[2:3], s[10:11], v2, 56, v[38:39]
	s_waitcnt lgkmcnt(3)
	v_pk_fma_f32 v[14:15], v[4:5], v[14:15], 0 op_sel_hi:[0,1,0]
	s_waitcnt lgkmcnt(2)
	v_pk_fma_f32 v[6:7], v[8:9], v[6:7], v[14:15] op_sel_hi:[0,1,1]
	s_waitcnt lgkmcnt(1)
	v_cvt_f32_f16_e32 v14, v10
	v_cvt_f32_f16_sdwa v15, v10 dst_sel:DWORD dst_unused:UNUSED_PAD src0_sel:WORD_1
	v_mov_b32_e32 v4, v9
	v_cvt_f32_f16_e32 v8, v11
	v_cvt_f32_f16_sdwa v9, v11 dst_sel:DWORD dst_unused:UNUSED_PAD src0_sel:WORD_1
	v_pk_fma_f32 v[6:7], v[4:5], v[14:15], v[6:7] op_sel_hi:[0,1,1]
	v_ashrrev_i32_e32 v3, 31, v2
	v_lshl_add_u64 v[2:3], v[2:3], 3, s[78:79]
	s_waitcnt lgkmcnt(0)
	v_pk_fma_f32 v[6:7], v[12:13], v[8:9], v[6:7] op_sel_hi:[0,1,1]
	v_div_scale_f32 v4, s[10:11], v5, v5, v7
	v_rcp_f32_e32 v8, v4
	s_nop 0
	v_fma_f32 v9, -v4, v8, 1.0
	v_fmac_f32_e32 v8, v9, v8
	v_div_scale_f32 v9, vcc, v7, v5, v7
	v_mul_f32_e32 v10, v9, v8
	v_fma_f32 v11, -v4, v10, v9
	v_fmac_f32_e32 v10, v11, v8
	v_fma_f32 v4, -v4, v10, v9
	v_div_fmas_f32 v4, v4, v8, v10
	v_div_fixup_f32 v7, v4, v5, v7
	v_div_scale_f32 v4, s[10:11], v5, v5, v6
	v_rcp_f32_e32 v8, v4
	s_nop 0
	v_fma_f32 v9, -v4, v8, 1.0
	v_fmac_f32_e32 v8, v9, v8
	v_div_scale_f32 v9, vcc, v6, v5, v6
	v_mul_f32_e32 v10, v9, v8
	v_fma_f32 v11, -v4, v10, v9
	v_fmac_f32_e32 v10, v11, v8
	v_fma_f32 v4, -v4, v10, v9
	v_div_fmas_f32 v4, v4, v8, v10
	v_div_fixup_f32 v6, v4, v5, v6
	global_store_dwordx2 v[2:3], v[6:7], off
	v_mov_b32_e32 v2, 0
.LBB19_186:                             ;   in Loop: Header=BB19_12 Depth=1
	s_or_b64 exec, exec, s[16:17]
	v_cmp_gt_i32_e32 vcc, s64, v2
	s_mov_b64 s[16:17], -1
	s_and_saveexec_b64 s[84:85], vcc
; %bb.187:                              ;   in Loop: Header=BB19_12 Depth=1
	v_cmp_eq_u32_e32 vcc, 0, v2
	s_orn2_b64 s[16:17], vcc, exec
; %bb.188:                              ;   in Loop: Header=BB19_12 Depth=1
	s_or_b64 exec, exec, s[84:85]
	s_and_b64 exec, exec, s[16:17]
	s_cbranch_execz .LBB19_201
; %bb.189:                              ;   in Loop: Header=BB19_12 Depth=1
	v_add_u32_e32 v3, s60, v177
	v_or_b32_e32 v2, s4, v106
	v_cmp_gt_i32_e32 vcc, s20, v3
	v_cmp_gt_i32_e64 s[16:17], s3, v2
	s_and_b64 s[10:11], vcc, s[16:17]
	v_mov_b32_e32 v2, 0x47
	s_and_saveexec_b64 s[16:17], s[10:11]
	s_cbranch_execz .LBB19_191
; %bb.190:                              ;   in Loop: Header=BB19_12 Depth=1
	v_mad_u64_u32 v[2:3], s[10:11], v3, s21, v[106:107]
	v_add_u32_e32 v3, v165, v150
	ds_read2st64_b32 v[6:7], v3 offset1:15
	v_add_u32_e32 v12, 0, v150
	ds_read2_b32 v[4:5], v12 offset0:56 offset1:57
	v_add_u32_e32 v8, 0xe0, v12
	ds_read2st64_b32 v[8:9], v8 offset0:15 offset1:30
	ds_read2st64_b32 v[10:11], v3 offset0:30 offset1:45
	ds_read_b32 v12, v12 offset:11744
	s_waitcnt lgkmcnt(4)
	v_cvt_f32_f16_e32 v14, v6
	v_cvt_f32_f16_sdwa v15, v6 dst_sel:DWORD dst_unused:UNUSED_PAD src0_sel:WORD_1
	v_cvt_f32_f16_e32 v6, v7
	v_cvt_f32_f16_sdwa v7, v7 dst_sel:DWORD dst_unused:UNUSED_PAD src0_sel:WORD_1
	v_mad_u64_u32 v[2:3], s[10:11], v2, 56, v[38:39]
	s_waitcnt lgkmcnt(3)
	v_pk_fma_f32 v[14:15], v[4:5], v[14:15], 0 op_sel_hi:[0,1,0]
	s_waitcnt lgkmcnt(2)
	v_pk_fma_f32 v[6:7], v[8:9], v[6:7], v[14:15] op_sel_hi:[0,1,1]
	s_waitcnt lgkmcnt(1)
	v_cvt_f32_f16_e32 v14, v10
	v_cvt_f32_f16_sdwa v15, v10 dst_sel:DWORD dst_unused:UNUSED_PAD src0_sel:WORD_1
	v_mov_b32_e32 v4, v9
	v_cvt_f32_f16_e32 v8, v11
	v_cvt_f32_f16_sdwa v9, v11 dst_sel:DWORD dst_unused:UNUSED_PAD src0_sel:WORD_1
	v_pk_fma_f32 v[6:7], v[4:5], v[14:15], v[6:7] op_sel_hi:[0,1,1]
	v_ashrrev_i32_e32 v3, 31, v2
	v_lshl_add_u64 v[2:3], v[2:3], 3, s[78:79]
	s_waitcnt lgkmcnt(0)
	v_pk_fma_f32 v[6:7], v[12:13], v[8:9], v[6:7] op_sel_hi:[0,1,1]
	v_div_scale_f32 v4, s[10:11], v5, v5, v7
	v_rcp_f32_e32 v8, v4
	s_nop 0
	v_fma_f32 v9, -v4, v8, 1.0
	v_fmac_f32_e32 v8, v9, v8
	v_div_scale_f32 v9, vcc, v7, v5, v7
	v_mul_f32_e32 v10, v9, v8
	v_fma_f32 v11, -v4, v10, v9
	v_fmac_f32_e32 v10, v11, v8
	v_fma_f32 v4, -v4, v10, v9
	v_div_fmas_f32 v4, v4, v8, v10
	v_div_fixup_f32 v7, v4, v5, v7
	v_div_scale_f32 v4, s[10:11], v5, v5, v6
	v_rcp_f32_e32 v8, v4
	s_nop 0
	v_fma_f32 v9, -v4, v8, 1.0
	v_fmac_f32_e32 v8, v9, v8
	v_div_scale_f32 v9, vcc, v6, v5, v6
	v_mul_f32_e32 v10, v9, v8
	v_fma_f32 v11, -v4, v10, v9
	v_fmac_f32_e32 v10, v11, v8
	v_fma_f32 v4, -v4, v10, v9
	v_div_fmas_f32 v4, v4, v8, v10
	v_div_fixup_f32 v6, v4, v5, v6
	global_store_dwordx2 v[2:3], v[6:7], off
	v_mov_b32_e32 v2, 0
.LBB19_191:                             ;   in Loop: Header=BB19_12 Depth=1
	s_or_b64 exec, exec, s[16:17]
	v_cmp_gt_i32_e32 vcc, s64, v2
	s_mov_b64 s[16:17], -1
	s_and_saveexec_b64 s[84:85], vcc
; %bb.192:                              ;   in Loop: Header=BB19_12 Depth=1
	v_cmp_eq_u32_e32 vcc, 0, v2
	s_orn2_b64 s[16:17], vcc, exec
; %bb.193:                              ;   in Loop: Header=BB19_12 Depth=1
	s_or_b64 exec, exec, s[84:85]
	s_and_b64 exec, exec, s[16:17]
	s_cbranch_execz .LBB19_201
; %bb.194:                              ;   in Loop: Header=BB19_12 Depth=1
	v_add_u32_e32 v3, s60, v151
	v_cmp_gt_i32_e32 vcc, s20, v3
	s_and_b64 s[10:11], vcc, s[12:13]
	v_mov_b32_e32 v2, 0x47
	s_and_saveexec_b64 s[12:13], s[10:11]
	s_cbranch_execz .LBB19_196
; %bb.195:                              ;   in Loop: Header=BB19_12 Depth=1
	v_mad_u64_u32 v[2:3], s[10:11], v3, s21, v[100:101]
	v_add_u32_e32 v3, v165, v152
	ds_read2st64_b32 v[6:7], v3 offset1:15
	v_add_u32_e32 v12, 0, v152
	ds_read2_b32 v[4:5], v12 offset0:56 offset1:57
	v_add_u32_e32 v8, 0xe0, v12
	ds_read2st64_b32 v[8:9], v8 offset0:15 offset1:30
	ds_read2st64_b32 v[10:11], v3 offset0:30 offset1:45
	ds_read_b32 v12, v12 offset:11744
	s_waitcnt lgkmcnt(4)
	v_cvt_f32_f16_e32 v14, v6
	v_cvt_f32_f16_sdwa v15, v6 dst_sel:DWORD dst_unused:UNUSED_PAD src0_sel:WORD_1
	v_cvt_f32_f16_e32 v6, v7
	v_cvt_f32_f16_sdwa v7, v7 dst_sel:DWORD dst_unused:UNUSED_PAD src0_sel:WORD_1
	v_mad_u64_u32 v[2:3], s[10:11], v2, 56, v[38:39]
	s_waitcnt lgkmcnt(3)
	v_pk_fma_f32 v[14:15], v[4:5], v[14:15], 0 op_sel_hi:[0,1,0]
	s_waitcnt lgkmcnt(2)
	v_pk_fma_f32 v[6:7], v[8:9], v[6:7], v[14:15] op_sel_hi:[0,1,1]
	s_waitcnt lgkmcnt(1)
	v_cvt_f32_f16_e32 v14, v10
	v_cvt_f32_f16_sdwa v15, v10 dst_sel:DWORD dst_unused:UNUSED_PAD src0_sel:WORD_1
	v_mov_b32_e32 v4, v9
	v_cvt_f32_f16_e32 v8, v11
	v_cvt_f32_f16_sdwa v9, v11 dst_sel:DWORD dst_unused:UNUSED_PAD src0_sel:WORD_1
	v_pk_fma_f32 v[6:7], v[4:5], v[14:15], v[6:7] op_sel_hi:[0,1,1]
	v_ashrrev_i32_e32 v3, 31, v2
	v_lshl_add_u64 v[2:3], v[2:3], 3, s[78:79]
	s_waitcnt lgkmcnt(0)
	v_pk_fma_f32 v[6:7], v[12:13], v[8:9], v[6:7] op_sel_hi:[0,1,1]
	v_div_scale_f32 v4, s[10:11], v5, v5, v7
	v_rcp_f32_e32 v8, v4
	s_nop 0
	v_fma_f32 v9, -v4, v8, 1.0
	v_fmac_f32_e32 v8, v9, v8
	v_div_scale_f32 v9, vcc, v7, v5, v7
	v_mul_f32_e32 v10, v9, v8
	v_fma_f32 v11, -v4, v10, v9
	v_fmac_f32_e32 v10, v11, v8
	v_fma_f32 v4, -v4, v10, v9
	v_div_fmas_f32 v4, v4, v8, v10
	v_div_fixup_f32 v7, v4, v5, v7
	v_div_scale_f32 v4, s[10:11], v5, v5, v6
	v_rcp_f32_e32 v8, v4
	s_nop 0
	v_fma_f32 v9, -v4, v8, 1.0
	v_fmac_f32_e32 v8, v9, v8
	v_div_scale_f32 v9, vcc, v6, v5, v6
	v_mul_f32_e32 v10, v9, v8
	v_fma_f32 v11, -v4, v10, v9
	v_fmac_f32_e32 v10, v11, v8
	v_fma_f32 v4, -v4, v10, v9
	v_div_fmas_f32 v4, v4, v8, v10
	v_div_fixup_f32 v6, v4, v5, v6
	global_store_dwordx2 v[2:3], v[6:7], off
	v_mov_b32_e32 v2, 0
.LBB19_196:                             ;   in Loop: Header=BB19_12 Depth=1
	s_or_b64 exec, exec, s[12:13]
	v_cmp_gt_i32_e32 vcc, s64, v2
	s_mov_b64 s[12:13], -1
	s_and_saveexec_b64 s[16:17], vcc
; %bb.197:                              ;   in Loop: Header=BB19_12 Depth=1
	v_cmp_eq_u32_e32 vcc, 0, v2
	s_orn2_b64 s[12:13], vcc, exec
; %bb.198:                              ;   in Loop: Header=BB19_12 Depth=1
	s_or_b64 exec, exec, s[16:17]
	s_and_b64 exec, exec, s[12:13]
	s_cbranch_execz .LBB19_201
; %bb.199:                              ;   in Loop: Header=BB19_12 Depth=1
	v_add_u32_e32 v2, s60, v178
	v_or_b32_e32 v3, s4, v108
	v_cmp_gt_i32_e32 vcc, s20, v2
	v_cmp_gt_i32_e64 s[12:13], s3, v3
	s_and_b64 s[10:11], vcc, s[12:13]
	s_and_b64 exec, exec, s[10:11]
	s_cbranch_execz .LBB19_201
; %bb.200:                              ;   in Loop: Header=BB19_12 Depth=1
	v_mad_u64_u32 v[2:3], s[10:11], v2, s21, v[108:109]
	v_add_u32_e32 v3, v165, v153
	ds_read2st64_b32 v[6:7], v3 offset1:15
	v_add_u32_e32 v12, 0, v153
	ds_read2_b32 v[4:5], v12 offset0:56 offset1:57
	v_add_u32_e32 v8, 0xe0, v12
	ds_read2st64_b32 v[8:9], v8 offset0:15 offset1:30
	ds_read2st64_b32 v[10:11], v3 offset0:30 offset1:45
	ds_read_b32 v12, v12 offset:11744
	s_waitcnt lgkmcnt(4)
	v_cvt_f32_f16_e32 v14, v6
	v_cvt_f32_f16_sdwa v15, v6 dst_sel:DWORD dst_unused:UNUSED_PAD src0_sel:WORD_1
	v_cvt_f32_f16_e32 v6, v7
	v_cvt_f32_f16_sdwa v7, v7 dst_sel:DWORD dst_unused:UNUSED_PAD src0_sel:WORD_1
	v_mad_u64_u32 v[2:3], s[10:11], v2, 56, v[38:39]
	s_waitcnt lgkmcnt(3)
	v_pk_fma_f32 v[14:15], v[4:5], v[14:15], 0 op_sel_hi:[0,1,0]
	s_waitcnt lgkmcnt(2)
	v_pk_fma_f32 v[6:7], v[8:9], v[6:7], v[14:15] op_sel_hi:[0,1,1]
	s_waitcnt lgkmcnt(1)
	v_cvt_f32_f16_e32 v14, v10
	v_cvt_f32_f16_sdwa v15, v10 dst_sel:DWORD dst_unused:UNUSED_PAD src0_sel:WORD_1
	v_mov_b32_e32 v4, v9
	v_cvt_f32_f16_e32 v8, v11
	v_cvt_f32_f16_sdwa v9, v11 dst_sel:DWORD dst_unused:UNUSED_PAD src0_sel:WORD_1
	v_pk_fma_f32 v[6:7], v[4:5], v[14:15], v[6:7] op_sel_hi:[0,1,1]
	v_ashrrev_i32_e32 v3, 31, v2
	v_lshl_add_u64 v[2:3], v[2:3], 3, s[78:79]
	s_waitcnt lgkmcnt(0)
	v_pk_fma_f32 v[6:7], v[12:13], v[8:9], v[6:7] op_sel_hi:[0,1,1]
	v_div_scale_f32 v4, s[10:11], v5, v5, v7
	v_rcp_f32_e32 v8, v4
	s_nop 0
	v_fma_f32 v9, -v4, v8, 1.0
	v_fmac_f32_e32 v8, v9, v8
	v_div_scale_f32 v9, vcc, v7, v5, v7
	v_mul_f32_e32 v10, v9, v8
	v_fma_f32 v11, -v4, v10, v9
	v_fmac_f32_e32 v10, v11, v8
	v_fma_f32 v4, -v4, v10, v9
	v_div_fmas_f32 v4, v4, v8, v10
	v_div_fixup_f32 v7, v4, v5, v7
	v_div_scale_f32 v4, s[10:11], v5, v5, v6
	v_rcp_f32_e32 v8, v4
	s_nop 0
	v_fma_f32 v9, -v4, v8, 1.0
	v_fmac_f32_e32 v8, v9, v8
	v_div_scale_f32 v9, vcc, v6, v5, v6
	v_mul_f32_e32 v10, v9, v8
	v_fma_f32 v11, -v4, v10, v9
	v_fmac_f32_e32 v10, v11, v8
	v_fma_f32 v4, -v4, v10, v9
	v_div_fmas_f32 v4, v4, v8, v10
	v_div_fixup_f32 v6, v4, v5, v6
	global_store_dwordx2 v[2:3], v[6:7], off
.LBB19_201:                             ;   in Loop: Header=BB19_12 Depth=1
	s_or_b64 exec, exec, s[82:83]
	v_add_u32_e32 v3, s60, v171
	v_or_b32_e32 v2, s4, v98
	v_cmp_gt_i32_e32 vcc, s20, v3
	v_cmp_gt_i32_e64 s[12:13], s3, v2
	s_and_b64 s[10:11], vcc, s[12:13]
	v_mov_b32_e32 v2, 0x47
	s_and_saveexec_b64 s[16:17], s[10:11]
	s_cbranch_execz .LBB19_203
; %bb.202:                              ;   in Loop: Header=BB19_12 Depth=1
	v_mad_u64_u32 v[2:3], s[10:11], v3, s21, v[98:99]
	v_add_u32_e32 v3, v135, v154
	v_add_u32_e32 v3, 0x80, v3
	ds_read2st64_b32 v[6:7], v3 offset1:15
	v_add_u32_e32 v12, 0, v154
	ds_read2_b32 v[4:5], v12 offset0:56 offset1:57
	v_add_u32_e32 v8, 0xe0, v12
	ds_read2st64_b32 v[8:9], v8 offset0:15 offset1:30
	ds_read2st64_b32 v[10:11], v3 offset0:30 offset1:45
	ds_read_b32 v12, v12 offset:11744
	s_waitcnt lgkmcnt(4)
	v_cvt_f32_f16_e32 v14, v6
	v_cvt_f32_f16_sdwa v15, v6 dst_sel:DWORD dst_unused:UNUSED_PAD src0_sel:WORD_1
	v_cvt_f32_f16_e32 v6, v7
	v_cvt_f32_f16_sdwa v7, v7 dst_sel:DWORD dst_unused:UNUSED_PAD src0_sel:WORD_1
	v_mul_lo_u32 v2, v2, 56
	s_waitcnt lgkmcnt(3)
	v_pk_fma_f32 v[14:15], v[4:5], v[14:15], 0 op_sel_hi:[0,1,0]
	s_waitcnt lgkmcnt(2)
	v_mov_b32_e32 v4, v9
	v_pk_fma_f32 v[6:7], v[8:9], v[6:7], v[14:15] op_sel_hi:[0,1,1]
	s_waitcnt lgkmcnt(1)
	v_cvt_f32_f16_e32 v14, v10
	v_cvt_f32_f16_sdwa v15, v10 dst_sel:DWORD dst_unused:UNUSED_PAD src0_sel:WORD_1
	v_cvt_f32_f16_e32 v8, v11
	v_cvt_f32_f16_sdwa v9, v11 dst_sel:DWORD dst_unused:UNUSED_PAD src0_sel:WORD_1
	v_ashrrev_i32_e32 v3, 31, v2
	v_pk_fma_f32 v[6:7], v[4:5], v[14:15], v[6:7] op_sel_hi:[0,1,1]
	v_lshl_add_u64 v[2:3], v[2:3], 0, v[40:41]
	s_waitcnt lgkmcnt(0)
	v_pk_fma_f32 v[6:7], v[12:13], v[8:9], v[6:7] op_sel_hi:[0,1,1]
	v_div_scale_f32 v4, s[10:11], v5, v5, v7
	v_rcp_f32_e32 v8, v4
	v_lshl_add_u64 v[2:3], v[2:3], 3, s[78:79]
	v_fma_f32 v9, -v4, v8, 1.0
	v_fmac_f32_e32 v8, v9, v8
	v_div_scale_f32 v9, vcc, v7, v5, v7
	v_mul_f32_e32 v10, v9, v8
	v_fma_f32 v11, -v4, v10, v9
	v_fmac_f32_e32 v10, v11, v8
	v_fma_f32 v4, -v4, v10, v9
	v_div_fmas_f32 v4, v4, v8, v10
	v_div_fixup_f32 v7, v4, v5, v7
	v_div_scale_f32 v4, s[10:11], v5, v5, v6
	v_rcp_f32_e32 v8, v4
	s_nop 0
	v_fma_f32 v9, -v4, v8, 1.0
	v_fmac_f32_e32 v8, v9, v8
	v_div_scale_f32 v9, vcc, v6, v5, v6
	v_mul_f32_e32 v10, v9, v8
	v_fma_f32 v11, -v4, v10, v9
	v_fmac_f32_e32 v10, v11, v8
	v_fma_f32 v4, -v4, v10, v9
	v_div_fmas_f32 v4, v4, v8, v10
	v_div_fixup_f32 v6, v4, v5, v6
	global_store_dwordx2 v[2:3], v[6:7], off offset:256
	v_mov_b32_e32 v2, 0
.LBB19_203:                             ;   in Loop: Header=BB19_12 Depth=1
	s_or_b64 exec, exec, s[16:17]
	v_cmp_gt_i32_e32 vcc, s64, v2
	s_mov_b64 s[82:83], -1
	s_and_saveexec_b64 s[16:17], vcc
; %bb.204:                              ;   in Loop: Header=BB19_12 Depth=1
	v_cmp_eq_u32_e32 vcc, 0, v2
	s_orn2_b64 s[82:83], vcc, exec
; %bb.205:                              ;   in Loop: Header=BB19_12 Depth=1
	s_or_b64 exec, exec, s[16:17]
	s_and_saveexec_b64 s[16:17], s[82:83]
	s_cbranch_execz .LBB19_218
; %bb.206:                              ;   in Loop: Header=BB19_12 Depth=1
	v_add_u32_e32 v3, s60, v155
	v_cmp_gt_i32_e32 vcc, s20, v3
	s_and_b64 s[10:11], vcc, s[12:13]
	v_mov_b32_e32 v2, 0x47
	s_and_saveexec_b64 s[82:83], s[10:11]
	s_cbranch_execz .LBB19_208
; %bb.207:                              ;   in Loop: Header=BB19_12 Depth=1
	v_mad_u64_u32 v[2:3], s[10:11], v3, s21, v[98:99]
	v_add_u32_e32 v3, v135, v156
	v_add_u32_e32 v3, 0x80, v3
	ds_read2st64_b32 v[6:7], v3 offset1:15
	v_add_u32_e32 v12, 0, v156
	ds_read2_b32 v[4:5], v12 offset0:56 offset1:57
	v_add_u32_e32 v8, 0xe0, v12
	ds_read2st64_b32 v[8:9], v8 offset0:15 offset1:30
	ds_read2st64_b32 v[10:11], v3 offset0:30 offset1:45
	ds_read_b32 v12, v12 offset:11744
	s_waitcnt lgkmcnt(4)
	v_cvt_f32_f16_e32 v14, v6
	v_cvt_f32_f16_sdwa v15, v6 dst_sel:DWORD dst_unused:UNUSED_PAD src0_sel:WORD_1
	v_cvt_f32_f16_e32 v6, v7
	v_cvt_f32_f16_sdwa v7, v7 dst_sel:DWORD dst_unused:UNUSED_PAD src0_sel:WORD_1
	v_mul_lo_u32 v2, v2, 56
	s_waitcnt lgkmcnt(3)
	v_pk_fma_f32 v[14:15], v[4:5], v[14:15], 0 op_sel_hi:[0,1,0]
	s_waitcnt lgkmcnt(2)
	v_mov_b32_e32 v4, v9
	v_pk_fma_f32 v[6:7], v[8:9], v[6:7], v[14:15] op_sel_hi:[0,1,1]
	s_waitcnt lgkmcnt(1)
	v_cvt_f32_f16_e32 v14, v10
	v_cvt_f32_f16_sdwa v15, v10 dst_sel:DWORD dst_unused:UNUSED_PAD src0_sel:WORD_1
	v_cvt_f32_f16_e32 v8, v11
	v_cvt_f32_f16_sdwa v9, v11 dst_sel:DWORD dst_unused:UNUSED_PAD src0_sel:WORD_1
	v_ashrrev_i32_e32 v3, 31, v2
	v_pk_fma_f32 v[6:7], v[4:5], v[14:15], v[6:7] op_sel_hi:[0,1,1]
	v_lshl_add_u64 v[2:3], v[2:3], 0, v[40:41]
	s_waitcnt lgkmcnt(0)
	v_pk_fma_f32 v[6:7], v[12:13], v[8:9], v[6:7] op_sel_hi:[0,1,1]
	v_div_scale_f32 v4, s[10:11], v5, v5, v7
	v_rcp_f32_e32 v8, v4
	v_lshl_add_u64 v[2:3], v[2:3], 3, s[78:79]
	v_fma_f32 v9, -v4, v8, 1.0
	v_fmac_f32_e32 v8, v9, v8
	v_div_scale_f32 v9, vcc, v7, v5, v7
	v_mul_f32_e32 v10, v9, v8
	v_fma_f32 v11, -v4, v10, v9
	v_fmac_f32_e32 v10, v11, v8
	v_fma_f32 v4, -v4, v10, v9
	v_div_fmas_f32 v4, v4, v8, v10
	v_div_fixup_f32 v7, v4, v5, v7
	v_div_scale_f32 v4, s[10:11], v5, v5, v6
	v_rcp_f32_e32 v8, v4
	s_nop 0
	v_fma_f32 v9, -v4, v8, 1.0
	v_fmac_f32_e32 v8, v9, v8
	v_div_scale_f32 v9, vcc, v6, v5, v6
	v_mul_f32_e32 v10, v9, v8
	v_fma_f32 v11, -v4, v10, v9
	v_fmac_f32_e32 v10, v11, v8
	v_fma_f32 v4, -v4, v10, v9
	v_div_fmas_f32 v4, v4, v8, v10
	v_div_fixup_f32 v6, v4, v5, v6
	global_store_dwordx2 v[2:3], v[6:7], off offset:256
	v_mov_b32_e32 v2, 0
.LBB19_208:                             ;   in Loop: Header=BB19_12 Depth=1
	s_or_b64 exec, exec, s[82:83]
	v_cmp_gt_i32_e32 vcc, s64, v2
	s_mov_b64 s[82:83], -1
	s_and_saveexec_b64 s[84:85], vcc
; %bb.209:                              ;   in Loop: Header=BB19_12 Depth=1
	v_cmp_eq_u32_e32 vcc, 0, v2
	s_orn2_b64 s[82:83], vcc, exec
; %bb.210:                              ;   in Loop: Header=BB19_12 Depth=1
	s_or_b64 exec, exec, s[84:85]
	s_and_b64 exec, exec, s[82:83]
	s_cbranch_execz .LBB19_218
; %bb.211:                              ;   in Loop: Header=BB19_12 Depth=1
	v_add_u32_e32 v3, s60, v157
	v_cmp_gt_i32_e32 vcc, s20, v3
	s_and_b64 s[10:11], vcc, s[12:13]
	v_mov_b32_e32 v2, 0x47
	s_and_saveexec_b64 s[82:83], s[10:11]
	s_cbranch_execz .LBB19_213
; %bb.212:                              ;   in Loop: Header=BB19_12 Depth=1
	v_mad_u64_u32 v[2:3], s[10:11], v3, s21, v[98:99]
	v_add_u32_e32 v3, v135, v158
	v_add_u32_e32 v3, 0x80, v3
	ds_read2st64_b32 v[6:7], v3 offset1:15
	v_add_u32_e32 v12, 0, v158
	ds_read2_b32 v[4:5], v12 offset0:56 offset1:57
	v_add_u32_e32 v8, 0xe0, v12
	ds_read2st64_b32 v[8:9], v8 offset0:15 offset1:30
	ds_read2st64_b32 v[10:11], v3 offset0:30 offset1:45
	ds_read_b32 v12, v12 offset:11744
	s_waitcnt lgkmcnt(4)
	v_cvt_f32_f16_e32 v14, v6
	v_cvt_f32_f16_sdwa v15, v6 dst_sel:DWORD dst_unused:UNUSED_PAD src0_sel:WORD_1
	v_cvt_f32_f16_e32 v6, v7
	v_cvt_f32_f16_sdwa v7, v7 dst_sel:DWORD dst_unused:UNUSED_PAD src0_sel:WORD_1
	v_mul_lo_u32 v2, v2, 56
	s_waitcnt lgkmcnt(3)
	v_pk_fma_f32 v[14:15], v[4:5], v[14:15], 0 op_sel_hi:[0,1,0]
	s_waitcnt lgkmcnt(2)
	v_mov_b32_e32 v4, v9
	v_pk_fma_f32 v[6:7], v[8:9], v[6:7], v[14:15] op_sel_hi:[0,1,1]
	s_waitcnt lgkmcnt(1)
	v_cvt_f32_f16_e32 v14, v10
	v_cvt_f32_f16_sdwa v15, v10 dst_sel:DWORD dst_unused:UNUSED_PAD src0_sel:WORD_1
	v_cvt_f32_f16_e32 v8, v11
	v_cvt_f32_f16_sdwa v9, v11 dst_sel:DWORD dst_unused:UNUSED_PAD src0_sel:WORD_1
	v_ashrrev_i32_e32 v3, 31, v2
	v_pk_fma_f32 v[6:7], v[4:5], v[14:15], v[6:7] op_sel_hi:[0,1,1]
	v_lshl_add_u64 v[2:3], v[2:3], 0, v[40:41]
	s_waitcnt lgkmcnt(0)
	v_pk_fma_f32 v[6:7], v[12:13], v[8:9], v[6:7] op_sel_hi:[0,1,1]
	v_div_scale_f32 v4, s[10:11], v5, v5, v7
	v_rcp_f32_e32 v8, v4
	v_lshl_add_u64 v[2:3], v[2:3], 3, s[78:79]
	v_fma_f32 v9, -v4, v8, 1.0
	v_fmac_f32_e32 v8, v9, v8
	v_div_scale_f32 v9, vcc, v7, v5, v7
	v_mul_f32_e32 v10, v9, v8
	v_fma_f32 v11, -v4, v10, v9
	v_fmac_f32_e32 v10, v11, v8
	v_fma_f32 v4, -v4, v10, v9
	v_div_fmas_f32 v4, v4, v8, v10
	v_div_fixup_f32 v7, v4, v5, v7
	v_div_scale_f32 v4, s[10:11], v5, v5, v6
	v_rcp_f32_e32 v8, v4
	s_nop 0
	v_fma_f32 v9, -v4, v8, 1.0
	v_fmac_f32_e32 v8, v9, v8
	v_div_scale_f32 v9, vcc, v6, v5, v6
	v_mul_f32_e32 v10, v9, v8
	v_fma_f32 v11, -v4, v10, v9
	v_fmac_f32_e32 v10, v11, v8
	v_fma_f32 v4, -v4, v10, v9
	v_div_fmas_f32 v4, v4, v8, v10
	v_div_fixup_f32 v6, v4, v5, v6
	global_store_dwordx2 v[2:3], v[6:7], off offset:256
	v_mov_b32_e32 v2, 0
.LBB19_213:                             ;   in Loop: Header=BB19_12 Depth=1
	s_or_b64 exec, exec, s[82:83]
	v_cmp_gt_i32_e32 vcc, s64, v2
	s_mov_b64 s[82:83], -1
	s_and_saveexec_b64 s[84:85], vcc
; %bb.214:                              ;   in Loop: Header=BB19_12 Depth=1
	v_cmp_eq_u32_e32 vcc, 0, v2
	s_orn2_b64 s[82:83], vcc, exec
; %bb.215:                              ;   in Loop: Header=BB19_12 Depth=1
	s_or_b64 exec, exec, s[84:85]
	s_and_b64 exec, exec, s[82:83]
	s_cbranch_execz .LBB19_218
; %bb.216:                              ;   in Loop: Header=BB19_12 Depth=1
	v_add_u32_e32 v2, s60, v159
	v_cmp_gt_i32_e32 vcc, s20, v2
	s_and_b64 s[10:11], vcc, s[12:13]
	s_and_b64 exec, exec, s[10:11]
	s_cbranch_execz .LBB19_218
; %bb.217:                              ;   in Loop: Header=BB19_12 Depth=1
	v_mad_u64_u32 v[2:3], s[10:11], v2, s21, v[98:99]
	v_add_u32_e32 v3, v135, v160
	v_add_u32_e32 v3, 0x80, v3
	ds_read2st64_b32 v[6:7], v3 offset1:15
	v_add_u32_e32 v12, 0, v160
	ds_read2_b32 v[4:5], v12 offset0:56 offset1:57
	v_add_u32_e32 v8, 0xe0, v12
	ds_read2st64_b32 v[8:9], v8 offset0:15 offset1:30
	ds_read2st64_b32 v[10:11], v3 offset0:30 offset1:45
	ds_read_b32 v12, v12 offset:11744
	s_waitcnt lgkmcnt(4)
	v_cvt_f32_f16_e32 v14, v6
	v_cvt_f32_f16_sdwa v15, v6 dst_sel:DWORD dst_unused:UNUSED_PAD src0_sel:WORD_1
	v_cvt_f32_f16_e32 v6, v7
	v_cvt_f32_f16_sdwa v7, v7 dst_sel:DWORD dst_unused:UNUSED_PAD src0_sel:WORD_1
	v_mul_lo_u32 v2, v2, 56
	s_waitcnt lgkmcnt(3)
	v_pk_fma_f32 v[14:15], v[4:5], v[14:15], 0 op_sel_hi:[0,1,0]
	s_waitcnt lgkmcnt(2)
	v_mov_b32_e32 v4, v9
	v_pk_fma_f32 v[6:7], v[8:9], v[6:7], v[14:15] op_sel_hi:[0,1,1]
	s_waitcnt lgkmcnt(1)
	v_cvt_f32_f16_e32 v14, v10
	v_cvt_f32_f16_sdwa v15, v10 dst_sel:DWORD dst_unused:UNUSED_PAD src0_sel:WORD_1
	v_cvt_f32_f16_e32 v8, v11
	v_cvt_f32_f16_sdwa v9, v11 dst_sel:DWORD dst_unused:UNUSED_PAD src0_sel:WORD_1
	v_ashrrev_i32_e32 v3, 31, v2
	v_pk_fma_f32 v[6:7], v[4:5], v[14:15], v[6:7] op_sel_hi:[0,1,1]
	v_lshl_add_u64 v[2:3], v[2:3], 0, v[40:41]
	s_waitcnt lgkmcnt(0)
	v_pk_fma_f32 v[6:7], v[12:13], v[8:9], v[6:7] op_sel_hi:[0,1,1]
	v_div_scale_f32 v4, s[10:11], v5, v5, v7
	v_rcp_f32_e32 v8, v4
	v_lshl_add_u64 v[2:3], v[2:3], 3, s[78:79]
	v_fma_f32 v9, -v4, v8, 1.0
	v_fmac_f32_e32 v8, v9, v8
	v_div_scale_f32 v9, vcc, v7, v5, v7
	v_mul_f32_e32 v10, v9, v8
	v_fma_f32 v11, -v4, v10, v9
	v_fmac_f32_e32 v10, v11, v8
	v_fma_f32 v4, -v4, v10, v9
	v_div_fmas_f32 v4, v4, v8, v10
	v_div_fixup_f32 v7, v4, v5, v7
	v_div_scale_f32 v4, s[10:11], v5, v5, v6
	v_rcp_f32_e32 v8, v4
	s_nop 0
	v_fma_f32 v9, -v4, v8, 1.0
	v_fmac_f32_e32 v8, v9, v8
	v_div_scale_f32 v9, vcc, v6, v5, v6
	v_mul_f32_e32 v10, v9, v8
	v_fma_f32 v11, -v4, v10, v9
	v_fmac_f32_e32 v10, v11, v8
	v_fma_f32 v4, -v4, v10, v9
	v_div_fmas_f32 v4, v4, v8, v10
	v_div_fixup_f32 v6, v4, v5, v6
	global_store_dwordx2 v[2:3], v[6:7], off offset:256
.LBB19_218:                             ;   in Loop: Header=BB19_12 Depth=1
	s_or_b64 exec, exec, s[16:17]
	v_or_b32_e32 v2, s4, v94
	v_add_u32_e32 v3, s60, v161
	v_cmp_gt_i32_e64 s[12:13], s3, v2
	v_cmp_gt_i32_e32 vcc, s20, v3
	s_and_b64 s[4:5], vcc, s[12:13]
	v_mov_b32_e32 v2, 0x47
	s_and_saveexec_b64 s[16:17], s[4:5]
	s_cbranch_execz .LBB19_220
; %bb.219:                              ;   in Loop: Header=BB19_12 Depth=1
	v_mad_u64_u32 v[2:3], s[4:5], v3, s21, v[94:95]
	v_mul_lo_u32 v11, v2, 56
	v_add_u32_e32 v2, v141, v162
	v_add_u32_e32 v8, 0xc0, v2
	ds_read2st64_b32 v[2:3], v8 offset1:15
	v_add_u32_e32 v10, 0, v162
	ds_read2_b32 v[4:5], v10 offset0:56 offset1:57
	v_add_u32_e32 v6, 0xe0, v10
	ds_read2st64_b32 v[6:7], v6 offset0:15 offset1:30
	ds_read2st64_b32 v[8:9], v8 offset0:30 offset1:45
	ds_read_b32 v10, v10 offset:11744
	s_waitcnt lgkmcnt(4)
	v_cvt_f32_f16_e32 v14, v2
	v_cvt_f32_f16_sdwa v15, v2 dst_sel:DWORD dst_unused:UNUSED_PAD src0_sel:WORD_1
	v_cvt_f32_f16_e32 v2, v3
	v_cvt_f32_f16_sdwa v3, v3 dst_sel:DWORD dst_unused:UNUSED_PAD src0_sel:WORD_1
	v_ashrrev_i32_e32 v13, 31, v11
	s_waitcnt lgkmcnt(3)
	v_pk_fma_f32 v[14:15], v[4:5], v[14:15], 0 op_sel_hi:[0,1,0]
	s_waitcnt lgkmcnt(2)
	v_mov_b32_e32 v4, v7
	v_pk_fma_f32 v[2:3], v[6:7], v[2:3], v[14:15] op_sel_hi:[0,1,1]
	s_waitcnt lgkmcnt(1)
	v_cvt_f32_f16_e32 v14, v8
	v_cvt_f32_f16_sdwa v15, v8 dst_sel:DWORD dst_unused:UNUSED_PAD src0_sel:WORD_1
	v_cvt_f32_f16_e32 v6, v9
	v_cvt_f32_f16_sdwa v7, v9 dst_sel:DWORD dst_unused:UNUSED_PAD src0_sel:WORD_1
	v_or_b32_e32 v12, v11, v54
	v_pk_fma_f32 v[2:3], v[4:5], v[14:15], v[2:3] op_sel_hi:[0,1,1]
	v_lshl_add_u64 v[12:13], v[12:13], 3, s[78:79]
	s_waitcnt lgkmcnt(0)
	v_pk_fma_f32 v[2:3], v[10:11], v[6:7], v[2:3] op_sel_hi:[0,1,1]
	v_div_scale_f32 v4, s[4:5], v5, v5, v3
	v_rcp_f32_e32 v6, v4
	s_nop 0
	v_fma_f32 v7, -v4, v6, 1.0
	v_fmac_f32_e32 v6, v7, v6
	v_div_scale_f32 v7, vcc, v3, v5, v3
	v_mul_f32_e32 v8, v7, v6
	v_fma_f32 v9, -v4, v8, v7
	v_fmac_f32_e32 v8, v9, v6
	v_fma_f32 v4, -v4, v8, v7
	v_div_fmas_f32 v4, v4, v6, v8
	v_div_fixup_f32 v3, v4, v5, v3
	v_div_scale_f32 v4, s[4:5], v5, v5, v2
	v_rcp_f32_e32 v6, v4
	s_nop 0
	v_fma_f32 v7, -v4, v6, 1.0
	v_fmac_f32_e32 v6, v7, v6
	v_div_scale_f32 v7, vcc, v2, v5, v2
	v_mul_f32_e32 v8, v7, v6
	v_fma_f32 v9, -v4, v8, v7
	v_fmac_f32_e32 v8, v9, v6
	v_fma_f32 v4, -v4, v8, v7
	v_div_fmas_f32 v4, v4, v6, v8
	v_div_fixup_f32 v2, v4, v5, v2
	global_store_dwordx2 v[12:13], v[2:3], off offset:384
	v_mov_b32_e32 v2, 0
.LBB19_220:                             ;   in Loop: Header=BB19_12 Depth=1
	s_or_b64 exec, exec, s[16:17]
	v_cmp_gt_i32_e32 vcc, s64, v2
	s_mov_b64 s[16:17], -1
	s_and_saveexec_b64 s[82:83], vcc
; %bb.221:                              ;   in Loop: Header=BB19_12 Depth=1
	v_cmp_eq_u32_e32 vcc, 0, v2
	s_orn2_b64 s[16:17], vcc, exec
; %bb.222:                              ;   in Loop: Header=BB19_12 Depth=1
	s_or_b64 exec, exec, s[82:83]
	s_and_b64 exec, exec, s[16:17]
	s_cbranch_execz .LBB19_10
; %bb.223:                              ;   in Loop: Header=BB19_12 Depth=1
	v_add_u32_e32 v2, s60, v163
	v_cmp_gt_i32_e32 vcc, s20, v2
	s_and_b64 s[4:5], vcc, s[12:13]
	s_and_b64 exec, exec, s[4:5]
	s_cbranch_execz .LBB19_10
; %bb.224:                              ;   in Loop: Header=BB19_12 Depth=1
	v_add_u32_e32 v3, v141, v164
	v_add_u32_e32 v10, 0xc0, v3
	ds_read2st64_b32 v[6:7], v10 offset1:15
	v_add_u32_e32 v12, 0, v164
	v_mad_u64_u32 v[2:3], s[4:5], v2, s21, v[94:95]
	v_add_u32_e32 v8, 0xe0, v12
	ds_read2_b32 v[4:5], v12 offset0:56 offset1:57
	v_mul_lo_u32 v16, v2, 56
	s_waitcnt lgkmcnt(1)
	v_cvt_f32_f16_e32 v2, v6
	v_cvt_f32_f16_sdwa v3, v6 dst_sel:DWORD dst_unused:UNUSED_PAD src0_sel:WORD_1
	ds_read2st64_b32 v[8:9], v8 offset0:15 offset1:30
	ds_read2st64_b32 v[10:11], v10 offset0:30 offset1:45
	ds_read_b32 v6, v12 offset:11744
	v_cvt_f32_f16_e32 v12, v7
	v_cvt_f32_f16_sdwa v13, v7 dst_sel:DWORD dst_unused:UNUSED_PAD src0_sel:WORD_1
	s_waitcnt lgkmcnt(3)
	v_pk_fma_f32 v[2:3], v[4:5], v[2:3], 0 op_sel_hi:[0,1,0]
	s_waitcnt lgkmcnt(1)
	v_cvt_f32_f16_e32 v14, v10
	v_cvt_f32_f16_sdwa v15, v10 dst_sel:DWORD dst_unused:UNUSED_PAD src0_sel:WORD_1
	v_cvt_f32_f16_e32 v10, v11
	v_cvt_f32_f16_sdwa v11, v11 dst_sel:DWORD dst_unused:UNUSED_PAD src0_sel:WORD_1
	v_pk_fma_f32 v[2:3], v[8:9], v[12:13], v[2:3] op_sel_hi:[0,1,1]
	v_mov_b32_e32 v4, v9
	v_pk_fma_f32 v[2:3], v[4:5], v[14:15], v[2:3] op_sel_hi:[0,1,1]
	s_waitcnt lgkmcnt(0)
	v_pk_fma_f32 v[2:3], v[6:7], v[10:11], v[2:3] op_sel_hi:[0,1,1]
	v_div_scale_f32 v4, s[4:5], v5, v5, v3
	v_rcp_f32_e32 v8, v4
	v_ashrrev_i32_e32 v7, 31, v16
	v_or_b32_e32 v6, v16, v54
	v_lshl_add_u64 v[6:7], v[6:7], 3, s[78:79]
	v_fma_f32 v9, -v4, v8, 1.0
	v_fmac_f32_e32 v8, v9, v8
	v_div_scale_f32 v9, vcc, v3, v5, v3
	v_mul_f32_e32 v10, v9, v8
	v_fma_f32 v11, -v4, v10, v9
	v_fmac_f32_e32 v10, v11, v8
	v_fma_f32 v4, -v4, v10, v9
	v_div_scale_f32 v9, s[4:5], v5, v5, v2
	v_rcp_f32_e32 v11, v9
	v_div_fmas_f32 v4, v4, v8, v10
	v_div_fixup_f32 v3, v4, v5, v3
	v_fma_f32 v4, -v9, v11, 1.0
	v_fmac_f32_e32 v11, v4, v11
	v_div_scale_f32 v4, vcc, v2, v5, v2
	v_mul_f32_e32 v8, v4, v11
	v_fma_f32 v10, -v9, v8, v4
	v_fmac_f32_e32 v8, v10, v11
	v_fma_f32 v4, -v9, v8, v4
	v_div_fmas_f32 v4, v4, v11, v8
	v_div_fixup_f32 v2, v4, v5, v2
	global_store_dwordx2 v[6:7], v[2:3], off offset:384
	s_branch .LBB19_10
.LBB19_225:
	v_readlane_b32 s33, v194, 14
	v_readlane_b32 s55, v194, 7
	;; [unrolled: 1-line block ×7, first 2 shown]
	s_andn2_b64 vcc, exec, s[12:13]
	s_cbranch_vccnz .LBB19_8
.LBB19_226:
	v_readlane_b32 s7, v194, 3
	s_abs_i32 s0, s7
	v_cvt_f32_u32_e32 v2, s0
	s_sub_i32 s4, 0, s0
	s_abs_i32 s2, s58
	s_xor_b32 s1, s58, s7
	v_rcp_iflag_f32_e32 v2, v2
	s_ashr_i32 s1, s1, 31
	v_readlane_b32 s11, v194, 2
	v_readlane_b32 s10, v194, 1
	v_mul_f32_e32 v2, 0x4f7ffffe, v2
	v_cvt_u32_f32_e32 v2, v2
	v_mov_b32_e32 v12, s15
	v_readfirstlane_b32 s5, v2
	s_mul_i32 s4, s4, s5
	s_mul_hi_u32 s4, s5, s4
	s_add_i32 s5, s5, s4
	s_mul_hi_u32 s4, s2, s5
	s_mul_i32 s5, s4, s0
	s_sub_i32 s2, s2, s5
	s_add_i32 s6, s4, 1
	s_sub_i32 s5, s2, s0
	s_cmp_ge_u32 s2, s0
	s_cselect_b32 s4, s6, s4
	s_cselect_b32 s2, s5, s2
	s_add_i32 s5, s4, 1
	s_cmp_ge_u32 s2, s0
	s_cselect_b32 s0, s5, s4
	s_abs_i32 s2, s11
	v_cvt_f32_u32_e32 v2, s2
	s_xor_b32 s0, s0, s1
	s_sub_i32 s4, 0, s2
	s_sub_i32 s8, s0, s1
	v_rcp_iflag_f32_e32 v2, v2
	s_mul_i32 s0, s8, s7
	s_sub_i32 s0, s58, s0
	s_abs_i32 s5, s0
	v_mul_f32_e32 v2, 0x4f7ffffe, v2
	v_cvt_u32_f32_e32 v2, v2
	s_xor_b32 s1, s0, s11
	s_ashr_i32 s1, s1, 31
	v_readfirstlane_b32 s6, v2
	s_mul_i32 s4, s4, s6
	s_mul_hi_u32 s4, s6, s4
	s_add_i32 s6, s6, s4
	s_mul_hi_u32 s4, s5, s6
	s_mul_i32 s6, s4, s2
	s_sub_i32 s5, s5, s6
	s_add_i32 s7, s4, 1
	s_sub_i32 s6, s5, s2
	s_cmp_ge_u32 s5, s2
	s_cselect_b32 s4, s7, s4
	s_cselect_b32 s5, s6, s5
	s_add_i32 s6, s4, 1
	s_cmp_ge_u32 s5, s2
	s_cselect_b32 s2, s6, s4
	s_abs_i32 s4, s10
	v_cvt_f32_u32_e32 v2, s4
	s_xor_b32 s2, s2, s1
	s_sub_i32 s5, 0, s4
	s_sub_i32 s9, s2, s1
	v_rcp_iflag_f32_e32 v2, v2
	s_mul_i32 s1, s9, s11
	s_sub_i32 s1, s0, s1
	s_abs_i32 s2, s1
	v_mul_f32_e32 v2, 0x4f7ffffe, v2
	v_cvt_u32_f32_e32 v2, v2
	s_xor_b32 s0, s1, s10
	s_ashr_i32 s0, s0, 31
	v_readfirstlane_b32 s6, v2
	s_mul_i32 s5, s5, s6
	s_mul_hi_u32 s5, s6, s5
	s_add_i32 s6, s6, s5
	s_mul_hi_u32 s5, s2, s6
	s_mul_i32 s6, s5, s4
	s_sub_i32 s2, s2, s6
	s_add_i32 s7, s5, 1
	s_sub_i32 s6, s2, s4
	s_cmp_ge_u32 s2, s4
	s_cselect_b32 s5, s7, s5
	s_cselect_b32 s2, s6, s2
	s_add_i32 s6, s5, 1
	s_cmp_ge_u32 s2, s4
	s_cselect_b32 s2, s6, s5
	s_xor_b32 s2, s2, s0
	s_sub_i32 s0, s2, s0
	s_mul_i32 s2, s0, s10
	s_sub_i32 s1, s1, s2
	s_ashr_i32 s2, s1, 31
	v_readlane_b32 s4, v194, 6
	s_abs_i32 s1, s1
	s_xor_b32 s2, s2, s4
	s_mul_hi_u32 s4, s1, s54
	s_mul_i32 s5, s4, s63
	s_sub_i32 s1, s1, s5
	s_add_i32 s5, s4, 1
	s_sub_i32 s6, s1, s63
	s_cmp_ge_u32 s1, s63
	s_cselect_b32 s4, s5, s4
	s_cselect_b32 s1, s6, s1
	s_add_i32 s5, s4, 1
	s_cmp_ge_u32 s1, s63
	s_cselect_b32 s1, s5, s4
	s_abs_i32 s10, s70
	v_cvt_f32_u32_e32 v2, s10
	s_xor_b32 s1, s1, s2
	s_sub_i32 s1, s1, s2
	s_cmp_eq_u64 s[46:47], 0
	v_rcp_iflag_f32_e32 v2, v2
	s_nop 0
	v_mul_f32_e32 v2, 0x4f7ffffe, v2
	v_cvt_u32_f32_e32 v2, v2
	s_nop 0
	v_readfirstlane_b32 s12, v2
	s_cbranch_scc1 .LBB19_228
; %bb.227:
	v_readlane_b32 s2, v194, 0
	s_mul_i32 s2, s8, s2
	s_add_i32 s4, s1, s2
	s_ashr_i32 s5, s4, 31
	s_lshl_b64 s[4:5], s[4:5], 2
	s_add_u32 s4, s46, s4
	s_addc_u32 s5, s47, s5
	v_mov_b32_e32 v2, 0
	global_load_dword v2, v2, s[4:5]
	s_waitcnt vmcnt(0)
	v_ashrrev_i32_e32 v3, 31, v2
	v_lshrrev_b32_e32 v3, 26, v3
	v_add_u32_e32 v2, v2, v3
	v_ashrrev_i32_e32 v2, 6, v2
	v_min_i32_e32 v12, s15, v2
.LBB19_228:
	s_mul_i32 s2, s9, s3
	s_lshl_b32 s11, s0, 2
	s_add_i32 s0, s11, s2
	s_mul_i32 s2, s8, s57
	s_ashr_i32 s4, s2, 31
	s_add_u32 s2, s36, s2
	s_mul_i32 s0, s0, s56
	v_add_u32_e32 v63, v39, v45
	s_addc_u32 s4, s37, s4
	s_ashr_i32 s5, s0, 31
	v_and_b32_e32 v2, 3, v63
	s_add_u32 s6, s2, s0
	v_or_b32_e32 v3, s11, v2
	s_addc_u32 s7, s4, s5
	s_lshl_b32 s2, s1, 2
	v_cmp_gt_i32_e32 vcc, s3, v3
	v_cmp_le_i32_e64 s[0:1], s3, v3
	v_mad_u64_u32 v[2:3], s[4:5], s19, v2, v[38:39]
	v_lshrrev_b32_e32 v3, 2, v63
	v_add_u32_e32 v3, s2, v3
	v_cmp_le_i32_e64 s[4:5], s20, v3
	s_mov_b32 s13, 0x10001
	v_lshl_add_u32 v44, v38, 2, 0
	s_or_b64 s[0:1], s[4:5], s[0:1]
	s_and_saveexec_b64 s[4:5], s[0:1]
	s_xor_b64 s[0:1], exec, s[4:5]
; %bb.229:
	s_movk_i32 s4, 0xf0
	v_mad_u32_u24 v3, v63, s4, v44
	v_mov_b32_e32 v4, 0
	ds_write_b32 v3, v4
                                        ; implicit-def: $vgpr3
; %bb.230:
	s_or_saveexec_b64 s[0:1], s[0:1]
	s_sub_i32 s4, 0, s10
	v_mul_lo_u32 v1, v1, s13
	s_xor_b64 exec, exec, s[0:1]
	s_cbranch_execz .LBB19_232
; %bb.231:
	v_mad_u64_u32 v[4:5], s[14:15], v3, s59, v[2:3]
	v_ashrrev_i32_e32 v5, 31, v4
	v_lshl_add_u64 v[4:5], v[4:5], 3, s[6:7]
	global_load_dwordx2 v[4:5], v[4:5], off
	s_movk_i32 s5, 0xf0
	s_waitcnt vmcnt(0)
	v_cvt_pk_f16_f32 v3, v4, v5
	v_pk_mul_f16 v3, v3, v1
	v_mad_u32_u24 v4, v63, s5, v44
	ds_write_b32 v4, v3
.LBB19_232:
	s_or_b64 exec, exec, s[0:1]
	v_add_u32_e32 v3, 8, v63
	v_lshrrev_b32_e32 v4, 2, v3
	v_add_u32_e32 v4, s2, v4
	v_cmp_le_i32_e64 s[0:1], s20, v4
	s_xor_b64 s[14:15], vcc, -1
	s_mul_i32 s4, s4, s12
	s_or_b64 s[0:1], s[0:1], s[14:15]
	s_and_saveexec_b64 s[14:15], s[0:1]
	s_xor_b64 s[0:1], exec, s[14:15]
; %bb.233:
	s_movk_i32 s5, 0xf0
	v_mad_u32_u24 v2, v3, s5, v44
	v_mov_b32_e32 v3, 0
	ds_write_b32 v2, v3
                                        ; implicit-def: $vgpr2_vgpr3
                                        ; implicit-def: $vgpr4
                                        ; implicit-def: $vgpr3
; %bb.234:
	s_or_saveexec_b64 s[0:1], s[0:1]
	s_mul_hi_u32 s4, s12, s4
	v_and_b32_e32 v29, 0x3ff, v0
	s_xor_b64 exec, exec, s[0:1]
	s_cbranch_execz .LBB19_236
; %bb.235:
	v_mad_u64_u32 v[4:5], s[14:15], v4, s59, v[2:3]
	v_ashrrev_i32_e32 v5, 31, v4
	v_lshl_add_u64 v[4:5], v[4:5], 3, s[6:7]
	global_load_dwordx2 v[4:5], v[4:5], off
	s_movk_i32 s5, 0xf0
	v_mad_u32_u24 v2, v3, s5, v44
	s_waitcnt vmcnt(0)
	v_cvt_pk_f16_f32 v0, v4, v5
	v_pk_mul_f16 v0, v0, v1
	ds_write_b32 v2, v0
.LBB19_236:
	s_or_b64 exec, exec, s[0:1]
	v_lshrrev_b32_e32 v46, 4, v29
	v_add_u32_e32 v0, v55, v46
	v_lshrrev_b32_e32 v3, 2, v0
	v_and_b32_e32 v2, 3, v46
	v_add_u32_e32 v3, s2, v3
	v_or_b32_e32 v4, s11, v2
	v_cmp_le_i32_e32 vcc, s20, v3
	v_cmp_le_i32_e64 s[0:1], s3, v4
	s_abs_i32 s13, s8
	s_add_i32 s12, s12, s4
	s_or_b64 s[0:1], vcc, s[0:1]
	v_and_b32_e32 v28, 15, v29
	s_and_saveexec_b64 s[4:5], s[0:1]
	s_xor_b64 s[0:1], exec, s[4:5]
; %bb.237:
	v_mul_u32_u24_e32 v0, 0xf0, v0
	v_lshlrev_b32_e32 v2, 2, v28
	v_add3_u32 v0, 0, v0, v2
	v_mov_b32_e32 v2, 0
	ds_write_b32 v0, v2 offset:128
                                        ; implicit-def: $vgpr3
                                        ; implicit-def: $vgpr0
                                        ; implicit-def: $vgpr2
; %bb.238:
	s_or_saveexec_b64 s[0:1], s[0:1]
	s_mul_hi_u32 s12, s13, s12
	s_xor_b64 exec, exec, s[0:1]
	s_cbranch_execz .LBB19_240
; %bb.239:
	v_mul_lo_u32 v4, v3, s59
	v_mad_u64_u32 v[2:3], s[4:5], s19, v2, v[28:29]
	v_add3_u32 v2, v2, v4, 32
	v_ashrrev_i32_e32 v3, 31, v2
	v_lshl_add_u64 v[2:3], v[2:3], 3, s[6:7]
	global_load_dwordx2 v[2:3], v[2:3], off
	v_mul_u32_u24_e32 v0, 0xf0, v0
	v_lshlrev_b32_e32 v4, 2, v28
	v_add3_u32 v0, 0, v0, v4
	s_waitcnt vmcnt(0)
	v_cvt_pk_f16_f32 v2, v2, v3
	v_pk_mul_f16 v2, v2, v1
	ds_write_b32 v0, v2 offset:128
.LBB19_240:
	s_or_b64 exec, exec, s[0:1]
	v_lshrrev_b32_e32 v42, 3, v29
	v_lshl_add_u32 v64, v43, 3, v42
	s_ashr_i32 s14, s8, 31
	v_cmp_gt_u32_e32 vcc, 16, v64
	s_and_saveexec_b64 s[4:5], vcc
	s_cbranch_execz .LBB19_245
; %bb.241:
	v_lshrrev_b32_e32 v2, 2, v64
	v_and_b32_e32 v0, 3, v42
	v_or_b32_e32 v2, s2, v2
	v_or_b32_e32 v3, s11, v0
	v_cmp_le_i32_e32 vcc, s20, v2
	v_cmp_le_i32_e64 s[0:1], s3, v3
	s_or_b64 s[0:1], vcc, s[0:1]
	s_and_saveexec_b64 s[16:17], s[0:1]
	s_xor_b64 s[0:1], exec, s[16:17]
	s_cbranch_execz .LBB19_243
; %bb.242:
	v_and_b32_e32 v1, 7, v29
	v_mul_u32_u24_e32 v0, 0xf0, v64
	v_lshlrev_b32_e32 v1, 2, v1
	v_add3_u32 v0, 0, v0, v1
	v_mov_b32_e32 v1, 0
	ds_write_b32 v0, v1 offset:192
                                        ; implicit-def: $vgpr2
                                        ; implicit-def: $vgpr0
                                        ; implicit-def: $vgpr1
.LBB19_243:
	s_andn2_saveexec_b64 s[0:1], s[0:1]
	s_cbranch_execz .LBB19_245
; %bb.244:
	v_mul_lo_u32 v3, v2, s59
	v_and_b32_e32 v2, 7, v29
	v_mad_u64_u32 v[4:5], s[0:1], s19, v0, v[2:3]
	v_add3_u32 v4, v4, v3, 48
	v_ashrrev_i32_e32 v5, 31, v4
	v_lshl_add_u64 v[4:5], v[4:5], 3, s[6:7]
	global_load_dwordx2 v[4:5], v[4:5], off
	v_mul_u32_u24_e32 v0, 0xf0, v64
	v_lshlrev_b32_e32 v2, 2, v2
	v_add3_u32 v0, 0, v0, v2
	s_waitcnt vmcnt(0)
	v_cvt_pk_f16_f32 v3, v4, v5
	v_pk_mul_f16 v1, v3, v1
	ds_write_b32 v0, v1 offset:192
.LBB19_245:
	s_or_b64 exec, exec, s[4:5]
	s_mul_hi_u32 s0, s24, s8
	s_mul_i32 s1, s24, s14
	s_add_i32 s0, s0, s1
	s_mul_i32 s1, s25, s8
	v_readlane_b32 s4, v194, 4
	s_add_i32 s0, s0, s1
	s_mul_i32 s1, s24, s8
	v_readlane_b32 s5, v194, 5
	s_add_u32 s1, s38, s1
	s_mul_i32 s3, s9, s5
	s_addc_u32 s0, s39, s0
	s_ashr_i32 s4, s3, 31
	s_add_u32 s15, s1, s3
	s_mul_i32 s12, s12, s10
	s_addc_u32 s16, s0, s4
	s_sub_i32 s0, s13, s12
	s_sub_i32 s1, s0, s10
	s_cmp_ge_u32 s0, s10
	s_cselect_b32 s0, s1, s0
	s_sub_i32 s1, s0, s10
	s_cmp_ge_u32 s0, s10
	s_cselect_b32 s0, s1, s0
	s_xor_b32 s0, s0, s14
	s_sub_i32 s0, s0, s14
	s_ashr_i32 s1, s0, 31
	s_mul_i32 s1, s52, s1
	s_mul_hi_u32 s3, s52, s0
	s_add_i32 s1, s3, s1
	s_mul_i32 s3, s53, s0
	s_add_i32 s1, s1, s3
	s_mul_i32 s0, s52, s0
	s_add_u32 s6, s42, s0
	s_addc_u32 s7, s43, s1
	s_mul_hi_u32 s0, s34, s8
	s_mul_i32 s1, s34, s14
	s_add_i32 s0, s0, s1
	s_mul_i32 s1, s35, s8
	s_add_i32 s0, s0, s1
	s_mul_i32 s1, s34, s8
	v_and_b32_e32 v13, 0xff0, v55
	s_movk_i32 s8, 0xf0
	v_and_b32_e32 v1, 0x7e, v42
	v_mad_u32_u24 v0, v13, s8, 0
	v_mul_u32_u24_e32 v66, 0xf0, v28
	v_lshlrev_b32_e32 v48, 2, v1
	v_add3_u32 v14, v0, v66, v48
	s_waitcnt lgkmcnt(0)
	s_barrier
	ds_read2_b64 v[8:11], v14 offset1:4
	ds_read2_b64 v[4:7], v14 offset0:8 offset1:12
	ds_read2_b64 v[0:3], v14 offset0:16 offset1:20
	ds_read_b64 v[14:15], v14 offset:192
	s_add_u32 s1, s40, s1
	s_mul_i32 s9, s9, s27
	s_addc_u32 s0, s41, s0
	s_ashr_i32 s4, s9, 31
	v_add_u32_e32 v75, -1, v12
	s_add_u32 s3, s1, s9
	v_cmp_ge_i32_e32 vcc, s60, v75
	v_mul_lo_u32 v16, s22, v64
	v_mul_lo_u32 v12, s18, v64
	s_addc_u32 s14, s0, s4
	s_and_b64 vcc, exec, vcc
	v_cmp_gt_u32_e64 s[0:1], 4, v63
	v_lshlrev_b32_e32 v73, 2, v29
	v_lshrrev_b32_e32 v74, 1, v29
	v_lshrrev_b32_e32 v67, 2, v29
	v_ashrrev_i32_e32 v17, 31, v16
	v_add_u32_e32 v62, 32, v64
	v_lshl_add_u32 v18, s22, 5, v16
	v_and_or_b32 v69, v29, 12, v13
	v_mbcnt_lo_u32_b32 v65, -1, 0
	v_lshlrev_b32_e32 v53, 1, v42
	v_ashrrev_i32_e32 v13, 31, v12
	v_lshlrev_b32_e32 v52, 1, v28
	s_waitcnt lgkmcnt(0)
	s_barrier
	s_cbranch_vccnz .LBB19_256
; %bb.246:
	v_add_u32_e32 v19, s2, v63
	v_mul_hi_u32 v20, s28, v19
	v_add_u32_e32 v20, v19, v20
	v_lshrrev_b32_e32 v20, s29, v20
	v_mul_lo_u32 v20, v20, s20
	v_sub_u32_e32 v19, v19, v20
	v_mul_u32_u24_e32 v21, 0x90, v63
	v_and_b32_e32 v20, 0x7c, v73
	v_mad_i64_i32 v[22:23], s[4:5], v19, s68, 0
	v_add3_u32 v76, 0, v21, v20
	v_lshl_add_u64 v[22:23], v[22:23], 1, s[6:7]
	v_mov_b32_e32 v21, 0
	v_lshl_add_u64 v[22:23], v[22:23], 0, v[20:21]
	v_add_u32_e32 v36, v47, v67
	v_and_b32_e32 v20, 12, v73
	v_mad_u32_u24 v19, v36, s8, 0
	v_lshlrev_b32_e32 v26, 2, v20
	s_movk_i32 s9, 0x80
	v_and_b32_e32 v40, 28, v73
	v_add3_u32 v77, v19, v26, s9
	v_mul_u32_u24_e32 v19, 0xf0, v64
	v_lshlrev_b32_e32 v26, 2, v40
	v_lshl_add_u32 v27, v43, 5, v74
	v_add3_u32 v78, 0, v19, v26
	v_and_b32_e32 v32, 48, v47
	v_and_b32_e32 v26, 4, v73
	v_mad_u32_u24 v41, v32, s8, 0
	v_mad_u32_u24 v33, v27, s8, 0
	v_lshlrev_b32_e32 v34, 2, v26
	s_movk_i32 s8, 0xc0
	v_add3_u32 v81, v33, v34, s8
	v_and_b32_e32 v34, 0xfc, v67
	v_add_u16_e32 v32, v32, v34
	v_lshrrev_b32_e32 v33, 2, v69
	v_lshrrev_b16_e32 v32, 1, v32
	v_mul_u32_u24_e32 v33, 0x90, v33
	v_lshlrev_b32_e32 v32, 2, v32
	v_add3_u32 v49, 0, v33, v32
	v_mbcnt_hi_u32_b32 v32, -1, v65
	v_and_b32_e32 v33, 64, v32
	v_add_u32_e32 v33, 64, v33
	v_xor_b32_e32 v34, 32, v32
	v_cmp_lt_i32_e32 vcc, v34, v33
	v_cmp_gt_u32_e64 s[4:5], 64, v27
	v_mul_lo_u32 v30, s22, v27
	v_cndmask_b32_e32 v34, v32, v34, vcc
	v_lshlrev_b32_e32 v82, 2, v34
	v_xor_b32_e32 v34, 16, v32
	v_cmp_lt_i32_e32 vcc, v34, v33
	v_mul_lo_u32 v24, s22, v36
	v_mul_lo_u32 v36, s18, v36
	v_cndmask_b32_e32 v32, v32, v34, vcc
	v_or_b32_e32 v34, 2, v53
	v_lshlrev_b32_e32 v83, 2, v32
	v_mul_lo_u32 v32, s18, v27
	v_or_b32_e32 v27, 3, v53
	v_mul_u32_u24_e32 v50, 0xf0, v34
	v_and_b32_e32 v34, 0xfc, v53
	v_mul_u32_u24_e32 v27, 0xf0, v27
	v_mul_u32_u24_e32 v51, 0xf0, v34
	v_mul_lo_u32 v34, s18, v62
	v_ashrrev_i32_e32 v25, 31, v24
	v_add_u32_e32 v79, 0x1e00, v78
	v_ashrrev_i32_e32 v19, 31, v18
	v_add3_u32 v80, v41, v66, v48
	v_ashrrev_i32_e32 v31, 31, v30
	v_ashrrev_i32_e32 v33, 31, v32
	;; [unrolled: 1-line block ×4, first 2 shown]
	v_add3_u32 v84, v41, v51, v52
	v_add3_u32 v85, v41, v50, v52
	v_add3_u32 v86, v41, v27, v52
	s_lshl_b32 s8, s60, 6
	v_mov_b32_e32 v90, 0xfeffffff
	v_lshlrev_b32_e32 v20, 2, v20
	v_lshlrev_b32_e32 v40, 2, v40
	v_add_u32_e32 v87, 0x3c00, v49
	s_mov_b32 s17, 0x3fb8aa3b
	s_mov_b32 s19, 0xc2ce8ed0
	;; [unrolled: 1-line block ×5, first 2 shown]
	v_mov_b32_e32 v88, 0x7f800000
	v_mov_b32_e32 v89, v21
	v_mov_b32_e32 v51, v21
	v_mov_b32_e32 v50, v21
	v_mov_b32_e32 v56, v21
	v_mov_b32_e32 v54, v21
	v_mov_b32_e32 v58, v21
	v_mov_b32_e32 v57, v21
	v_mov_b32_e32 v60, v21
	v_mov_b32_e32 v59, v21
	v_mov_b32_e32 v70, v21
	v_mov_b32_e32 v61, v21
	v_mov_b32_e32 v72, v21
	v_mov_b32_e32 v71, v21
	v_mov_b32_e32 v49, v21
	v_mov_b32_e32 v27, v21
	s_ashr_i32 s9, s8, 31
	s_and_saveexec_b64 s[10:11], s[0:1]
	s_cbranch_execz .LBB19_248
.LBB19_247:
	v_lshl_add_u64 v[92:93], s[8:9], 1, v[22:23]
	global_load_dword v41, v[92:93], off
	s_waitcnt vmcnt(0)
	ds_write_b32 v76, v41 offset:15360
.LBB19_248:                             ; =>This Inner Loop Header: Depth=1
	s_or_b64 exec, exec, s[10:11]
	s_mul_hi_i32 s11, s8, s22
	s_mul_i32 s10, s8, s22
	s_lshl_b64 s[10:11], s[10:11], 2
	s_add_u32 s10, s15, s10
	s_addc_u32 s11, s16, s11
	s_and_saveexec_b64 s[12:13], s[4:5]
	s_cbranch_execz .LBB19_250
; %bb.249:                              ;   in Loop: Header=BB19_248 Depth=1
	v_lshl_add_u64 v[92:93], v[30:31], 2, s[10:11]
	v_lshlrev_b32_e32 v94, 2, v26
	v_mov_b32_e32 v95, v21
	v_lshl_add_u64 v[92:93], v[92:93], 0, v[94:95]
	global_load_dwordx4 v[92:95], v[92:93], off offset:192
	s_waitcnt vmcnt(0)
	ds_write_b128 v81, v[92:95]
.LBB19_250:                             ;   in Loop: Header=BB19_248 Depth=1
	s_or_b64 exec, exec, s[12:13]
	v_lshl_add_u64 v[92:93], v[24:25], 2, s[10:11]
	v_lshl_add_u64 v[104:105], v[92:93], 0, v[20:21]
	;; [unrolled: 1-line block ×3, first 2 shown]
	v_mov_b32_e32 v41, v21
	v_lshl_add_u64 v[106:107], v[92:93], 0, v[40:41]
	v_lshl_add_u64 v[92:93], v[18:19], 2, s[10:11]
	;; [unrolled: 1-line block ×3, first 2 shown]
	global_load_dwordx4 v[92:95], v[104:105], off offset:128
	global_load_dwordx4 v[96:99], v[106:107], off
	global_load_dwordx4 v[100:103], v[108:109], off
	s_mul_hi_i32 s11, s8, s18
	s_mul_i32 s10, s8, s18
	s_lshl_b64 s[10:11], s[10:11], 2
	s_add_u32 s10, s3, s10
	s_addc_u32 s11, s14, s11
	s_waitcnt vmcnt(2)
	ds_write_b128 v77, v[92:95]
	s_waitcnt vmcnt(1)
	ds_write_b128 v78, v[96:99]
	s_waitcnt vmcnt(0)
	ds_write_b128 v79, v[100:103]
	s_waitcnt lgkmcnt(0)
	s_barrier
	ds_read2_b64 v[92:95], v80 offset1:4
	s_waitcnt lgkmcnt(0)
	v_mfma_f32_16x16x16_f16 v[96:99], v[92:93], v[8:9], 0
	v_mfma_f32_16x16x16_f16 v[92:95], v[94:95], v[10:11], v[96:99]
	s_nop 6
	ds_read2_b64 v[96:99], v80 offset0:8 offset1:12
	s_waitcnt lgkmcnt(0)
	v_mfma_f32_16x16x16_f16 v[92:95], v[96:97], v[4:5], v[92:95]
	ds_read2_b64 v[100:103], v80 offset0:16 offset1:20
	ds_read_b64 v[96:97], v80 offset:192
	s_waitcnt lgkmcnt(0)
	s_barrier
	v_mfma_f32_16x16x16_f16 v[92:95], v[98:99], v[6:7], v[92:95]
	ds_read2_b32 v[98:99], v87 offset1:1
	s_waitcnt lgkmcnt(0)
	v_cvt_f32_f16_e32 v68, v98
	v_mfma_f32_16x16x16_f16 v[92:95], v[100:101], v[0:1], v[92:95]
	v_cvt_f32_f16_sdwa v91, v98 dst_sel:DWORD dst_unused:UNUSED_PAD src0_sel:WORD_1
	v_cvt_f32_f16_e32 v98, v99
	v_cvt_f32_f16_sdwa v99, v99 dst_sel:DWORD dst_unused:UNUSED_PAD src0_sel:WORD_1
	v_mfma_f32_16x16x16_f16 v[92:95], v[102:103], v[2:3], v[92:95]
	v_mfma_f32_16x16x16_f16 v[94:97], v[96:97], v[14:15], v[92:95]
	s_nop 7
	v_add_f32_e32 v94, v94, v68
	v_add_f32_e32 v93, v95, v91
	;; [unrolled: 1-line block ×8, first 2 shown]
	v_max3_f32 v68, v90, v68, v95
	v_max3_f32 v68, v68, v96, v97
	ds_bpermute_b32 v95, v82, v68
	s_waitcnt lgkmcnt(0)
	v_max_f32_e32 v95, v95, v95
	v_max_f32_e32 v68, v68, v95
	ds_bpermute_b32 v95, v83, v68
	s_and_saveexec_b64 s[12:13], s[4:5]
	s_cbranch_execz .LBB19_252
; %bb.251:                              ;   in Loop: Header=BB19_248 Depth=1
	v_lshl_add_u64 v[96:97], v[32:33], 2, s[10:11]
	v_lshlrev_b32_e32 v98, 2, v26
	v_mov_b32_e32 v99, v21
	v_lshl_add_u64 v[96:97], v[96:97], 0, v[98:99]
	global_load_dwordx4 v[96:99], v[96:97], off offset:192
	s_waitcnt vmcnt(0)
	ds_write_b128 v81, v[96:99]
.LBB19_252:                             ;   in Loop: Header=BB19_248 Depth=1
	s_or_b64 exec, exec, s[12:13]
	s_waitcnt lgkmcnt(0)
	v_max_f32_e32 v95, v95, v95
	v_max_f32_e32 v68, v68, v68
	;; [unrolled: 1-line block ×3, first 2 shown]
	v_sub_f32_e32 v106, v94, v68
	v_lshl_add_u64 v[94:95], v[36:37], 2, s[10:11]
	v_lshl_add_u64 v[102:103], v[94:95], 0, v[20:21]
	v_lshl_add_u64 v[94:95], v[12:13], 2, s[10:11]
	v_lshl_add_u64 v[104:105], v[94:95], 0, v[40:41]
	global_load_dwordx4 v[94:97], v[102:103], off offset:128
	global_load_dwordx4 v[98:101], v[104:105], off
	v_lshl_add_u64 v[102:103], v[34:35], 2, s[10:11]
	v_lshl_add_u64 v[102:103], v[102:103], 0, v[40:41]
	global_load_dwordx4 v[102:105], v[102:103], off
	v_mul_f32_e32 v107, 0x3fb8aa3b, v106
	v_fma_f32 v108, v106, s17, -v107
	v_rndne_f32_e32 v41, v107
	v_fmac_f32_e32 v108, 0x32a5705f, v106
	v_sub_f32_e32 v107, v107, v41
	v_add_f32_e32 v107, v107, v108
	v_exp_f32_e32 v107, v107
	v_cvt_i32_f32_e32 v41, v41
	v_sub_f32_e32 v93, v93, v68
	v_cmp_ngt_f32_e32 vcc, s19, v106
	v_sub_f32_e32 v92, v92, v68
	v_ldexp_f32 v41, v107, v41
	v_mul_f32_e32 v107, 0x3fb8aa3b, v93
	v_fma_f32 v108, v93, s17, -v107
	v_rndne_f32_e32 v109, v107
	v_fmac_f32_e32 v108, 0x32a5705f, v93
	v_sub_f32_e32 v107, v107, v109
	v_add_f32_e32 v107, v107, v108
	v_exp_f32_e32 v107, v107
	v_cvt_i32_f32_e32 v108, v109
	v_cndmask_b32_e32 v41, 0, v41, vcc
	v_cmp_nlt_f32_e32 vcc, s21, v106
	v_sub_f32_e32 v91, v91, v68
	v_ldexp_f32 v106, v107, v108
	v_mul_f32_e32 v107, 0x3fb8aa3b, v92
	v_fma_f32 v108, v92, s17, -v107
	v_rndne_f32_e32 v109, v107
	v_fmac_f32_e32 v108, 0x32a5705f, v92
	v_sub_f32_e32 v107, v107, v109
	v_add_f32_e32 v107, v107, v108
	v_exp_f32_e32 v107, v107
	v_cvt_i32_f32_e32 v108, v109
	v_cndmask_b32_e32 v41, v88, v41, vcc
	v_cmp_ngt_f32_e32 vcc, s19, v93
	v_sub_f32_e32 v90, v90, v68
	s_add_i32 s60, s60, 1
	v_cndmask_b32_e32 v106, 0, v106, vcc
	v_cmp_nlt_f32_e32 vcc, s21, v93
	v_ldexp_f32 v93, v107, v108
	s_add_i32 s8, s8, 64
	v_cndmask_b32_e32 v110, v88, v106, vcc
	v_mul_f32_e32 v106, 0x3fb8aa3b, v91
	v_fma_f32 v107, v91, s17, -v106
	v_rndne_f32_e32 v108, v106
	v_fmac_f32_e32 v107, 0x32a5705f, v91
	v_sub_f32_e32 v106, v106, v108
	v_add_f32_e32 v106, v106, v107
	v_cvt_i32_f32_e32 v107, v108
	v_mul_f32_e32 v108, 0x3fb8aa3b, v90
	v_fma_f32 v109, v90, s17, -v108
	v_rndne_f32_e32 v111, v108
	v_fmac_f32_e32 v109, 0x32a5705f, v90
	v_sub_f32_e32 v108, v108, v111
	v_add_f32_e32 v108, v108, v109
	v_exp_f32_e32 v108, v108
	v_cvt_i32_f32_e32 v109, v111
	v_cmp_ngt_f32_e32 vcc, s19, v92
	v_exp_f32_e32 v106, v106
	v_cvt_pk_f16_f32 v114, v41, v110
	v_cndmask_b32_e32 v93, 0, v93, vcc
	v_cmp_nlt_f32_e32 vcc, s21, v92
	v_ldexp_f32 v92, v106, v107
	v_add_f32_e32 v41, v41, v110
	v_cndmask_b32_e32 v116, v88, v93, vcc
	v_ldexp_f32 v93, v108, v109
	v_cmp_ngt_f32_e32 vcc, s19, v90
	s_waitcnt vmcnt(2)
	ds_write_b128 v77, v[94:97]
	s_waitcnt vmcnt(1)
	ds_write_b128 v78, v[98:101]
	;; [unrolled: 2-line block ×3, first 2 shown]
	v_cndmask_b32_e32 v93, 0, v93, vcc
	v_cmp_nlt_f32_e32 vcc, s21, v90
	s_waitcnt lgkmcnt(0)
	s_barrier
	v_cndmask_b32_e32 v93, v88, v93, vcc
	v_cmp_le_f32_e32 vcc, s23, v90
	s_nop 1
	v_cndmask_b32_e32 v117, 0, v93, vcc
	v_cvt_f16_f32_e32 v90, v117
	v_cmp_ngt_f32_e32 vcc, s19, v91
	v_mul_u32_u24_e32 v111, 0x10001, v90
	v_pk_mul_f16 v93, v71, v111
	v_pk_mul_f16 v106, v70, v111
	ds_read_u16 v70, v86
	ds_read_u16 v71, v85
	ds_read_u16 v94, v85 offset:32
	ds_read_u16 v95, v84 offset:272
	;; [unrolled: 1-line block ×10, first 2 shown]
	s_waitcnt lgkmcnt(10)
	v_perm_b32 v71, v70, v71, s24
	ds_read_u16 v70, v84 offset:240
	ds_read_u16 v90, v84
	ds_read_u16 v97, v84 offset:32
	ds_read_u16 v100, v84 offset:64
	;; [unrolled: 1-line block ×6, first 2 shown]
	v_cndmask_b32_e32 v92, 0, v92, vcc
	v_cmp_nlt_f32_e32 vcc, s21, v91
	v_pk_mul_f16 v72, v72, v111
	s_waitcnt lgkmcnt(6)
	v_perm_b32 v70, v70, v90, s24
	v_cndmask_b32_e32 v118, v88, v92, vcc
	v_cvt_f32_f16_e32 v90, v72
	v_cvt_f32_f16_sdwa v91, v72 dst_sel:DWORD dst_unused:UNUSED_PAD src0_sel:WORD_1
	v_cvt_f32_f16_e32 v92, v93
	v_cvt_f32_f16_sdwa v93, v93 dst_sel:DWORD dst_unused:UNUSED_PAD src0_sel:WORD_1
	v_pk_mul_f16 v61, v61, v111
	v_cvt_pk_f16_f32 v115, v116, v118
	v_pk_mul_f16 v101, v60, v111
	v_pk_mul_f16 v59, v59, v111
	v_mfma_f32_16x16x16_f16 v[90:93], v[70:71], v[114:115], v[90:93]
	v_perm_b32 v71, v96, v94, s24
	s_waitcnt lgkmcnt(5)
	v_perm_b32 v70, v95, v97, s24
	v_cvt_f32_f16_e32 v94, v106
	v_cvt_f32_f16_sdwa v95, v106 dst_sel:DWORD dst_unused:UNUSED_PAD src0_sel:WORD_1
	v_cvt_f32_f16_e32 v96, v61
	v_cvt_f32_f16_sdwa v97, v61 dst_sel:DWORD dst_unused:UNUSED_PAD src0_sel:WORD_1
	ds_read_u16 v61, v85 offset:64
	ds_read_u16 v72, v85 offset:96
	;; [unrolled: 1-line block ×4, first 2 shown]
	s_waitcnt lgkmcnt(8)
	v_perm_b32 v60, v98, v100, s24
	s_waitcnt lgkmcnt(3)
	v_perm_b32 v61, v99, v61, s24
	v_cvt_f32_f16_e32 v98, v101
	v_cvt_f32_f16_sdwa v99, v101 dst_sel:DWORD dst_unused:UNUSED_PAD src0_sel:WORD_1
	v_cvt_f32_f16_e32 v100, v59
	v_cvt_f32_f16_sdwa v101, v59 dst_sel:DWORD dst_unused:UNUSED_PAD src0_sel:WORD_1
	v_pk_mul_f16 v59, v58, v111
	ds_read_u16 v58, v86 offset:96
	v_mfma_f32_16x16x16_f16 v[94:97], v[70:71], v[114:115], v[94:97]
	v_pk_mul_f16 v57, v57, v111
	v_perm_b32 v70, v102, v104, s24
	ds_read_u16 v120, v86 offset:128
	ds_read_u16 v121, v86 offset:160
	ds_read_u16 v122, v86 offset:192
	s_waitcnt lgkmcnt(3)
	v_perm_b32 v71, v58, v72, s24
	v_mfma_f32_16x16x16_f16 v[98:101], v[60:61], v[114:115], v[98:101]
	v_cvt_f32_f16_e32 v58, v59
	v_cvt_f32_f16_sdwa v59, v59 dst_sel:DWORD dst_unused:UNUSED_PAD src0_sel:WORD_1
	v_cvt_f32_f16_e32 v60, v57
	v_cvt_f32_f16_sdwa v61, v57 dst_sel:DWORD dst_unused:UNUSED_PAD src0_sel:WORD_1
	v_pk_mul_f16 v54, v54, v111
	v_pk_mul_f16 v72, v56, v111
	v_mfma_f32_16x16x16_f16 v[58:61], v[70:71], v[114:115], v[58:61]
	v_perm_b32 v56, v103, v105, s24
	v_cvt_f32_f16_e32 v104, v54
	v_cvt_f32_f16_sdwa v105, v54 dst_sel:DWORD dst_unused:UNUSED_PAD src0_sel:WORD_1
	v_pk_mul_f16 v54, v51, v111
	v_pk_mul_f16 v70, v50, v111
	s_waitcnt lgkmcnt(1)
	v_perm_b32 v51, v121, v109, s24
	v_perm_b32 v50, v107, v108, s24
	;; [unrolled: 1-line block ×3, first 2 shown]
	v_cvt_f32_f16_e32 v106, v54
	v_cvt_f32_f16_sdwa v107, v54 dst_sel:DWORD dst_unused:UNUSED_PAD src0_sel:WORD_1
	v_cvt_f32_f16_e32 v108, v70
	v_cvt_f32_f16_sdwa v109, v70 dst_sel:DWORD dst_unused:UNUSED_PAD src0_sel:WORD_1
	v_pk_mul_f16 v49, v49, v111
	v_pk_mul_f16 v27, v27, v111
	v_mfma_f32_16x16x16_f16 v[106:109], v[50:51], v[114:115], v[106:109]
	s_waitcnt lgkmcnt(0)
	v_perm_b32 v51, v122, v113, s24
	v_perm_b32 v50, v112, v119, s24
	v_cvt_f32_f16_e32 v102, v72
	v_cvt_f32_f16_sdwa v103, v72 dst_sel:DWORD dst_unused:UNUSED_PAD src0_sel:WORD_1
	v_cvt_f32_f16_e32 v110, v49
	v_cvt_f32_f16_sdwa v111, v49 dst_sel:DWORD dst_unused:UNUSED_PAD src0_sel:WORD_1
	;; [unrolled: 2-line block ×3, first 2 shown]
	v_mfma_f32_16x16x16_f16 v[102:105], v[56:57], v[114:115], v[102:105]
	v_add_f32_e32 v27, v116, v41
	v_add_f32_e32 v41, v118, v27
	v_cmp_lt_i32_e32 vcc, s60, v75
	v_mfma_f32_16x16x16_f16 v[110:113], v[50:51], v[114:115], v[110:113]
	v_fmac_f32_e32 v41, v89, v117
	v_cvt_pk_f16_f32 v51, v106, v107
	v_cvt_pk_f16_f32 v50, v108, v109
	s_nop 0
	v_cvt_pk_f16_f32 v56, v102, v103
	v_cvt_pk_f16_f32 v54, v104, v105
	;; [unrolled: 1-line block ×12, first 2 shown]
	s_barrier
	s_cbranch_vccz .LBB19_257
; %bb.253:                              ;   in Loop: Header=BB19_248 Depth=1
	v_mov_b32_e32 v89, v41
	v_mov_b32_e32 v90, v68
	s_ashr_i32 s9, s8, 31
	s_and_saveexec_b64 s[10:11], s[0:1]
	s_cbranch_execnz .LBB19_247
	s_branch .LBB19_248
.LBB19_254:
                                        ; implicit-def: $sgpr58_sgpr59
	s_load_dwordx2 s[56:57], s[0:1], 0x74
	v_cvt_f32_u32_e32 v1, s55
	s_branch .LBB19_2
.LBB19_255:
                                        ; implicit-def: $sgpr62_sgpr63
	s_load_dwordx2 s[28:29], s[0:1], 0x5c
	s_branch .LBB19_5
.LBB19_256:
	v_mov_b32_e32 v68, 0xfeffffff
	v_mov_b32_e32 v41, 0
	;; [unrolled: 1-line block ×16, first 2 shown]
.LBB19_257:
	s_lshl_b32 s4, s60, 6
	s_ashr_i32 s5, s4, 31
	v_cmp_gt_u32_e32 vcc, 4, v63
	s_and_saveexec_b64 s[0:1], vcc
	s_cbranch_execz .LBB19_259
; %bb.258:
	v_or_b32_e32 v19, s2, v63
	v_mul_hi_u32 v20, s28, v19
	v_add_u32_e32 v20, v19, v20
	v_lshrrev_b32_e32 v20, s29, v20
	s_lshl_b64 s[8:9], s[4:5], 1
	v_mul_lo_u32 v20, v20, s20
	s_add_u32 s6, s6, s8
	v_sub_u32_e32 v19, v19, v20
	s_addc_u32 s7, s7, s9
	v_mad_i64_i32 v[22:23], s[8:9], v19, s68, 0
	v_and_b32_e32 v20, 0x7c, v73
	v_lshl_add_u64 v[22:23], v[22:23], 1, s[6:7]
	v_mov_b32_e32 v21, 0
	v_lshl_add_u64 v[22:23], v[22:23], 0, v[20:21]
	global_load_dword v19, v[22:23], off
	v_mul_u32_u24_e32 v21, 0x90, v63
	v_add3_u32 v20, 0, v21, v20
	s_waitcnt vmcnt(0)
	ds_write_b32 v20, v19 offset:15360
.LBB19_259:
	s_or_b64 exec, exec, s[0:1]
	s_mul_hi_i32 s1, s4, s22
	s_mul_i32 s0, s4, s22
	s_lshl_b64 s[0:1], s[0:1], 2
	s_add_u32 s6, s15, s0
	v_lshl_add_u32 v30, v43, 5, v74
	s_addc_u32 s7, s16, s1
	v_cmp_gt_u32_e32 vcc, 64, v30
	v_cmp_lt_u32_e64 s[0:1], 63, v30
                                        ; implicit-def: $vgpr32
                                        ; implicit-def: $vgpr24
	s_and_saveexec_b64 s[8:9], s[0:1]
	s_xor_b64 s[0:1], exec, s[8:9]
; %bb.260:
	v_mul_u32_u24_e32 v32, 0xf0, v30
	v_and_or_b32 v24, v73, 4, 48
	v_mov_b32_e32 v25, 0
; %bb.261:
	s_andn2_saveexec_b64 s[0:1], s[0:1]
	s_cbranch_execz .LBB19_263
; %bb.262:
	v_mul_lo_u32 v20, s22, v30
	v_ashrrev_i32_e32 v21, 31, v20
	v_and_b32_e32 v19, 4, v73
	v_mov_b32_e32 v25, 0
	v_lshl_add_u64 v[20:21], v[20:21], 2, s[6:7]
	v_lshlrev_b32_e32 v34, 2, v19
	v_mov_b32_e32 v35, v25
	v_lshl_add_u64 v[20:21], v[20:21], 0, v[34:35]
	global_load_dwordx4 v[20:23], v[20:21], off offset:192
	v_mul_u32_u24_e32 v32, 0xf0, v30
	v_or_b32_e32 v24, 48, v19
	v_add3_u32 v19, 0, v32, v34
	s_waitcnt vmcnt(0)
	ds_write_b128 v19, v[20:23] offset:192
.LBB19_263:
	s_or_b64 exec, exec, s[0:1]
	v_add_u32_e32 v26, v47, v67
	v_mul_lo_u32 v20, s22, v26
	v_ashrrev_i32_e32 v21, 31, v20
	v_and_b32_e32 v19, 12, v73
	v_lshl_add_u64 v[20:21], v[20:21], 2, s[6:7]
	v_lshlrev_b32_e32 v22, 2, v19
	v_mov_b32_e32 v23, 0
	v_and_b32_e32 v19, 28, v73
	v_lshl_add_u64 v[82:83], v[20:21], 0, v[22:23]
	v_lshlrev_b32_e32 v20, 2, v19
	v_ashrrev_i32_e32 v19, 31, v18
	v_lshl_add_u64 v[16:17], v[16:17], 2, s[6:7]
	v_mov_b32_e32 v21, v23
	v_lshl_add_u64 v[18:19], v[18:19], 2, s[6:7]
	v_lshl_add_u64 v[16:17], v[16:17], 0, v[20:21]
	;; [unrolled: 1-line block ×3, first 2 shown]
	global_load_dwordx4 v[34:37], v[82:83], off offset:128
	global_load_dwordx4 v[74:77], v[16:17], off
	global_load_dwordx4 v[78:81], v[18:19], off
	s_movk_i32 s0, 0xf0
	v_and_b32_e32 v18, 48, v47
	v_mul_u32_u24_e32 v31, 0xf0, v26
	v_mad_u32_u24 v16, v18, s0, 0
	v_mul_u32_u24_e32 v17, 0xf0, v64
	v_add3_u32 v31, 0, v31, v22
	v_add3_u32 v33, v16, v66, v48
	;; [unrolled: 1-line block ×3, first 2 shown]
	v_and_b32_e32 v40, 0xfc, v67
	v_mbcnt_hi_u32_b32 v63, -1, v65
	v_add_u16_e32 v18, v18, v40
	v_lshrrev_b32_e32 v19, 2, v69
	s_movk_i32 s1, 0x90
	v_lshrrev_b16_e32 v18, 1, v18
	s_movk_i32 s0, 0x3c00
	v_mad_u32_u24 v19, v19, s1, 0
	v_and_b32_e32 v40, 64, v63
	v_xor_b32_e32 v69, 32, v63
	v_add_u32_e32 v40, 64, v40
	s_waitcnt vmcnt(2)
	ds_write_b128 v31, v[34:37] offset:128
	s_waitcnt vmcnt(1)
	ds_write_b128 v17, v[74:77]
	s_waitcnt vmcnt(0)
	ds_write_b128 v17, v[78:81] offset:7680
	s_waitcnt lgkmcnt(0)
	s_barrier
	ds_read2_b64 v[34:37], v33 offset1:4
	ds_read2_b64 v[64:67], v33 offset0:8 offset1:12
	s_waitcnt lgkmcnt(1)
	v_mfma_f32_16x16x16_f16 v[74:77], v[34:35], v[8:9], 0
	v_add_u32_e32 v8, 0x80, v31
	v_xor_b32_e32 v9, 16, v63
	v_mfma_f32_16x16x16_f16 v[34:37], v[36:37], v[10:11], v[74:77]
	v_lshlrev_b32_e32 v10, 2, v18
	v_add3_u32 v18, v19, v10, s0
	ds_read_b64 v[10:11], v33 offset:192
	s_nop 1
	ds_read2_b64 v[74:77], v33 offset0:16 offset1:20
	s_waitcnt lgkmcnt(2)
	v_mfma_f32_16x16x16_f16 v[34:37], v[64:65], v[4:5], v[34:37]
	v_cmp_lt_i32_e64 s[0:1], v69, v40
	s_waitcnt lgkmcnt(0)
	s_barrier
	v_mfma_f32_16x16x16_f16 v[4:7], v[66:67], v[6:7], v[34:37]
	ds_read2_b32 v[18:19], v18 offset1:1
	s_waitcnt lgkmcnt(0)
	v_cvt_f32_f16_e32 v33, v18
	v_mfma_f32_16x16x16_f16 v[4:7], v[74:75], v[0:1], v[4:7]
	v_cndmask_b32_e64 v0, v63, v69, s[0:1]
	v_lshlrev_b32_e32 v31, 2, v0
	v_cvt_f32_f16_sdwa v18, v18 dst_sel:DWORD dst_unused:UNUSED_PAD src0_sel:WORD_1
	v_mfma_f32_16x16x16_f16 v[0:3], v[76:77], v[2:3], v[4:7]
	v_cvt_f32_f16_e32 v34, v19
	v_cvt_f32_f16_sdwa v19, v19 dst_sel:DWORD dst_unused:UNUSED_PAD src0_sel:WORD_1
	v_cmp_lt_i32_e64 s[0:1], v9, v40
	v_mfma_f32_16x16x16_f16 v[4:7], v[10:11], v[14:15], v[0:3]
	s_nop 7
	v_add_f32_e32 v4, v4, v33
	v_add_f32_e32 v3, v5, v18
	;; [unrolled: 1-line block ×8, first 2 shown]
	v_max3_f32 v0, v68, v0, v5
	v_max3_f32 v5, v0, v6, v7
	ds_bpermute_b32 v6, v31, v5
	v_cndmask_b32_e64 v7, v63, v9, s[0:1]
	v_lshlrev_b32_e32 v33, 2, v7
	s_mul_hi_i32 s1, s4, s18
	s_mul_i32 s0, s4, s18
	s_waitcnt lgkmcnt(0)
	v_max_f32_e32 v6, v6, v6
	v_max_f32_e32 v5, v5, v6
	ds_bpermute_b32 v6, v33, v5
	s_lshl_b64 s[0:1], s[0:1], 2
	s_add_u32 s0, s3, s0
	v_add_u32_e32 v0, 0x1e00, v17
	s_addc_u32 s1, s14, s1
	s_and_saveexec_b64 s[4:5], vcc
	s_cbranch_execz .LBB19_265
; %bb.264:
	v_mul_lo_u32 v10, s18, v30
	v_ashrrev_i32_e32 v11, 31, v10
	v_lshl_add_u64 v[10:11], v[10:11], 2, s[0:1]
	v_lshl_add_u64 v[10:11], v[24:25], 2, v[10:11]
	global_load_dwordx4 v[34:37], v[10:11], off
	v_lshlrev_b32_e32 v7, 2, v24
	v_add3_u32 v7, 0, v32, v7
	s_waitcnt vmcnt(0)
	ds_write_b128 v7, v[34:37]
.LBB19_265:
	s_or_b64 exec, exec, s[4:5]
	s_waitcnt lgkmcnt(0)
	v_max_f32_e32 v6, v6, v6
	v_max_f32_e32 v5, v5, v5
	;; [unrolled: 1-line block ×3, first 2 shown]
	v_sub_f32_e32 v9, v4, v30
	s_mov_b32 s2, 0x3fb8aa3b
	v_mul_f32_e32 v4, 0x3fb8aa3b, v9
	v_fma_f32 v5, v9, s2, -v4
	v_rndne_f32_e32 v6, v4
	v_fmac_f32_e32 v5, 0x32a5705f, v9
	v_sub_f32_e32 v4, v4, v6
	v_add_f32_e32 v4, v4, v5
	v_exp_f32_e32 v4, v4
	v_cvt_i32_f32_e32 v5, v6
	v_mul_lo_u32 v14, s18, v62
	v_ashrrev_i32_e32 v15, 31, v14
	v_lshl_add_u64 v[14:15], v[14:15], 2, s[0:1]
	v_ldexp_f32 v24, v4, v5
	v_mul_lo_u32 v4, s18, v26
	v_ashrrev_i32_e32 v5, 31, v4
	v_lshl_add_u64 v[4:5], v[4:5], 2, s[0:1]
	v_lshl_add_u64 v[18:19], v[4:5], 0, v[22:23]
	;; [unrolled: 1-line block ×4, first 2 shown]
	global_load_dwordx4 v[4:7], v[18:19], off offset:128
	global_load_dwordx4 v[10:13], v[22:23], off
	v_lshl_add_u64 v[14:15], v[14:15], 0, v[20:21]
	global_load_dwordx4 v[18:21], v[14:15], off
	v_sub_f32_e32 v3, v3, v30
	v_mul_f32_e32 v15, 0x3fb8aa3b, v3
	v_fma_f32 v22, v3, s2, -v15
	v_rndne_f32_e32 v23, v15
	v_fmac_f32_e32 v22, 0x32a5705f, v3
	v_sub_f32_e32 v15, v15, v23
	v_add_f32_e32 v15, v15, v22
	v_exp_f32_e32 v15, v15
	v_cvt_i32_f32_e32 v22, v23
	s_mov_b32 s0, 0xc2ce8ed0
	v_cmp_ngt_f32_e32 vcc, s0, v9
	s_mov_b32 s1, 0x42b17218
	v_sub_f32_e32 v2, v2, v30
	v_cndmask_b32_e32 v14, 0, v24, vcc
	v_cmp_nlt_f32_e32 vcc, s1, v9
	v_ldexp_f32 v9, v15, v22
	v_mul_f32_e32 v15, 0x3fb8aa3b, v2
	v_fma_f32 v22, v2, s2, -v15
	v_rndne_f32_e32 v24, v15
	v_fmac_f32_e32 v22, 0x32a5705f, v2
	v_sub_f32_e32 v15, v15, v24
	v_add_f32_e32 v15, v15, v22
	v_mov_b32_e32 v23, 0x7f800000
	v_exp_f32_e32 v15, v15
	v_cvt_i32_f32_e32 v22, v24
	v_cndmask_b32_e32 v14, v23, v14, vcc
	v_cmp_ngt_f32_e32 vcc, s0, v3
	v_sub_f32_e32 v1, v1, v30
	s_waitcnt vmcnt(2)
	ds_write_b128 v8, v[4:7]
	s_waitcnt vmcnt(1)
	ds_write_b128 v17, v[10:13]
	;; [unrolled: 2-line block ×3, first 2 shown]
	v_cndmask_b32_e32 v9, 0, v9, vcc
	v_cmp_nlt_f32_e32 vcc, s1, v3
	v_ldexp_f32 v3, v15, v22
	s_waitcnt lgkmcnt(0)
	v_cndmask_b32_e32 v24, v23, v9, vcc
	v_mul_f32_e32 v9, 0x3fb8aa3b, v1
	v_fma_f32 v15, v1, s2, -v9
	v_rndne_f32_e32 v22, v9
	v_fmac_f32_e32 v15, 0x32a5705f, v1
	v_sub_f32_e32 v9, v9, v22
	v_add_f32_e32 v9, v9, v15
	v_cvt_i32_f32_e32 v15, v22
	v_sub_f32_e32 v22, v68, v30
	v_mul_f32_e32 v25, 0x3fb8aa3b, v22
	v_fma_f32 v26, v22, s2, -v25
	v_rndne_f32_e32 v32, v25
	v_fmac_f32_e32 v26, 0x32a5705f, v22
	v_sub_f32_e32 v25, v25, v32
	v_add_f32_e32 v25, v25, v26
	v_exp_f32_e32 v25, v25
	v_cvt_i32_f32_e32 v26, v32
	v_cmp_ngt_f32_e32 vcc, s0, v2
	v_exp_f32_e32 v9, v9
	s_mov_b32 s2, 0xc1a00000
	v_cndmask_b32_e32 v3, 0, v3, vcc
	v_cmp_nlt_f32_e32 vcc, s1, v2
	v_ldexp_f32 v2, v9, v15
	v_or_b32_e32 v9, 2, v53
	v_cndmask_b32_e32 v32, v23, v3, vcc
	v_ldexp_f32 v3, v25, v26
	v_cmp_ngt_f32_e32 vcc, s0, v22
	v_mul_u32_u24_e32 v9, 0xf0, v9
	v_add3_u32 v4, v16, v9, v52
	v_cndmask_b32_e32 v3, 0, v3, vcc
	v_cmp_nlt_f32_e32 vcc, s1, v22
	s_barrier
	s_nop 0
	v_cndmask_b32_e32 v3, v23, v3, vcc
	v_cmp_le_f32_e32 vcc, s2, v22
	v_cvt_pk_f16_f32 v34, v14, v24
	v_add_f32_e32 v24, v14, v24
	v_cndmask_b32_e32 v26, 0, v3, vcc
	v_cmp_ngt_f32_e32 vcc, s0, v1
	v_cvt_f16_f32_e32 v3, v26
	s_mov_b32 s0, 0x5040100
	v_cndmask_b32_e32 v2, 0, v2, vcc
	v_cmp_nlt_f32_e32 vcc, s1, v1
	v_mul_u32_u24_e32 v36, 0x10001, v3
	v_pk_mul_f16 v1, v72, v36
	v_cndmask_b32_e32 v22, v23, v2, vcc
	v_or_b32_e32 v2, 3, v53
	v_and_b32_e32 v23, 0xfc, v53
	v_mul_u32_u24_e32 v2, 0xf0, v2
	v_mul_u32_u24_e32 v23, 0xf0, v23
	v_add3_u32 v0, v16, v23, v52
	v_add3_u32 v16, v16, v2, v52
	ds_read_u16 v2, v4
	ds_read_u16 v6, v4 offset:32
	ds_read_u16 v7, v0 offset:272
	;; [unrolled: 1-line block ×7, first 2 shown]
	ds_read_u16 v5, v16
	ds_read_u16 v8, v16 offset:32
	ds_read_u16 v11, v4 offset:64
	;; [unrolled: 1-line block ×7, first 2 shown]
	s_waitcnt lgkmcnt(7)
	v_perm_b32 v5, v5, v2, s0
	ds_read_u16 v2, v0 offset:240
	ds_read_u16 v4, v0
	ds_read_u16 v13, v0 offset:32
	ds_read_u16 v21, v0 offset:64
	;; [unrolled: 1-line block ×6, first 2 shown]
	v_pk_mul_f16 v3, v71, v36
	s_waitcnt lgkmcnt(6)
	v_perm_b32 v4, v2, v4, s0
	v_cvt_f32_f16_e32 v0, v1
	v_cvt_f32_f16_sdwa v1, v1 dst_sel:DWORD dst_unused:UNUSED_PAD src0_sel:WORD_1
	v_cvt_f32_f16_e32 v2, v3
	v_cvt_f32_f16_sdwa v3, v3 dst_sel:DWORD dst_unused:UNUSED_PAD src0_sel:WORD_1
	v_pk_mul_f16 v15, v70, v36
	v_pk_mul_f16 v61, v61, v36
	v_cvt_pk_f16_f32 v35, v32, v22
	v_perm_b32 v9, v8, v6, s0
	s_waitcnt lgkmcnt(5)
	v_perm_b32 v8, v7, v13, s0
	v_mfma_f32_16x16x16_f16 v[0:3], v[4:5], v[34:35], v[0:3]
	v_cvt_f32_f16_e32 v4, v15
	v_cvt_f32_f16_sdwa v5, v15 dst_sel:DWORD dst_unused:UNUSED_PAD src0_sel:WORD_1
	v_cvt_f32_f16_e32 v6, v61
	v_cvt_f32_f16_sdwa v7, v61 dst_sel:DWORD dst_unused:UNUSED_PAD src0_sel:WORD_1
	v_perm_b32 v13, v12, v11, s0
	s_waitcnt lgkmcnt(4)
	v_perm_b32 v12, v10, v21, s0
	ds_read_u16 v21, v16 offset:96
	v_pk_mul_f16 v14, v60, v36
	v_pk_mul_f16 v15, v59, v36
	v_mfma_f32_16x16x16_f16 v[4:7], v[8:9], v[34:35], v[4:7]
	v_cvt_f32_f16_e32 v8, v14
	v_cvt_f32_f16_sdwa v9, v14 dst_sel:DWORD dst_unused:UNUSED_PAD src0_sel:WORD_1
	v_cvt_f32_f16_e32 v10, v15
	v_cvt_f32_f16_sdwa v11, v15 dst_sel:DWORD dst_unused:UNUSED_PAD src0_sel:WORD_1
	v_pk_mul_f16 v14, v58, v36
	v_pk_mul_f16 v15, v57, v36
	ds_read_u16 v57, v16 offset:128
	ds_read_u16 v58, v16 offset:160
	;; [unrolled: 1-line block ×3, first 2 shown]
	s_waitcnt lgkmcnt(3)
	v_perm_b32 v17, v21, v17, s0
	v_perm_b32 v16, v18, v52, s0
	v_mfma_f32_16x16x16_f16 v[8:11], v[12:13], v[34:35], v[8:11]
	v_cvt_f32_f16_e32 v12, v14
	v_cvt_f32_f16_sdwa v13, v14 dst_sel:DWORD dst_unused:UNUSED_PAD src0_sel:WORD_1
	v_cvt_f32_f16_e32 v14, v15
	v_cvt_f32_f16_sdwa v15, v15 dst_sel:DWORD dst_unused:UNUSED_PAD src0_sel:WORD_1
	v_add_f32_e32 v24, v32, v24
	v_pk_mul_f16 v18, v56, v36
	v_pk_mul_f16 v32, v54, v36
	s_waitcnt lgkmcnt(2)
	v_perm_b32 v21, v57, v20, s0
	v_perm_b32 v20, v19, v53, s0
	v_mfma_f32_16x16x16_f16 v[12:15], v[16:17], v[34:35], v[12:15]
	v_cvt_f32_f16_e32 v16, v18
	v_cvt_f32_f16_sdwa v17, v18 dst_sel:DWORD dst_unused:UNUSED_PAD src0_sel:WORD_1
	v_cvt_f32_f16_e32 v18, v32
	v_cvt_f32_f16_sdwa v19, v32 dst_sel:DWORD dst_unused:UNUSED_PAD src0_sel:WORD_1
	v_add_f32_e32 v32, v22, v24
	v_pk_mul_f16 v22, v51, v36
	v_pk_mul_f16 v50, v50, v36
	s_waitcnt lgkmcnt(1)
	v_perm_b32 v25, v58, v25, s0
	v_perm_b32 v24, v23, v62, s0
	v_mfma_f32_16x16x16_f16 v[16:19], v[20:21], v[34:35], v[16:19]
	v_cvt_f32_f16_e32 v20, v22
	v_cvt_f32_f16_sdwa v21, v22 dst_sel:DWORD dst_unused:UNUSED_PAD src0_sel:WORD_1
	v_cvt_f32_f16_e32 v22, v50
	v_cvt_f32_f16_sdwa v23, v50 dst_sel:DWORD dst_unused:UNUSED_PAD src0_sel:WORD_1
	v_fmac_f32_e32 v32, v41, v26
	v_pk_mul_f16 v26, v49, v36
	v_pk_mul_f16 v27, v27, v36
	v_perm_b32 v36, v40, v63, s0
	ds_bpermute_b32 v40, v31, v32
	s_waitcnt lgkmcnt(1)
	v_perm_b32 v37, v59, v37, s0
	v_mfma_f32_16x16x16_f16 v[20:23], v[24:25], v[34:35], v[20:23]
	v_cvt_f32_f16_e32 v24, v26
	v_cvt_f32_f16_sdwa v25, v26 dst_sel:DWORD dst_unused:UNUSED_PAD src0_sel:WORD_1
	v_cvt_f32_f16_e32 v26, v27
	v_cvt_f32_f16_sdwa v27, v27 dst_sel:DWORD dst_unused:UNUSED_PAD src0_sel:WORD_1
	s_waitcnt lgkmcnt(0)
	v_add_f32_e32 v32, v32, v40
	v_cmp_gt_u32_e64 s[0:1], 16, v29
	v_mfma_f32_16x16x16_f16 v[24:27], v[36:37], v[34:35], v[24:27]
	ds_bpermute_b32 v34, v33, v32
	s_waitcnt lgkmcnt(0)
	s_barrier
	s_and_saveexec_b64 s[4:5], s[0:1]
; %bb.266:
	v_add_f32_e32 v32, v32, v34
	v_or_b32_e32 v34, v47, v29
	s_movk_i32 s2, 0xf0
	v_mad_u32_u24 v34, v34, s2, 0
	ds_write2_b32 v34, v30, v32 offset0:56 offset1:57
; %bb.267:
	s_or_b64 exec, exec, s[4:5]
	v_and_b32_e32 v30, 3, v43
	v_cmp_eq_u32_e32 vcc, 0, v30
	v_cmp_ne_u32_e64 s[4:5], 0, v30
	s_waitcnt lgkmcnt(0)
	s_barrier
	s_and_saveexec_b64 s[2:3], s[4:5]
	s_xor_b64 s[4:5], exec, s[2:3]
	s_cbranch_execz .LBB19_269
; %bb.268:
	s_barrier
                                        ; implicit-def: $vgpr31
                                        ; implicit-def: $vgpr33
                                        ; implicit-def: $vgpr55
.LBB19_269:
	s_andn2_saveexec_b64 s[6:7], s[4:5]
	s_cbranch_execz .LBB19_273
; %bb.270:
	v_add_u32_e32 v30, v47, v29
	s_movk_i32 s2, 0xf0
	v_mad_u32_u24 v36, v30, s2, 0
	ds_read_b64 v[34:35], v36 offset:224
	s_mov_b32 s2, 0x3fb8aa3b
	s_mov_b32 s3, 0x42b17218
	s_mov_b32 s9, 0
	s_waitcnt lgkmcnt(0)
	ds_bpermute_b32 v30, v31, v34
	v_max_f32_e32 v32, v34, v34
	s_barrier
	s_waitcnt lgkmcnt(0)
	v_max_f32_e32 v30, v30, v30
	v_max_f32_e32 v30, v32, v30
	ds_bpermute_b32 v32, v33, v30
	s_waitcnt lgkmcnt(0)
	v_max_f32_e32 v32, v32, v32
	v_max_f32_e32 v30, v30, v32
	v_sub_f32_e32 v32, v34, v30
	v_mul_f32_e32 v34, 0x3fb8aa3b, v32
	v_fma_f32 v37, v32, s2, -v34
	v_rndne_f32_e32 v40, v34
	v_fmamk_f32 v37, v32, 0x32a5705f, v37
	v_sub_f32_e32 v34, v34, v40
	v_add_f32_e32 v34, v34, v37
	v_cvt_i32_f32_e32 v40, v40
	v_exp_f32_e32 v34, v34
	s_mov_b32 s2, 0xc2ce8ed0
	v_cmp_ngt_f32_e64 s[4:5], s2, v32
	v_mov_b32_e32 v37, 0x7f800000
	v_ldexp_f32 v34, v34, v40
	v_cndmask_b32_e64 v34, 0, v34, s[4:5]
	v_cmp_nlt_f32_e64 s[4:5], s3, v32
	s_nop 1
	v_cndmask_b32_e64 v32, v37, v34, s[4:5]
	v_mul_f32_e32 v34, v35, v32
	ds_bpermute_b32 v31, v31, v34
	s_waitcnt lgkmcnt(0)
	v_fmac_f32_e32 v31, v35, v32
	ds_bpermute_b32 v33, v33, v31
	s_waitcnt lgkmcnt(0)
	v_add_f32_e32 v33, v31, v33
	ds_write_b64 v36, v[32:33] offset:224
	s_and_saveexec_b64 s[4:5], s[0:1]
	s_cbranch_execz .LBB19_272
; %bb.271:
	s_add_i32 s0, s55, s33
	s_lshl_b32 s8, s0, 4
	s_lshl_b64 s[0:1], s[8:9], 3
	s_add_u32 s0, s50, s0
	v_or_b32_e32 v31, v55, v29
	s_addc_u32 s1, s51, s1
	v_lshlrev_b32_e32 v32, 3, v31
	v_mov_b32_e32 v31, v33
	global_store_dwordx2 v32, v[30:31], s[0:1]
.LBB19_272:
	s_or_b64 exec, exec, s[4:5]
.LBB19_273:
	s_or_b64 exec, exec, s[6:7]
	v_cvt_pk_f16_f32 v0, v0, v1
	v_cvt_pk_f16_f32 v1, v6, v7
	;; [unrolled: 1-line block ×3, first 2 shown]
	v_or_b32_e32 v14, v47, v28
	v_mul_u32_u24_e32 v14, 0xf0, v14
	v_cvt_pk_f16_f32 v2, v2, v3
	s_movk_i32 s4, 0xf0
	s_mov_b32 s3, 0
	v_add3_u32 v14, 0, v14, v48
	v_cvt_pk_f16_f32 v3, v4, v5
	v_cvt_pk_f16_f32 v4, v10, v11
	;; [unrolled: 1-line block ×10, first 2 shown]
	ds_write2_b32 v14, v0, v2 offset1:1
	ds_write2_b32 v14, v3, v1 offset0:8 offset1:9
	ds_write2_b32 v14, v5, v4 offset0:16 offset1:17
	;; [unrolled: 1-line block ×6, first 2 shown]
	s_waitcnt lgkmcnt(0)
	s_barrier
	s_and_saveexec_b64 s[0:1], vcc
	s_cbranch_execz .LBB19_275
; %bb.274:
	s_mul_i32 s2, s33, 0x380
	s_lshl_b64 s[6:7], s[2:3], 3
	s_add_u32 s5, s50, s6
	s_addc_u32 s6, s51, s7
	s_lshl_b32 s2, s55, 5
	v_lshrrev_b32_e32 v0, 1, v43
	s_lshl_b64 s[2:3], s[2:3], 3
	v_add_u32_e32 v12, v0, v45
	s_add_u32 s2, s5, s2
	v_lshlrev_b32_e32 v0, 2, v12
	v_and_b32_e32 v1, 15, v12
	s_movk_i32 s5, 0xfc0
	v_and_or_b32 v2, v0, s5, v1
	v_mad_u32_u24 v8, v2, s4, v44
	ds_read2st64_b32 v[0:1], v8 offset1:15
	v_mad_u32_u24 v2, v2, s4, 0
	v_add_u32_e32 v6, 0xe0, v2
	ds_read2st64_b32 v[2:3], v6 offset1:15
	ds_read2st64_b32 v[6:7], v6 offset0:30 offset1:45
	ds_read2st64_b32 v[8:9], v8 offset0:30 offset1:45
	s_waitcnt lgkmcnt(3)
	v_cvt_f32_f16_e32 v4, v0
	v_cvt_f32_f16_sdwa v5, v0 dst_sel:DWORD dst_unused:UNUSED_PAD src0_sel:WORD_1
	v_cvt_f32_f16_e32 v0, v1
	v_cvt_f32_f16_sdwa v1, v1 dst_sel:DWORD dst_unused:UNUSED_PAD src0_sel:WORD_1
	s_waitcnt lgkmcnt(0)
	v_cvt_f32_f16_e32 v10, v8
	v_cvt_f32_f16_sdwa v11, v8 dst_sel:DWORD dst_unused:UNUSED_PAD src0_sel:WORD_1
	v_cvt_f32_f16_e32 v8, v9
	v_cvt_f32_f16_sdwa v9, v9 dst_sel:DWORD dst_unused:UNUSED_PAD src0_sel:WORD_1
	v_pk_fma_f32 v[4:5], v[2:3], v[4:5], 0 op_sel_hi:[0,1,0]
	v_mov_b32_e32 v2, v3
	v_pk_fma_f32 v[0:1], v[2:3], v[0:1], v[4:5] op_sel_hi:[0,1,1]
	v_pk_fma_f32 v[0:1], v[6:7], v[10:11], v[0:1] op_sel_hi:[0,1,1]
	v_mov_b32_e32 v2, v7
	v_pk_fma_f32 v[0:1], v[2:3], v[8:9], v[0:1] op_sel_hi:[0,1,1]
	v_add_u32_e32 v2, 2, v12
	v_lshlrev_b32_e32 v3, 2, v2
	v_and_b32_e32 v2, 15, v2
	s_movk_i32 s5, 0x1fc0
	v_and_or_b32 v4, v3, s5, v2
	v_mul_u32_u24_e32 v13, 56, v12
	v_mad_u32_u24 v8, v4, s4, v44
	s_addc_u32 s3, s6, s3
	ds_read2st64_b32 v[2:3], v8 offset1:15
	v_add_lshl_u32 v13, v13, v38, 3
	v_mad_u32_u24 v4, v4, s4, 0
	v_add_u32_e32 v9, 0xe0, v4
	global_store_dwordx2 v13, v[0:1], s[2:3]
	ds_read2st64_b32 v[4:5], v9 offset1:15
	ds_read2st64_b32 v[0:1], v9 offset0:30 offset1:45
	ds_read2st64_b32 v[8:9], v8 offset0:30 offset1:45
	s_waitcnt lgkmcnt(3)
	v_cvt_f32_f16_e32 v6, v2
	v_cvt_f32_f16_sdwa v7, v2 dst_sel:DWORD dst_unused:UNUSED_PAD src0_sel:WORD_1
	v_cvt_f32_f16_e32 v2, v3
	v_cvt_f32_f16_sdwa v3, v3 dst_sel:DWORD dst_unused:UNUSED_PAD src0_sel:WORD_1
	s_waitcnt lgkmcnt(0)
	v_cvt_f32_f16_e32 v10, v8
	v_cvt_f32_f16_sdwa v11, v8 dst_sel:DWORD dst_unused:UNUSED_PAD src0_sel:WORD_1
	v_cvt_f32_f16_e32 v8, v9
	v_cvt_f32_f16_sdwa v9, v9 dst_sel:DWORD dst_unused:UNUSED_PAD src0_sel:WORD_1
	v_pk_fma_f32 v[6:7], v[4:5], v[6:7], 0 op_sel_hi:[0,1,0]
	v_mov_b32_e32 v4, v5
	v_pk_fma_f32 v[2:3], v[4:5], v[2:3], v[6:7] op_sel_hi:[0,1,1]
	v_pk_fma_f32 v[2:3], v[0:1], v[10:11], v[2:3] op_sel_hi:[0,1,1]
	v_mov_b32_e32 v0, v1
	v_pk_fma_f32 v[0:1], v[0:1], v[8:9], v[2:3] op_sel_hi:[0,1,1]
	v_add_u32_e32 v2, 4, v12
	v_lshlrev_b32_e32 v3, 2, v2
	v_and_b32_e32 v2, 15, v2
	v_and_or_b32 v4, v3, s5, v2
	v_mad_u32_u24 v8, v4, s4, v44
	ds_read2st64_b32 v[2:3], v8 offset1:15
	global_store_dwordx2 v13, v[0:1], s[2:3] offset:896
	v_mad_u32_u24 v0, v4, s4, 0
	v_add_u32_e32 v6, 0xe0, v0
	ds_read2st64_b32 v[0:1], v6 offset1:15
	ds_read2st64_b32 v[6:7], v6 offset0:30 offset1:45
	ds_read2st64_b32 v[8:9], v8 offset0:30 offset1:45
	s_waitcnt lgkmcnt(3)
	v_cvt_f32_f16_e32 v4, v2
	v_cvt_f32_f16_sdwa v5, v2 dst_sel:DWORD dst_unused:UNUSED_PAD src0_sel:WORD_1
	v_cvt_f32_f16_e32 v2, v3
	v_cvt_f32_f16_sdwa v3, v3 dst_sel:DWORD dst_unused:UNUSED_PAD src0_sel:WORD_1
	s_waitcnt lgkmcnt(0)
	v_cvt_f32_f16_e32 v10, v8
	v_cvt_f32_f16_sdwa v11, v8 dst_sel:DWORD dst_unused:UNUSED_PAD src0_sel:WORD_1
	v_cvt_f32_f16_e32 v8, v9
	v_cvt_f32_f16_sdwa v9, v9 dst_sel:DWORD dst_unused:UNUSED_PAD src0_sel:WORD_1
	v_pk_fma_f32 v[4:5], v[0:1], v[4:5], 0 op_sel_hi:[0,1,0]
	v_mov_b32_e32 v0, v1
	v_pk_fma_f32 v[0:1], v[0:1], v[2:3], v[4:5] op_sel_hi:[0,1,1]
	v_pk_fma_f32 v[0:1], v[6:7], v[10:11], v[0:1] op_sel_hi:[0,1,1]
	v_mov_b32_e32 v2, v7
	v_pk_fma_f32 v[0:1], v[2:3], v[8:9], v[0:1] op_sel_hi:[0,1,1]
	v_add_u32_e32 v2, 6, v12
	v_lshlrev_b32_e32 v3, 2, v2
	v_and_b32_e32 v2, 15, v2
	v_and_or_b32 v4, v3, s5, v2
	v_add_u32_e32 v14, 0x700, v13
	v_mad_u32_u24 v8, v4, s4, v44
	ds_read2st64_b32 v[2:3], v8 offset1:15
	global_store_dwordx2 v14, v[0:1], s[2:3]
	v_mad_u32_u24 v0, v4, s4, 0
	v_add_u32_e32 v6, 0xe0, v0
	ds_read2st64_b32 v[0:1], v6 offset1:15
	ds_read2st64_b32 v[6:7], v6 offset0:30 offset1:45
	ds_read2st64_b32 v[8:9], v8 offset0:30 offset1:45
	s_waitcnt lgkmcnt(3)
	v_cvt_f32_f16_e32 v4, v2
	v_cvt_f32_f16_sdwa v5, v2 dst_sel:DWORD dst_unused:UNUSED_PAD src0_sel:WORD_1
	v_cvt_f32_f16_e32 v2, v3
	v_cvt_f32_f16_sdwa v3, v3 dst_sel:DWORD dst_unused:UNUSED_PAD src0_sel:WORD_1
	s_waitcnt lgkmcnt(0)
	v_cvt_f32_f16_e32 v10, v8
	v_cvt_f32_f16_sdwa v11, v8 dst_sel:DWORD dst_unused:UNUSED_PAD src0_sel:WORD_1
	v_cvt_f32_f16_e32 v8, v9
	v_cvt_f32_f16_sdwa v9, v9 dst_sel:DWORD dst_unused:UNUSED_PAD src0_sel:WORD_1
	v_pk_fma_f32 v[4:5], v[0:1], v[4:5], 0 op_sel_hi:[0,1,0]
	v_mov_b32_e32 v0, v1
	v_pk_fma_f32 v[0:1], v[0:1], v[2:3], v[4:5] op_sel_hi:[0,1,1]
	v_pk_fma_f32 v[0:1], v[6:7], v[10:11], v[0:1] op_sel_hi:[0,1,1]
	v_mov_b32_e32 v2, v7
	v_pk_fma_f32 v[0:1], v[2:3], v[8:9], v[0:1] op_sel_hi:[0,1,1]
	v_add_u32_e32 v2, 8, v12
	v_lshlrev_b32_e32 v3, 2, v2
	v_and_b32_e32 v2, 15, v2
	v_and_or_b32 v4, v3, s5, v2
	v_add_u32_e32 v14, 0xa80, v13
	v_mad_u32_u24 v8, v4, s4, v44
	ds_read2st64_b32 v[2:3], v8 offset1:15
	global_store_dwordx2 v14, v[0:1], s[2:3]
	;; [unrolled: 29-line block ×5, first 2 shown]
	v_mad_u32_u24 v0, v4, s4, 0
	v_add_u32_e32 v6, 0xe0, v0
	ds_read2st64_b32 v[0:1], v6 offset1:15
	ds_read2st64_b32 v[6:7], v6 offset0:30 offset1:45
	ds_read2st64_b32 v[8:9], v8 offset0:30 offset1:45
	s_waitcnt lgkmcnt(3)
	v_cvt_f32_f16_e32 v4, v2
	v_cvt_f32_f16_sdwa v5, v2 dst_sel:DWORD dst_unused:UNUSED_PAD src0_sel:WORD_1
	v_cvt_f32_f16_e32 v2, v3
	v_cvt_f32_f16_sdwa v3, v3 dst_sel:DWORD dst_unused:UNUSED_PAD src0_sel:WORD_1
	s_waitcnt lgkmcnt(0)
	v_cvt_f32_f16_e32 v10, v8
	v_cvt_f32_f16_sdwa v11, v8 dst_sel:DWORD dst_unused:UNUSED_PAD src0_sel:WORD_1
	v_cvt_f32_f16_e32 v8, v9
	v_cvt_f32_f16_sdwa v9, v9 dst_sel:DWORD dst_unused:UNUSED_PAD src0_sel:WORD_1
	v_pk_fma_f32 v[4:5], v[0:1], v[4:5], 0 op_sel_hi:[0,1,0]
	v_mov_b32_e32 v0, v1
	v_pk_fma_f32 v[0:1], v[0:1], v[2:3], v[4:5] op_sel_hi:[0,1,1]
	v_pk_fma_f32 v[0:1], v[6:7], v[10:11], v[0:1] op_sel_hi:[0,1,1]
	v_mov_b32_e32 v2, v7
	v_add_u32_e32 v12, 0x1880, v13
	v_pk_fma_f32 v[0:1], v[2:3], v[8:9], v[0:1] op_sel_hi:[0,1,1]
	v_add_u32_e32 v16, v46, v43
	global_store_dwordx2 v12, v[0:1], s[2:3]
	v_lshlrev_b32_e32 v0, 2, v16
	v_and_b32_e32 v1, 15, v16
	v_lshl_add_u32 v17, v28, 2, 0
	v_and_or_b32 v0, v0, s5, v1
	v_mad_u32_u24 v2, v0, s4, 0
	v_mad_u32_u24 v0, v0, s4, v17
	v_add_u32_e32 v6, 0x80, v0
	ds_read2st64_b32 v[0:1], v6 offset1:15
	v_add_u32_e32 v4, 0xe0, v2
	ds_read2st64_b32 v[2:3], v4 offset1:15
	ds_read2st64_b32 v[4:5], v4 offset0:30 offset1:45
	ds_read2st64_b32 v[6:7], v6 offset0:30 offset1:45
	v_mad_u32_u24 v10, v16, 56, v28
	v_mov_b32_e32 v11, 0
	s_waitcnt lgkmcnt(3)
	v_cvt_f32_f16_e32 v8, v0
	v_cvt_f32_f16_sdwa v9, v0 dst_sel:DWORD dst_unused:UNUSED_PAD src0_sel:WORD_1
	v_cvt_f32_f16_e32 v0, v1
	v_cvt_f32_f16_sdwa v1, v1 dst_sel:DWORD dst_unused:UNUSED_PAD src0_sel:WORD_1
	s_waitcnt lgkmcnt(0)
	v_cvt_f32_f16_e32 v14, v6
	v_cvt_f32_f16_sdwa v15, v6 dst_sel:DWORD dst_unused:UNUSED_PAD src0_sel:WORD_1
	v_cvt_f32_f16_e32 v6, v7
	v_cvt_f32_f16_sdwa v7, v7 dst_sel:DWORD dst_unused:UNUSED_PAD src0_sel:WORD_1
	v_pk_fma_f32 v[8:9], v[2:3], v[8:9], 0 op_sel_hi:[0,1,0]
	v_mov_b32_e32 v2, v3
	v_pk_fma_f32 v[0:1], v[2:3], v[0:1], v[8:9] op_sel_hi:[0,1,1]
	v_pk_fma_f32 v[0:1], v[4:5], v[14:15], v[0:1] op_sel_hi:[0,1,1]
	v_mov_b32_e32 v2, v5
	v_lshl_add_u64 v[12:13], v[10:11], 3, s[2:3]
	v_pk_fma_f32 v[0:1], v[2:3], v[6:7], v[0:1] op_sel_hi:[0,1,1]
	global_store_dwordx2 v[12:13], v[0:1], off offset:256
	v_add_u32_e32 v0, 4, v16
	v_lshlrev_b32_e32 v1, 2, v0
	v_and_b32_e32 v0, 15, v0
	s_movk_i32 s5, 0x3fc0
	v_and_or_b32 v0, v1, s5, v0
	v_mad_u32_u24 v2, v0, s4, 0
	v_mad_u32_u24 v0, v0, s4, v17
	v_add_u32_e32 v6, 0x80, v0
	ds_read2st64_b32 v[0:1], v6 offset1:15
	v_add_u32_e32 v4, 0xe0, v2
	ds_read2st64_b32 v[2:3], v4 offset1:15
	ds_read2st64_b32 v[4:5], v4 offset0:30 offset1:45
	ds_read2st64_b32 v[6:7], v6 offset0:30 offset1:45
	v_add_u32_e32 v12, 0xe0, v10
	v_mov_b32_e32 v13, v11
	s_waitcnt lgkmcnt(3)
	v_cvt_f32_f16_e32 v8, v0
	v_cvt_f32_f16_sdwa v9, v0 dst_sel:DWORD dst_unused:UNUSED_PAD src0_sel:WORD_1
	v_cvt_f32_f16_e32 v0, v1
	v_cvt_f32_f16_sdwa v1, v1 dst_sel:DWORD dst_unused:UNUSED_PAD src0_sel:WORD_1
	s_waitcnt lgkmcnt(0)
	v_cvt_f32_f16_e32 v14, v6
	v_cvt_f32_f16_sdwa v15, v6 dst_sel:DWORD dst_unused:UNUSED_PAD src0_sel:WORD_1
	v_cvt_f32_f16_e32 v6, v7
	v_cvt_f32_f16_sdwa v7, v7 dst_sel:DWORD dst_unused:UNUSED_PAD src0_sel:WORD_1
	v_pk_fma_f32 v[8:9], v[2:3], v[8:9], 0 op_sel_hi:[0,1,0]
	v_mov_b32_e32 v2, v3
	v_pk_fma_f32 v[0:1], v[2:3], v[0:1], v[8:9] op_sel_hi:[0,1,1]
	v_pk_fma_f32 v[0:1], v[4:5], v[14:15], v[0:1] op_sel_hi:[0,1,1]
	v_mov_b32_e32 v2, v5
	v_lshl_add_u64 v[12:13], v[12:13], 3, s[2:3]
	v_pk_fma_f32 v[0:1], v[2:3], v[6:7], v[0:1] op_sel_hi:[0,1,1]
	global_store_dwordx2 v[12:13], v[0:1], off offset:256
	v_add_u32_e32 v0, 8, v16
	v_lshlrev_b32_e32 v1, 2, v0
	v_and_b32_e32 v0, 15, v0
	v_and_or_b32 v0, v1, s5, v0
	v_mad_u32_u24 v2, v0, s4, 0
	v_mad_u32_u24 v0, v0, s4, v17
	v_add_u32_e32 v6, 0x80, v0
	ds_read2st64_b32 v[0:1], v6 offset1:15
	v_add_u32_e32 v4, 0xe0, v2
	ds_read2st64_b32 v[2:3], v4 offset1:15
	ds_read2st64_b32 v[4:5], v4 offset0:30 offset1:45
	ds_read2st64_b32 v[6:7], v6 offset0:30 offset1:45
	v_add_u32_e32 v12, 0x1c0, v10
	v_mov_b32_e32 v13, v11
	s_waitcnt lgkmcnt(3)
	v_cvt_f32_f16_e32 v8, v0
	v_cvt_f32_f16_sdwa v9, v0 dst_sel:DWORD dst_unused:UNUSED_PAD src0_sel:WORD_1
	v_cvt_f32_f16_e32 v0, v1
	v_cvt_f32_f16_sdwa v1, v1 dst_sel:DWORD dst_unused:UNUSED_PAD src0_sel:WORD_1
	s_waitcnt lgkmcnt(0)
	v_cvt_f32_f16_e32 v14, v6
	v_cvt_f32_f16_sdwa v15, v6 dst_sel:DWORD dst_unused:UNUSED_PAD src0_sel:WORD_1
	v_cvt_f32_f16_e32 v6, v7
	v_cvt_f32_f16_sdwa v7, v7 dst_sel:DWORD dst_unused:UNUSED_PAD src0_sel:WORD_1
	v_pk_fma_f32 v[8:9], v[2:3], v[8:9], 0 op_sel_hi:[0,1,0]
	v_mov_b32_e32 v2, v3
	v_pk_fma_f32 v[0:1], v[2:3], v[0:1], v[8:9] op_sel_hi:[0,1,1]
	v_pk_fma_f32 v[0:1], v[4:5], v[14:15], v[0:1] op_sel_hi:[0,1,1]
	v_mov_b32_e32 v2, v5
	v_lshl_add_u64 v[12:13], v[12:13], 3, s[2:3]
	v_pk_fma_f32 v[0:1], v[2:3], v[6:7], v[0:1] op_sel_hi:[0,1,1]
	global_store_dwordx2 v[12:13], v[0:1], off offset:256
	v_add_u32_e32 v0, 12, v16
	v_lshlrev_b32_e32 v1, 2, v0
	v_and_b32_e32 v0, 15, v0
	v_and_or_b32 v2, v1, s5, v0
	v_mad_u32_u24 v0, v2, s4, v17
	v_add_u32_e32 v8, 0x80, v0
	ds_read2st64_b32 v[0:1], v8 offset1:15
	v_mad_u32_u24 v2, v2, s4, 0
	v_add_u32_e32 v4, 0xe0, v2
	ds_read2st64_b32 v[2:3], v4 offset1:15
	ds_read2st64_b32 v[4:5], v4 offset0:30 offset1:45
	ds_read2st64_b32 v[8:9], v8 offset0:30 offset1:45
	s_waitcnt lgkmcnt(3)
	v_cvt_f32_f16_e32 v6, v0
	v_cvt_f32_f16_sdwa v7, v0 dst_sel:DWORD dst_unused:UNUSED_PAD src0_sel:WORD_1
	v_cvt_f32_f16_e32 v0, v1
	v_cvt_f32_f16_sdwa v1, v1 dst_sel:DWORD dst_unused:UNUSED_PAD src0_sel:WORD_1
	s_waitcnt lgkmcnt(0)
	v_cvt_f32_f16_e32 v12, v8
	v_cvt_f32_f16_sdwa v13, v8 dst_sel:DWORD dst_unused:UNUSED_PAD src0_sel:WORD_1
	v_cvt_f32_f16_e32 v8, v9
	v_cvt_f32_f16_sdwa v9, v9 dst_sel:DWORD dst_unused:UNUSED_PAD src0_sel:WORD_1
	v_pk_fma_f32 v[6:7], v[2:3], v[6:7], 0 op_sel_hi:[0,1,0]
	v_mov_b32_e32 v2, v3
	v_pk_fma_f32 v[0:1], v[2:3], v[0:1], v[6:7] op_sel_hi:[0,1,1]
	v_add_u32_e32 v10, 0x2a0, v10
	v_pk_fma_f32 v[0:1], v[4:5], v[12:13], v[0:1] op_sel_hi:[0,1,1]
	v_mov_b32_e32 v2, v5
	v_lshl_add_u64 v[10:11], v[10:11], 3, s[2:3]
	v_pk_fma_f32 v[0:1], v[2:3], v[8:9], v[0:1] op_sel_hi:[0,1,1]
	v_add_u32_e32 v12, v39, v42
	global_store_dwordx2 v[10:11], v[0:1], off offset:256
	v_and_b32_e32 v10, 7, v29
	v_lshlrev_b32_e32 v0, 2, v12
	v_and_b32_e32 v1, 15, v12
	v_lshl_add_u32 v13, v10, 2, 0
	v_and_or_b32 v2, v0, s5, v1
	v_mad_u32_u24 v0, v2, s4, v13
	v_add_u32_e32 v8, 0xc0, v0
	ds_read2st64_b32 v[0:1], v8 offset1:15
	v_mad_u32_u24 v2, v2, s4, 0
	v_add_u32_e32 v6, 0xe0, v2
	ds_read2st64_b32 v[2:3], v6 offset1:15
	ds_read2st64_b32 v[6:7], v6 offset0:30 offset1:45
	ds_read2st64_b32 v[8:9], v8 offset0:30 offset1:45
	s_waitcnt lgkmcnt(3)
	v_cvt_f32_f16_e32 v4, v0
	v_cvt_f32_f16_sdwa v5, v0 dst_sel:DWORD dst_unused:UNUSED_PAD src0_sel:WORD_1
	v_mul_u32_u24_e32 v11, 56, v12
	v_cvt_f32_f16_e32 v0, v1
	v_cvt_f32_f16_sdwa v1, v1 dst_sel:DWORD dst_unused:UNUSED_PAD src0_sel:WORD_1
	v_or_b32_e32 v14, v11, v10
	s_waitcnt lgkmcnt(0)
	v_cvt_f32_f16_e32 v10, v8
	v_cvt_f32_f16_sdwa v11, v8 dst_sel:DWORD dst_unused:UNUSED_PAD src0_sel:WORD_1
	v_cvt_f32_f16_e32 v8, v9
	v_cvt_f32_f16_sdwa v9, v9 dst_sel:DWORD dst_unused:UNUSED_PAD src0_sel:WORD_1
	v_pk_fma_f32 v[4:5], v[2:3], v[4:5], 0 op_sel_hi:[0,1,0]
	v_mov_b32_e32 v2, v3
	v_pk_fma_f32 v[0:1], v[2:3], v[0:1], v[4:5] op_sel_hi:[0,1,1]
	v_pk_fma_f32 v[0:1], v[6:7], v[10:11], v[0:1] op_sel_hi:[0,1,1]
	v_mov_b32_e32 v2, v7
	v_pk_fma_f32 v[0:1], v[2:3], v[8:9], v[0:1] op_sel_hi:[0,1,1]
	v_add_u32_e32 v2, 8, v12
	v_lshlrev_b32_e32 v3, 2, v2
	v_and_b32_e32 v2, 15, v2
	s_movk_i32 s5, 0x7fc0
	v_and_or_b32 v4, v3, s5, v2
	v_mad_u32_u24 v2, v4, s4, v13
	v_lshlrev_b32_e32 v10, 3, v14
	v_add_u32_e32 v8, 0xc0, v2
	ds_read2st64_b32 v[2:3], v8 offset1:15
	global_store_dwordx2 v10, v[0:1], s[2:3] offset:384
	v_mad_u32_u24 v0, v4, s4, 0
	v_add_u32_e32 v6, 0xe0, v0
	ds_read2st64_b32 v[0:1], v6 offset1:15
	ds_read2st64_b32 v[6:7], v6 offset0:30 offset1:45
	ds_read2st64_b32 v[8:9], v8 offset0:30 offset1:45
	s_waitcnt lgkmcnt(3)
	v_cvt_f32_f16_e32 v4, v2
	v_cvt_f32_f16_sdwa v5, v2 dst_sel:DWORD dst_unused:UNUSED_PAD src0_sel:WORD_1
	v_cvt_f32_f16_e32 v2, v3
	v_cvt_f32_f16_sdwa v3, v3 dst_sel:DWORD dst_unused:UNUSED_PAD src0_sel:WORD_1
	v_add_u32_e32 v12, 0xe00, v10
	s_waitcnt lgkmcnt(0)
	v_cvt_f32_f16_e32 v10, v8
	v_cvt_f32_f16_sdwa v11, v8 dst_sel:DWORD dst_unused:UNUSED_PAD src0_sel:WORD_1
	v_cvt_f32_f16_e32 v8, v9
	v_cvt_f32_f16_sdwa v9, v9 dst_sel:DWORD dst_unused:UNUSED_PAD src0_sel:WORD_1
	v_pk_fma_f32 v[4:5], v[0:1], v[4:5], 0 op_sel_hi:[0,1,0]
	v_mov_b32_e32 v0, v1
	v_pk_fma_f32 v[0:1], v[0:1], v[2:3], v[4:5] op_sel_hi:[0,1,1]
	v_pk_fma_f32 v[0:1], v[6:7], v[10:11], v[0:1] op_sel_hi:[0,1,1]
	v_mov_b32_e32 v2, v7
	v_pk_fma_f32 v[0:1], v[2:3], v[8:9], v[0:1] op_sel_hi:[0,1,1]
	global_store_dwordx2 v12, v[0:1], s[2:3] offset:384
.LBB19_275:
	s_or_b64 exec, exec, s[0:1]
	s_barrier
	s_endpgm
	.section	.rodata,"a",@progbits
	.p2align	6, 0x0
	.amdhsa_kernel _ZL18flash_attn_ext_f16ILi112ELi112ELi4ELi4ELb0ELb0EEvPKcS1_S1_S1_S1_PKiPfP15HIP_vector_typeIfLj2EEffffjfiS5_IjLj3EEiiiiiiiiiiiliiliiiiil
		.amdhsa_group_segment_fixed_size 0
		.amdhsa_private_segment_fixed_size 0
		.amdhsa_kernarg_size 464
		.amdhsa_user_sgpr_count 2
		.amdhsa_user_sgpr_dispatch_ptr 0
		.amdhsa_user_sgpr_queue_ptr 0
		.amdhsa_user_sgpr_kernarg_segment_ptr 1
		.amdhsa_user_sgpr_dispatch_id 0
		.amdhsa_user_sgpr_kernarg_preload_length 0
		.amdhsa_user_sgpr_kernarg_preload_offset 0
		.amdhsa_user_sgpr_private_segment_size 0
		.amdhsa_uses_dynamic_stack 0
		.amdhsa_enable_private_segment 0
		.amdhsa_system_sgpr_workgroup_id_x 1
		.amdhsa_system_sgpr_workgroup_id_y 0
		.amdhsa_system_sgpr_workgroup_id_z 0
		.amdhsa_system_sgpr_workgroup_info 0
		.amdhsa_system_vgpr_workitem_id 1
		.amdhsa_next_free_vgpr 195
		.amdhsa_next_free_sgpr 100
		.amdhsa_accum_offset 196
		.amdhsa_reserve_vcc 1
		.amdhsa_float_round_mode_32 0
		.amdhsa_float_round_mode_16_64 0
		.amdhsa_float_denorm_mode_32 3
		.amdhsa_float_denorm_mode_16_64 3
		.amdhsa_dx10_clamp 1
		.amdhsa_ieee_mode 1
		.amdhsa_fp16_overflow 0
		.amdhsa_tg_split 0
		.amdhsa_exception_fp_ieee_invalid_op 0
		.amdhsa_exception_fp_denorm_src 0
		.amdhsa_exception_fp_ieee_div_zero 0
		.amdhsa_exception_fp_ieee_overflow 0
		.amdhsa_exception_fp_ieee_underflow 0
		.amdhsa_exception_fp_ieee_inexact 0
		.amdhsa_exception_int_div_zero 0
	.end_amdhsa_kernel
	.section	.text._ZL18flash_attn_ext_f16ILi112ELi112ELi4ELi4ELb0ELb0EEvPKcS1_S1_S1_S1_PKiPfP15HIP_vector_typeIfLj2EEffffjfiS5_IjLj3EEiiiiiiiiiiiliiliiiiil,"axG",@progbits,_ZL18flash_attn_ext_f16ILi112ELi112ELi4ELi4ELb0ELb0EEvPKcS1_S1_S1_S1_PKiPfP15HIP_vector_typeIfLj2EEffffjfiS5_IjLj3EEiiiiiiiiiiiliiliiiiil,comdat
.Lfunc_end19:
	.size	_ZL18flash_attn_ext_f16ILi112ELi112ELi4ELi4ELb0ELb0EEvPKcS1_S1_S1_S1_PKiPfP15HIP_vector_typeIfLj2EEffffjfiS5_IjLj3EEiiiiiiiiiiiliiliiiiil, .Lfunc_end19-_ZL18flash_attn_ext_f16ILi112ELi112ELi4ELi4ELb0ELb0EEvPKcS1_S1_S1_S1_PKiPfP15HIP_vector_typeIfLj2EEffffjfiS5_IjLj3EEiiiiiiiiiiiliiliiiiil
                                        ; -- End function
	.set _ZL18flash_attn_ext_f16ILi112ELi112ELi4ELi4ELb0ELb0EEvPKcS1_S1_S1_S1_PKiPfP15HIP_vector_typeIfLj2EEffffjfiS5_IjLj3EEiiiiiiiiiiiliiliiiiil.num_vgpr, 195
	.set _ZL18flash_attn_ext_f16ILi112ELi112ELi4ELi4ELb0ELb0EEvPKcS1_S1_S1_S1_PKiPfP15HIP_vector_typeIfLj2EEffffjfiS5_IjLj3EEiiiiiiiiiiiliiliiiiil.num_agpr, 0
	.set _ZL18flash_attn_ext_f16ILi112ELi112ELi4ELi4ELb0ELb0EEvPKcS1_S1_S1_S1_PKiPfP15HIP_vector_typeIfLj2EEffffjfiS5_IjLj3EEiiiiiiiiiiiliiliiiiil.numbered_sgpr, 100
	.set _ZL18flash_attn_ext_f16ILi112ELi112ELi4ELi4ELb0ELb0EEvPKcS1_S1_S1_S1_PKiPfP15HIP_vector_typeIfLj2EEffffjfiS5_IjLj3EEiiiiiiiiiiiliiliiiiil.num_named_barrier, 0
	.set _ZL18flash_attn_ext_f16ILi112ELi112ELi4ELi4ELb0ELb0EEvPKcS1_S1_S1_S1_PKiPfP15HIP_vector_typeIfLj2EEffffjfiS5_IjLj3EEiiiiiiiiiiiliiliiiiil.private_seg_size, 0
	.set _ZL18flash_attn_ext_f16ILi112ELi112ELi4ELi4ELb0ELb0EEvPKcS1_S1_S1_S1_PKiPfP15HIP_vector_typeIfLj2EEffffjfiS5_IjLj3EEiiiiiiiiiiiliiliiiiil.uses_vcc, 1
	.set _ZL18flash_attn_ext_f16ILi112ELi112ELi4ELi4ELb0ELb0EEvPKcS1_S1_S1_S1_PKiPfP15HIP_vector_typeIfLj2EEffffjfiS5_IjLj3EEiiiiiiiiiiiliiliiiiil.uses_flat_scratch, 0
	.set _ZL18flash_attn_ext_f16ILi112ELi112ELi4ELi4ELb0ELb0EEvPKcS1_S1_S1_S1_PKiPfP15HIP_vector_typeIfLj2EEffffjfiS5_IjLj3EEiiiiiiiiiiiliiliiiiil.has_dyn_sized_stack, 0
	.set _ZL18flash_attn_ext_f16ILi112ELi112ELi4ELi4ELb0ELb0EEvPKcS1_S1_S1_S1_PKiPfP15HIP_vector_typeIfLj2EEffffjfiS5_IjLj3EEiiiiiiiiiiiliiliiiiil.has_recursion, 0
	.set _ZL18flash_attn_ext_f16ILi112ELi112ELi4ELi4ELb0ELb0EEvPKcS1_S1_S1_S1_PKiPfP15HIP_vector_typeIfLj2EEffffjfiS5_IjLj3EEiiiiiiiiiiiliiliiiiil.has_indirect_call, 0
	.section	.AMDGPU.csdata,"",@progbits
; Kernel info:
; codeLenInByte = 36396
; TotalNumSgprs: 106
; NumVgprs: 195
; NumAgprs: 0
; TotalNumVgprs: 195
; ScratchSize: 0
; MemoryBound: 0
; FloatMode: 240
; IeeeMode: 1
; LDSByteSize: 0 bytes/workgroup (compile time only)
; SGPRBlocks: 13
; VGPRBlocks: 24
; NumSGPRsForWavesPerEU: 106
; NumVGPRsForWavesPerEU: 195
; AccumOffset: 196
; Occupancy: 2
; WaveLimiterHint : 1
; COMPUTE_PGM_RSRC2:SCRATCH_EN: 0
; COMPUTE_PGM_RSRC2:USER_SGPR: 2
; COMPUTE_PGM_RSRC2:TRAP_HANDLER: 0
; COMPUTE_PGM_RSRC2:TGID_X_EN: 1
; COMPUTE_PGM_RSRC2:TGID_Y_EN: 0
; COMPUTE_PGM_RSRC2:TGID_Z_EN: 0
; COMPUTE_PGM_RSRC2:TIDIG_COMP_CNT: 1
; COMPUTE_PGM_RSRC3_GFX90A:ACCUM_OFFSET: 48
; COMPUTE_PGM_RSRC3_GFX90A:TG_SPLIT: 0
	.section	.text._ZL18flash_attn_ext_f16ILi112ELi112ELi4ELi4ELb1ELb0EEvPKcS1_S1_S1_S1_PKiPfP15HIP_vector_typeIfLj2EEffffjfiS5_IjLj3EEiiiiiiiiiiiliiliiiiil,"axG",@progbits,_ZL18flash_attn_ext_f16ILi112ELi112ELi4ELi4ELb1ELb0EEvPKcS1_S1_S1_S1_PKiPfP15HIP_vector_typeIfLj2EEffffjfiS5_IjLj3EEiiiiiiiiiiiliiliiiiil,comdat
	.globl	_ZL18flash_attn_ext_f16ILi112ELi112ELi4ELi4ELb1ELb0EEvPKcS1_S1_S1_S1_PKiPfP15HIP_vector_typeIfLj2EEffffjfiS5_IjLj3EEiiiiiiiiiiiliiliiiiil ; -- Begin function _ZL18flash_attn_ext_f16ILi112ELi112ELi4ELi4ELb1ELb0EEvPKcS1_S1_S1_S1_PKiPfP15HIP_vector_typeIfLj2EEffffjfiS5_IjLj3EEiiiiiiiiiiiliiliiiiil
	.p2align	8
	.type	_ZL18flash_attn_ext_f16ILi112ELi112ELi4ELi4ELb1ELb0EEvPKcS1_S1_S1_S1_PKiPfP15HIP_vector_typeIfLj2EEffffjfiS5_IjLj3EEiiiiiiiiiiiliiliiiiil,@function
_ZL18flash_attn_ext_f16ILi112ELi112ELi4ELi4ELb1ELb0EEvPKcS1_S1_S1_S1_PKiPfP15HIP_vector_typeIfLj2EEffffjfiS5_IjLj3EEiiiiiiiiiiiliiliiiiil: ; @_ZL18flash_attn_ext_f16ILi112ELi112ELi4ELi4ELb1ELb0EEvPKcS1_S1_S1_S1_PKiPfP15HIP_vector_typeIfLj2EEffffjfiS5_IjLj3EEiiiiiiiiiiiliiliiiiil
; %bb.0:
	s_add_u32 s8, s0, 0xd0
	s_addc_u32 s9, s1, 0
	s_getpc_b64 s[0:1]
	s_add_u32 s0, s0, _ZL14no_device_codePKciS0_iS0_@rel32@lo+4
	s_addc_u32 s1, s1, _ZL14no_device_codePKciS0_iS0_@rel32@hi+12
	v_mov_b32_e32 v0, 0x6cc
	s_mov_b32 s32, 0
	s_swappc_b64 s[30:31], s[0:1]
	.section	.rodata,"a",@progbits
	.p2align	6, 0x0
	.amdhsa_kernel _ZL18flash_attn_ext_f16ILi112ELi112ELi4ELi4ELb1ELb0EEvPKcS1_S1_S1_S1_PKiPfP15HIP_vector_typeIfLj2EEffffjfiS5_IjLj3EEiiiiiiiiiiiliiliiiiil
		.amdhsa_group_segment_fixed_size 0
		.amdhsa_private_segment_fixed_size 16
		.amdhsa_kernarg_size 464
		.amdhsa_user_sgpr_count 2
		.amdhsa_user_sgpr_dispatch_ptr 0
		.amdhsa_user_sgpr_queue_ptr 0
		.amdhsa_user_sgpr_kernarg_segment_ptr 1
		.amdhsa_user_sgpr_dispatch_id 0
		.amdhsa_user_sgpr_kernarg_preload_length 0
		.amdhsa_user_sgpr_kernarg_preload_offset 0
		.amdhsa_user_sgpr_private_segment_size 0
		.amdhsa_uses_dynamic_stack 0
		.amdhsa_enable_private_segment 1
		.amdhsa_system_sgpr_workgroup_id_x 1
		.amdhsa_system_sgpr_workgroup_id_y 0
		.amdhsa_system_sgpr_workgroup_id_z 0
		.amdhsa_system_sgpr_workgroup_info 0
		.amdhsa_system_vgpr_workitem_id 0
		.amdhsa_next_free_vgpr 52
		.amdhsa_next_free_sgpr 34
		.amdhsa_accum_offset 52
		.amdhsa_reserve_vcc 1
		.amdhsa_float_round_mode_32 0
		.amdhsa_float_round_mode_16_64 0
		.amdhsa_float_denorm_mode_32 3
		.amdhsa_float_denorm_mode_16_64 3
		.amdhsa_dx10_clamp 1
		.amdhsa_ieee_mode 1
		.amdhsa_fp16_overflow 0
		.amdhsa_tg_split 0
		.amdhsa_exception_fp_ieee_invalid_op 0
		.amdhsa_exception_fp_denorm_src 0
		.amdhsa_exception_fp_ieee_div_zero 0
		.amdhsa_exception_fp_ieee_overflow 0
		.amdhsa_exception_fp_ieee_underflow 0
		.amdhsa_exception_fp_ieee_inexact 0
		.amdhsa_exception_int_div_zero 0
	.end_amdhsa_kernel
	.section	.text._ZL18flash_attn_ext_f16ILi112ELi112ELi4ELi4ELb1ELb0EEvPKcS1_S1_S1_S1_PKiPfP15HIP_vector_typeIfLj2EEffffjfiS5_IjLj3EEiiiiiiiiiiiliiliiiiil,"axG",@progbits,_ZL18flash_attn_ext_f16ILi112ELi112ELi4ELi4ELb1ELb0EEvPKcS1_S1_S1_S1_PKiPfP15HIP_vector_typeIfLj2EEffffjfiS5_IjLj3EEiiiiiiiiiiiliiliiiiil,comdat
.Lfunc_end20:
	.size	_ZL18flash_attn_ext_f16ILi112ELi112ELi4ELi4ELb1ELb0EEvPKcS1_S1_S1_S1_PKiPfP15HIP_vector_typeIfLj2EEffffjfiS5_IjLj3EEiiiiiiiiiiiliiliiiiil, .Lfunc_end20-_ZL18flash_attn_ext_f16ILi112ELi112ELi4ELi4ELb1ELb0EEvPKcS1_S1_S1_S1_PKiPfP15HIP_vector_typeIfLj2EEffffjfiS5_IjLj3EEiiiiiiiiiiiliiliiiiil
                                        ; -- End function
	.set _ZL18flash_attn_ext_f16ILi112ELi112ELi4ELi4ELb1ELb0EEvPKcS1_S1_S1_S1_PKiPfP15HIP_vector_typeIfLj2EEffffjfiS5_IjLj3EEiiiiiiiiiiiliiliiiiil.num_vgpr, max(1, .L_ZL14no_device_codePKciS0_iS0_.num_vgpr)
	.set _ZL18flash_attn_ext_f16ILi112ELi112ELi4ELi4ELb1ELb0EEvPKcS1_S1_S1_S1_PKiPfP15HIP_vector_typeIfLj2EEffffjfiS5_IjLj3EEiiiiiiiiiiiliiliiiiil.num_agpr, max(0, .L_ZL14no_device_codePKciS0_iS0_.num_agpr)
	.set _ZL18flash_attn_ext_f16ILi112ELi112ELi4ELi4ELb1ELb0EEvPKcS1_S1_S1_S1_PKiPfP15HIP_vector_typeIfLj2EEffffjfiS5_IjLj3EEiiiiiiiiiiiliiliiiiil.numbered_sgpr, max(33, .L_ZL14no_device_codePKciS0_iS0_.numbered_sgpr)
	.set _ZL18flash_attn_ext_f16ILi112ELi112ELi4ELi4ELb1ELb0EEvPKcS1_S1_S1_S1_PKiPfP15HIP_vector_typeIfLj2EEffffjfiS5_IjLj3EEiiiiiiiiiiiliiliiiiil.num_named_barrier, max(0, .L_ZL14no_device_codePKciS0_iS0_.num_named_barrier)
	.set _ZL18flash_attn_ext_f16ILi112ELi112ELi4ELi4ELb1ELb0EEvPKcS1_S1_S1_S1_PKiPfP15HIP_vector_typeIfLj2EEffffjfiS5_IjLj3EEiiiiiiiiiiiliiliiiiil.private_seg_size, 0+max(.L_ZL14no_device_codePKciS0_iS0_.private_seg_size)
	.set _ZL18flash_attn_ext_f16ILi112ELi112ELi4ELi4ELb1ELb0EEvPKcS1_S1_S1_S1_PKiPfP15HIP_vector_typeIfLj2EEffffjfiS5_IjLj3EEiiiiiiiiiiiliiliiiiil.uses_vcc, or(1, .L_ZL14no_device_codePKciS0_iS0_.uses_vcc)
	.set _ZL18flash_attn_ext_f16ILi112ELi112ELi4ELi4ELb1ELb0EEvPKcS1_S1_S1_S1_PKiPfP15HIP_vector_typeIfLj2EEffffjfiS5_IjLj3EEiiiiiiiiiiiliiliiiiil.uses_flat_scratch, or(0, .L_ZL14no_device_codePKciS0_iS0_.uses_flat_scratch)
	.set _ZL18flash_attn_ext_f16ILi112ELi112ELi4ELi4ELb1ELb0EEvPKcS1_S1_S1_S1_PKiPfP15HIP_vector_typeIfLj2EEffffjfiS5_IjLj3EEiiiiiiiiiiiliiliiiiil.has_dyn_sized_stack, or(0, .L_ZL14no_device_codePKciS0_iS0_.has_dyn_sized_stack)
	.set _ZL18flash_attn_ext_f16ILi112ELi112ELi4ELi4ELb1ELb0EEvPKcS1_S1_S1_S1_PKiPfP15HIP_vector_typeIfLj2EEffffjfiS5_IjLj3EEiiiiiiiiiiiliiliiiiil.has_recursion, or(0, .L_ZL14no_device_codePKciS0_iS0_.has_recursion)
	.set _ZL18flash_attn_ext_f16ILi112ELi112ELi4ELi4ELb1ELb0EEvPKcS1_S1_S1_S1_PKiPfP15HIP_vector_typeIfLj2EEffffjfiS5_IjLj3EEiiiiiiiiiiiliiliiiiil.has_indirect_call, or(0, .L_ZL14no_device_codePKciS0_iS0_.has_indirect_call)
	.section	.AMDGPU.csdata,"",@progbits
; Kernel info:
; codeLenInByte = 48
; TotalNumSgprs: 40
; NumVgprs: 52
; NumAgprs: 0
; TotalNumVgprs: 52
; ScratchSize: 16
; MemoryBound: 0
; FloatMode: 240
; IeeeMode: 1
; LDSByteSize: 0 bytes/workgroup (compile time only)
; SGPRBlocks: 4
; VGPRBlocks: 6
; NumSGPRsForWavesPerEU: 40
; NumVGPRsForWavesPerEU: 52
; AccumOffset: 52
; Occupancy: 8
; WaveLimiterHint : 1
; COMPUTE_PGM_RSRC2:SCRATCH_EN: 1
; COMPUTE_PGM_RSRC2:USER_SGPR: 2
; COMPUTE_PGM_RSRC2:TRAP_HANDLER: 0
; COMPUTE_PGM_RSRC2:TGID_X_EN: 1
; COMPUTE_PGM_RSRC2:TGID_Y_EN: 0
; COMPUTE_PGM_RSRC2:TGID_Z_EN: 0
; COMPUTE_PGM_RSRC2:TIDIG_COMP_CNT: 0
; COMPUTE_PGM_RSRC3_GFX90A:ACCUM_OFFSET: 12
; COMPUTE_PGM_RSRC3_GFX90A:TG_SPLIT: 0
	.section	.text._ZL33flash_attn_stream_k_fixup_uniformILi112ELi4ELi4EEvPfPK15HIP_vector_typeIfLj2EEiiiiiiS1_IjLj3EES5_S5_,"axG",@progbits,_ZL33flash_attn_stream_k_fixup_uniformILi112ELi4ELi4EEvPfPK15HIP_vector_typeIfLj2EEiiiiiiS1_IjLj3EES5_S5_,comdat
	.globl	_ZL33flash_attn_stream_k_fixup_uniformILi112ELi4ELi4EEvPfPK15HIP_vector_typeIfLj2EEiiiiiiS1_IjLj3EES5_S5_ ; -- Begin function _ZL33flash_attn_stream_k_fixup_uniformILi112ELi4ELi4EEvPfPK15HIP_vector_typeIfLj2EEiiiiiiS1_IjLj3EES5_S5_
	.p2align	8
	.type	_ZL33flash_attn_stream_k_fixup_uniformILi112ELi4ELi4EEvPfPK15HIP_vector_typeIfLj2EEiiiiiiS1_IjLj3EES5_S5_,@function
_ZL33flash_attn_stream_k_fixup_uniformILi112ELi4ELi4EEvPfPK15HIP_vector_typeIfLj2EEiiiiiiS1_IjLj3EES5_S5_: ; @_ZL33flash_attn_stream_k_fixup_uniformILi112ELi4ELi4EEvPfPK15HIP_vector_typeIfLj2EEiiiiiiS1_IjLj3EES5_S5_
; %bb.0:
	s_load_dwordx8 s[8:15], s[0:1], 0x1c
	s_load_dwordx2 s[6:7], s[0:1], 0x10
	s_load_dwordx4 s[16:19], s[0:1], 0x3c
	s_waitcnt lgkmcnt(0)
	s_mul_hi_u32 s5, s11, s2
	s_add_i32 s5, s2, s5
	s_lshr_b32 s5, s5, s12
	s_mul_i32 s11, s5, s13
	s_sub_i32 s12, s2, s11
	s_mul_hi_u32 s11, s12, s14
	s_add_i32 s11, s12, s11
	s_lshr_b32 s11, s11, s15
	s_mul_i32 s13, s11, s16
	s_sub_i32 s12, s12, s13
	;; [unrolled: 5-line block ×3, first 2 shown]
	s_lshl_b32 s12, s16, 2
	s_lshl_b32 s17, s13, 2
	s_add_i32 s12, s12, s3
	s_cmp_lt_i32 s12, s6
	s_cselect_b64 s[12:13], -1, 0
	s_add_i32 s17, s17, s4
	s_cmp_lt_i32 s17, s9
	s_cselect_b64 s[14:15], -1, 0
	s_and_b64 s[12:13], s[12:13], s[14:15]
	s_andn2_b64 vcc, exec, s[12:13]
	s_cbranch_vccnz .LBB21_6
; %bb.1:
	s_load_dwordx4 s[12:15], s[0:1], 0x0
	s_mul_i32 s0, s5, s6
	s_mul_i32 s11, s11, s9
	s_add_i32 s0, s0, s3
	s_mul_i32 s0, s0, s7
	s_add_i32 s5, s17, s11
	;; [unrolled: 2-line block ×3, first 2 shown]
	s_mulk_i32 s1, 0x1c0
	s_mulk_i32 s0, 0x70
	s_add_i32 s0, s0, s1
	v_add_u32_e32 v4, s0, v0
	s_waitcnt lgkmcnt(0)
	v_mov_b32_e32 v2, s12
	v_mov_b32_e32 v3, s13
	v_ashrrev_i32_e32 v5, 31, v4
	v_lshl_add_u64 v[2:3], v[4:5], 2, v[2:3]
	global_load_dword v5, v[2:3], off
	s_mul_i32 s5, s10, s2
	s_lshl_b32 s11, s3, 2
	s_add_i32 s9, s5, s10
	s_add_i32 s0, s11, s4
	s_lshl_b32 s1, s9, 4
	s_add_i32 s0, s0, s1
	s_add_i32 s0, s0, -16
	s_ashr_i32 s1, s0, 31
	s_lshl_b64 s[0:1], s[0:1], 3
	s_add_u32 s0, s14, s0
	s_addc_u32 s1, s15, s1
	s_load_dword s12, s[0:1], 0x4
	s_add_i32 s6, s9, -2
	s_cmp_lt_i32 s6, s5
	s_cbranch_scc1 .LBB21_4
; %bb.2:
	s_lshl_b32 s6, s8, 6
	s_ashr_i32 s7, s6, 31
	s_lshl_b64 s[6:7], s[6:7], 2
	s_add_u32 s6, s14, s6
	s_addc_u32 s7, s15, s7
	s_add_i32 s2, s2, 1
	s_load_dword s0, s[0:1], 0x0
	s_mul_i32 s1, s10, s2
	s_lshl_b32 s2, s1, 4
	s_add_i32 s2, s4, s2
	s_mulk_i32 s3, 0x1c0
	s_mulk_i32 s4, 0x70
	s_lshl_b32 s8, s8, 4
	s_mulk_i32 s1, 0x700
	s_add_i32 s3, s4, s3
	s_add_i32 s2, s2, s8
	;; [unrolled: 1-line block ×4, first 2 shown]
	v_add_u32_e32 v0, s3, v0
	s_add_i32 s9, s9, -1
	s_sub_i32 s2, s2, 32
	v_add_u32_e32 v0, 0xfffff200, v0
	s_waitcnt lgkmcnt(0)
	v_mov_b32_e32 v7, s0
	v_mov_b32_e32 v4, s12
	s_mov_b32 s4, 0x3fb8aa3b
	s_mov_b32 s8, 0xc2ce8ed0
	;; [unrolled: 1-line block ×3, first 2 shown]
	v_mov_b32_e32 v6, 0x7f800000
	s_mov_b32 s11, 0xc1a00000
.LBB21_3:                               ; =>This Inner Loop Header: Depth=1
	v_ashrrev_i32_e32 v1, 31, v0
	v_lshl_add_u64 v[8:9], v[0:1], 2, s[6:7]
	global_load_dword v9, v[8:9], off
	s_ashr_i32 s3, s2, 31
	s_lshl_b64 s[0:1], s[2:3], 3
	s_add_u32 s0, s14, s0
	s_addc_u32 s1, s15, s1
	s_load_dwordx2 s[0:1], s[0:1], 0x0
	v_max_f32_e32 v1, v7, v7
	s_add_i32 s9, s9, -1
	s_add_i32 s2, s2, -16
	v_add_u32_e32 v0, 0xfffff900, v0
	s_waitcnt lgkmcnt(0)
	v_max_f32_e64 v10, s0, s0
	v_max_f32_e32 v1, v1, v10
	v_sub_f32_e32 v11, s0, v1
	v_sub_f32_e32 v10, v7, v1
	v_mul_f32_e32 v12, 0x3fb8aa3b, v11
	v_mov_b32_e32 v7, v1
	v_mul_f32_e32 v1, 0x3fb8aa3b, v10
	v_fma_f32 v15, v11, s4, -v12
	v_rndne_f32_e32 v16, v12
	v_fma_f32 v13, v10, s4, -v1
	v_rndne_f32_e32 v14, v1
	v_fmac_f32_e32 v15, 0x32a5705f, v11
	v_sub_f32_e32 v12, v12, v16
	v_fmac_f32_e32 v13, 0x32a5705f, v10
	v_sub_f32_e32 v1, v1, v14
	v_add_f32_e32 v12, v12, v15
	v_cvt_i32_f32_e32 v16, v16
	v_add_f32_e32 v1, v1, v13
	v_exp_f32_e32 v12, v12
	v_cvt_i32_f32_e32 v14, v14
	v_exp_f32_e32 v1, v1
	v_cmp_ngt_f32_e32 vcc, s8, v11
	v_ldexp_f32 v12, v12, v16
	v_mov_b32_e32 v8, s1
	v_ldexp_f32 v1, v1, v14
	v_cmp_ngt_f32_e64 s[0:1], s8, v10
	v_cndmask_b32_e32 v12, 0, v12, vcc
	v_cmp_nlt_f32_e32 vcc, s10, v11
	v_cndmask_b32_e64 v1, 0, v1, s[0:1]
	v_cmp_nlt_f32_e64 s[0:1], s10, v10
	v_cndmask_b32_e32 v12, v6, v12, vcc
	v_cmp_le_f32_e32 vcc, s11, v11
	v_cndmask_b32_e64 v1, v6, v1, s[0:1]
	v_cmp_le_f32_e64 s[0:1], s11, v10
	v_cndmask_b32_e32 v12, 0, v12, vcc
	s_cmp_le_i32 s9, s5
	v_cndmask_b32_e64 v10, 0, v1, s[0:1]
	s_waitcnt vmcnt(0)
	v_pk_mul_f32 v[8:9], v[8:9], v[12:13] op_sel_hi:[1,0]
	s_nop 0
	v_pk_fma_f32 v[4:5], v[4:5], v[10:11], v[8:9] op_sel_hi:[1,0,1]
	s_cbranch_scc0 .LBB21_3
	s_branch .LBB21_5
.LBB21_4:
	s_waitcnt lgkmcnt(0)
	v_mov_b32_e32 v4, s12
.LBB21_5:
	s_waitcnt vmcnt(0)
	v_div_scale_f32 v0, s[0:1], v4, v4, v5
	v_rcp_f32_e32 v1, v0
	v_div_scale_f32 v6, vcc, v5, v4, v5
	v_fma_f32 v7, -v0, v1, 1.0
	v_fmac_f32_e32 v1, v7, v1
	v_mul_f32_e32 v7, v6, v1
	v_fma_f32 v8, -v0, v7, v6
	v_fmac_f32_e32 v7, v8, v1
	v_fma_f32 v0, -v0, v7, v6
	v_div_fmas_f32 v0, v0, v1, v7
	v_div_fixup_f32 v0, v0, v4, v5
	global_store_dword v[2:3], v0, off
.LBB21_6:
	s_endpgm
	.section	.rodata,"a",@progbits
	.p2align	6, 0x0
	.amdhsa_kernel _ZL33flash_attn_stream_k_fixup_uniformILi112ELi4ELi4EEvPfPK15HIP_vector_typeIfLj2EEiiiiiiS1_IjLj3EES5_S5_
		.amdhsa_group_segment_fixed_size 0
		.amdhsa_private_segment_fixed_size 0
		.amdhsa_kernarg_size 76
		.amdhsa_user_sgpr_count 2
		.amdhsa_user_sgpr_dispatch_ptr 0
		.amdhsa_user_sgpr_queue_ptr 0
		.amdhsa_user_sgpr_kernarg_segment_ptr 1
		.amdhsa_user_sgpr_dispatch_id 0
		.amdhsa_user_sgpr_kernarg_preload_length 0
		.amdhsa_user_sgpr_kernarg_preload_offset 0
		.amdhsa_user_sgpr_private_segment_size 0
		.amdhsa_uses_dynamic_stack 0
		.amdhsa_enable_private_segment 0
		.amdhsa_system_sgpr_workgroup_id_x 1
		.amdhsa_system_sgpr_workgroup_id_y 1
		.amdhsa_system_sgpr_workgroup_id_z 1
		.amdhsa_system_sgpr_workgroup_info 0
		.amdhsa_system_vgpr_workitem_id 0
		.amdhsa_next_free_vgpr 17
		.amdhsa_next_free_sgpr 20
		.amdhsa_accum_offset 20
		.amdhsa_reserve_vcc 1
		.amdhsa_float_round_mode_32 0
		.amdhsa_float_round_mode_16_64 0
		.amdhsa_float_denorm_mode_32 3
		.amdhsa_float_denorm_mode_16_64 3
		.amdhsa_dx10_clamp 1
		.amdhsa_ieee_mode 1
		.amdhsa_fp16_overflow 0
		.amdhsa_tg_split 0
		.amdhsa_exception_fp_ieee_invalid_op 0
		.amdhsa_exception_fp_denorm_src 0
		.amdhsa_exception_fp_ieee_div_zero 0
		.amdhsa_exception_fp_ieee_overflow 0
		.amdhsa_exception_fp_ieee_underflow 0
		.amdhsa_exception_fp_ieee_inexact 0
		.amdhsa_exception_int_div_zero 0
	.end_amdhsa_kernel
	.section	.text._ZL33flash_attn_stream_k_fixup_uniformILi112ELi4ELi4EEvPfPK15HIP_vector_typeIfLj2EEiiiiiiS1_IjLj3EES5_S5_,"axG",@progbits,_ZL33flash_attn_stream_k_fixup_uniformILi112ELi4ELi4EEvPfPK15HIP_vector_typeIfLj2EEiiiiiiS1_IjLj3EES5_S5_,comdat
.Lfunc_end21:
	.size	_ZL33flash_attn_stream_k_fixup_uniformILi112ELi4ELi4EEvPfPK15HIP_vector_typeIfLj2EEiiiiiiS1_IjLj3EES5_S5_, .Lfunc_end21-_ZL33flash_attn_stream_k_fixup_uniformILi112ELi4ELi4EEvPfPK15HIP_vector_typeIfLj2EEiiiiiiS1_IjLj3EES5_S5_
                                        ; -- End function
	.set _ZL33flash_attn_stream_k_fixup_uniformILi112ELi4ELi4EEvPfPK15HIP_vector_typeIfLj2EEiiiiiiS1_IjLj3EES5_S5_.num_vgpr, 17
	.set _ZL33flash_attn_stream_k_fixup_uniformILi112ELi4ELi4EEvPfPK15HIP_vector_typeIfLj2EEiiiiiiS1_IjLj3EES5_S5_.num_agpr, 0
	.set _ZL33flash_attn_stream_k_fixup_uniformILi112ELi4ELi4EEvPfPK15HIP_vector_typeIfLj2EEiiiiiiS1_IjLj3EES5_S5_.numbered_sgpr, 20
	.set _ZL33flash_attn_stream_k_fixup_uniformILi112ELi4ELi4EEvPfPK15HIP_vector_typeIfLj2EEiiiiiiS1_IjLj3EES5_S5_.num_named_barrier, 0
	.set _ZL33flash_attn_stream_k_fixup_uniformILi112ELi4ELi4EEvPfPK15HIP_vector_typeIfLj2EEiiiiiiS1_IjLj3EES5_S5_.private_seg_size, 0
	.set _ZL33flash_attn_stream_k_fixup_uniformILi112ELi4ELi4EEvPfPK15HIP_vector_typeIfLj2EEiiiiiiS1_IjLj3EES5_S5_.uses_vcc, 1
	.set _ZL33flash_attn_stream_k_fixup_uniformILi112ELi4ELi4EEvPfPK15HIP_vector_typeIfLj2EEiiiiiiS1_IjLj3EES5_S5_.uses_flat_scratch, 0
	.set _ZL33flash_attn_stream_k_fixup_uniformILi112ELi4ELi4EEvPfPK15HIP_vector_typeIfLj2EEiiiiiiS1_IjLj3EES5_S5_.has_dyn_sized_stack, 0
	.set _ZL33flash_attn_stream_k_fixup_uniformILi112ELi4ELi4EEvPfPK15HIP_vector_typeIfLj2EEiiiiiiS1_IjLj3EES5_S5_.has_recursion, 0
	.set _ZL33flash_attn_stream_k_fixup_uniformILi112ELi4ELi4EEvPfPK15HIP_vector_typeIfLj2EEiiiiiiS1_IjLj3EES5_S5_.has_indirect_call, 0
	.section	.AMDGPU.csdata,"",@progbits
; Kernel info:
; codeLenInByte = 832
; TotalNumSgprs: 26
; NumVgprs: 17
; NumAgprs: 0
; TotalNumVgprs: 17
; ScratchSize: 0
; MemoryBound: 0
; FloatMode: 240
; IeeeMode: 1
; LDSByteSize: 0 bytes/workgroup (compile time only)
; SGPRBlocks: 3
; VGPRBlocks: 2
; NumSGPRsForWavesPerEU: 26
; NumVGPRsForWavesPerEU: 17
; AccumOffset: 20
; Occupancy: 8
; WaveLimiterHint : 0
; COMPUTE_PGM_RSRC2:SCRATCH_EN: 0
; COMPUTE_PGM_RSRC2:USER_SGPR: 2
; COMPUTE_PGM_RSRC2:TRAP_HANDLER: 0
; COMPUTE_PGM_RSRC2:TGID_X_EN: 1
; COMPUTE_PGM_RSRC2:TGID_Y_EN: 1
; COMPUTE_PGM_RSRC2:TGID_Z_EN: 1
; COMPUTE_PGM_RSRC2:TIDIG_COMP_CNT: 0
; COMPUTE_PGM_RSRC3_GFX90A:ACCUM_OFFSET: 4
; COMPUTE_PGM_RSRC3_GFX90A:TG_SPLIT: 0
	.section	.text._ZL33flash_attn_stream_k_fixup_generalILi112ELi4ELi4EEvPfPK15HIP_vector_typeIfLj2EEiiiiS1_IjLj3EES5_S5_S5_,"axG",@progbits,_ZL33flash_attn_stream_k_fixup_generalILi112ELi4ELi4EEvPfPK15HIP_vector_typeIfLj2EEiiiiS1_IjLj3EES5_S5_S5_,comdat
	.globl	_ZL33flash_attn_stream_k_fixup_generalILi112ELi4ELi4EEvPfPK15HIP_vector_typeIfLj2EEiiiiS1_IjLj3EES5_S5_S5_ ; -- Begin function _ZL33flash_attn_stream_k_fixup_generalILi112ELi4ELi4EEvPfPK15HIP_vector_typeIfLj2EEiiiiS1_IjLj3EES5_S5_S5_
	.p2align	8
	.type	_ZL33flash_attn_stream_k_fixup_generalILi112ELi4ELi4EEvPfPK15HIP_vector_typeIfLj2EEiiiiS1_IjLj3EES5_S5_S5_,@function
_ZL33flash_attn_stream_k_fixup_generalILi112ELi4ELi4EEvPfPK15HIP_vector_typeIfLj2EEiiiiS1_IjLj3EES5_S5_S5_: ; @_ZL33flash_attn_stream_k_fixup_generalILi112ELi4ELi4EEvPfPK15HIP_vector_typeIfLj2EEiiiiS1_IjLj3EES5_S5_S5_
; %bb.0:
	s_load_dwordx4 s[8:11], s[0:1], 0x10
	s_load_dword s22, s[0:1], 0x50
	s_mov_b32 s12, 0
	s_waitcnt lgkmcnt(0)
	s_mul_hi_i32 s13, s11, s2
	s_cmp_lg_u64 s[12:13], 0
	s_mul_i32 s5, s11, s2
	s_cbranch_scc0 .LBB22_20
; %bb.1:
	s_add_u32 s6, s22, 0
	s_addc_u32 s7, 0, 0
	s_xor_b64 s[6:7], s[6:7], 0
	v_cvt_f32_u32_e32 v1, s6
	v_cvt_f32_u32_e32 v2, s7
	s_sub_u32 s12, 0, s6
	s_subb_u32 s18, 0, s7
	v_fmamk_f32 v1, v2, 0x4f800000, v1
	v_rcp_f32_e32 v1, v1
	s_nop 0
	v_mul_f32_e32 v1, 0x5f7ffffc, v1
	v_mul_f32_e32 v2, 0x2f800000, v1
	v_trunc_f32_e32 v2, v2
	v_fmamk_f32 v1, v2, 0xcf800000, v1
	v_cvt_u32_f32_e32 v2, v2
	v_cvt_u32_f32_e32 v1, v1
	v_readfirstlane_b32 s19, v2
	v_readfirstlane_b32 s14, v1
	s_mul_i32 s15, s12, s19
	s_mul_hi_u32 s21, s12, s14
	s_mul_i32 s20, s18, s14
	s_add_i32 s15, s21, s15
	s_add_i32 s15, s15, s20
	s_mul_i32 s23, s12, s14
	s_mul_i32 s21, s14, s15
	s_mul_hi_u32 s24, s14, s23
	s_mul_hi_u32 s20, s14, s15
	s_add_u32 s21, s24, s21
	s_addc_u32 s20, 0, s20
	s_mul_hi_u32 s25, s19, s23
	s_mul_i32 s23, s19, s23
	s_add_u32 s21, s21, s23
	s_mul_hi_u32 s24, s19, s15
	s_addc_u32 s20, s20, s25
	s_addc_u32 s21, s24, 0
	s_mul_i32 s15, s19, s15
	s_add_u32 s15, s20, s15
	s_addc_u32 s20, 0, s21
	s_add_u32 s21, s14, s15
	s_cselect_b64 s[14:15], -1, 0
	s_cmp_lg_u64 s[14:15], 0
	s_addc_u32 s19, s19, s20
	s_mul_i32 s14, s12, s19
	s_mul_hi_u32 s15, s12, s21
	s_add_i32 s14, s15, s14
	s_mul_i32 s18, s18, s21
	s_add_i32 s14, s14, s18
	s_mul_i32 s12, s12, s21
	s_mul_hi_u32 s18, s19, s12
	s_mul_i32 s20, s19, s12
	s_mul_i32 s24, s21, s14
	s_mul_hi_u32 s12, s21, s12
	s_mul_hi_u32 s23, s21, s14
	s_add_u32 s12, s12, s24
	s_addc_u32 s23, 0, s23
	s_add_u32 s12, s12, s20
	s_mul_hi_u32 s15, s19, s14
	s_addc_u32 s12, s23, s18
	s_addc_u32 s15, s15, 0
	s_mul_i32 s14, s19, s14
	s_add_u32 s12, s12, s14
	s_addc_u32 s18, 0, s15
	s_add_u32 s20, s21, s12
	s_cselect_b64 s[14:15], -1, 0
	s_cmp_lg_u64 s[14:15], 0
	s_addc_u32 s18, s19, s18
	s_ashr_i32 s14, s13, 31
	s_add_u32 s12, s5, s14
	s_mov_b32 s15, s14
	s_addc_u32 s13, s13, s14
	s_xor_b64 s[12:13], s[12:13], s[14:15]
	s_mul_i32 s21, s12, s18
	s_mul_hi_u32 s23, s12, s20
	s_mul_hi_u32 s19, s12, s18
	s_add_u32 s21, s23, s21
	s_addc_u32 s19, 0, s19
	s_mul_hi_u32 s24, s13, s20
	s_mul_i32 s20, s13, s20
	s_add_u32 s20, s21, s20
	s_mul_hi_u32 s23, s13, s18
	s_addc_u32 s19, s19, s24
	s_addc_u32 s20, s23, 0
	s_mul_i32 s18, s13, s18
	s_add_u32 s23, s19, s18
	s_addc_u32 s24, 0, s20
	s_mul_i32 s18, s6, s24
	s_mul_hi_u32 s19, s6, s23
	s_add_i32 s18, s19, s18
	s_mul_i32 s19, s7, s23
	s_add_i32 s25, s18, s19
	s_sub_i32 s20, s13, s25
	s_mul_i32 s18, s6, s23
	s_sub_u32 s12, s12, s18
	s_cselect_b64 s[18:19], -1, 0
	s_cmp_lg_u64 s[18:19], 0
	s_subb_u32 s26, s20, s7
	s_sub_u32 s27, s12, s6
	s_cselect_b64 s[20:21], -1, 0
	s_cmp_lg_u64 s[20:21], 0
	s_subb_u32 s20, s26, 0
	s_cmp_ge_u32 s20, s7
	s_cselect_b32 s21, -1, 0
	s_cmp_ge_u32 s27, s6
	s_cselect_b32 s26, -1, 0
	s_cmp_eq_u32 s20, s7
	s_cselect_b32 s20, s26, s21
	s_add_u32 s21, s23, 1
	s_addc_u32 s26, s24, 0
	s_add_u32 s27, s23, 2
	s_addc_u32 s28, s24, 0
	s_cmp_lg_u32 s20, 0
	s_cselect_b32 s20, s27, s21
	s_cselect_b32 s21, s28, s26
	s_cmp_lg_u64 s[18:19], 0
	s_subb_u32 s13, s13, s25
	s_cmp_ge_u32 s13, s7
	s_cselect_b32 s18, -1, 0
	s_cmp_ge_u32 s12, s6
	s_cselect_b32 s6, -1, 0
	s_cmp_eq_u32 s13, s7
	s_cselect_b32 s6, s6, s18
	s_cmp_lg_u32 s6, 0
	s_cselect_b32 s7, s21, s24
	s_cselect_b32 s6, s20, s23
	s_xor_b64 s[12:13], s[14:15], 0
	s_xor_b64 s[6:7], s[6:7], s[12:13]
	s_sub_u32 s6, s6, s12
	s_load_dwordx4 s[12:15], s[0:1], 0x44
	s_cbranch_execnz .LBB22_3
.LBB22_2:
	v_cvt_f32_u32_e32 v1, s22
	s_sub_i32 s6, 0, s22
	v_rcp_iflag_f32_e32 v1, v1
	s_nop 0
	v_mul_f32_e32 v1, 0x4f7ffffe, v1
	v_cvt_u32_f32_e32 v1, v1
	s_nop 0
	v_readfirstlane_b32 s7, v1
	s_mul_i32 s6, s6, s7
	s_mul_hi_u32 s6, s7, s6
	s_add_i32 s7, s7, s6
	s_mul_hi_u32 s6, s5, s7
	s_waitcnt lgkmcnt(0)
	s_mul_i32 s15, s6, s22
	s_sub_i32 s5, s5, s15
	s_add_i32 s7, s6, 1
	s_sub_i32 s15, s5, s22
	s_cmp_ge_u32 s5, s22
	s_cselect_b32 s6, s7, s6
	s_cselect_b32 s5, s15, s5
	s_add_i32 s7, s6, 1
	s_cmp_ge_u32 s5, s22
	s_cselect_b32 s6, s7, s6
.LBB22_3:
	s_add_i32 s5, s2, 1
	s_mul_hi_i32 s21, s11, s5
	s_mov_b32 s20, 0
	s_cmp_lg_u64 s[20:21], 0
	s_mul_i32 s5, s11, s5
	s_cbranch_scc0 .LBB22_21
; %bb.4:
	s_add_u32 s16, s22, 0
	s_addc_u32 s17, 0, 0
	s_xor_b64 s[18:19], s[16:17], 0
	v_cvt_f32_u32_e32 v1, s18
	v_cvt_f32_u32_e32 v2, s19
	s_sub_u32 s7, 0, s18
	s_waitcnt lgkmcnt(0)
	s_subb_u32 s15, 0, s19
	v_fmamk_f32 v1, v2, 0x4f800000, v1
	v_rcp_f32_e32 v1, v1
	s_nop 0
	v_mul_f32_e32 v1, 0x5f7ffffc, v1
	v_mul_f32_e32 v2, 0x2f800000, v1
	v_trunc_f32_e32 v2, v2
	v_fmamk_f32 v1, v2, 0xcf800000, v1
	v_cvt_u32_f32_e32 v2, v2
	v_cvt_u32_f32_e32 v1, v1
	v_readfirstlane_b32 s20, v2
	v_readfirstlane_b32 s23, v1
	s_mul_i32 s24, s7, s20
	s_mul_hi_u32 s26, s7, s23
	s_mul_i32 s25, s15, s23
	s_add_i32 s24, s26, s24
	s_add_i32 s24, s24, s25
	s_mul_i32 s27, s7, s23
	s_mul_i32 s26, s23, s24
	s_mul_hi_u32 s28, s23, s27
	s_mul_hi_u32 s25, s23, s24
	s_add_u32 s26, s28, s26
	s_addc_u32 s25, 0, s25
	s_mul_hi_u32 s29, s20, s27
	s_mul_i32 s27, s20, s27
	s_add_u32 s26, s26, s27
	s_mul_hi_u32 s28, s20, s24
	s_addc_u32 s25, s25, s29
	s_addc_u32 s26, s28, 0
	s_mul_i32 s24, s20, s24
	s_add_u32 s24, s25, s24
	s_addc_u32 s26, 0, s26
	s_add_u32 s23, s23, s24
	s_cselect_b64 s[24:25], -1, 0
	s_cmp_lg_u64 s[24:25], 0
	s_addc_u32 s20, s20, s26
	s_mul_i32 s24, s7, s20
	s_mul_hi_u32 s25, s7, s23
	s_add_i32 s24, s25, s24
	s_mul_i32 s15, s15, s23
	s_add_i32 s24, s24, s15
	s_mul_i32 s7, s7, s23
	s_mul_hi_u32 s25, s20, s7
	s_mul_i32 s26, s20, s7
	s_mul_i32 s28, s23, s24
	s_mul_hi_u32 s7, s23, s7
	s_mul_hi_u32 s27, s23, s24
	s_add_u32 s7, s7, s28
	s_addc_u32 s27, 0, s27
	s_add_u32 s7, s7, s26
	s_mul_hi_u32 s15, s20, s24
	s_addc_u32 s7, s27, s25
	s_addc_u32 s15, s15, 0
	s_mul_i32 s24, s20, s24
	s_add_u32 s7, s7, s24
	s_addc_u32 s15, 0, s15
	s_add_u32 s7, s23, s7
	s_cselect_b64 s[24:25], -1, 0
	s_cmp_lg_u64 s[24:25], 0
	s_addc_u32 s15, s20, s15
	s_ashr_i32 s24, s21, 31
	s_add_u32 s20, s5, s24
	s_mov_b32 s25, s24
	s_addc_u32 s21, s21, s24
	s_xor_b64 s[20:21], s[20:21], s[24:25]
	s_mul_i32 s26, s20, s15
	s_mul_hi_u32 s27, s20, s7
	s_mul_hi_u32 s23, s20, s15
	s_add_u32 s26, s27, s26
	s_addc_u32 s23, 0, s23
	s_mul_hi_u32 s28, s21, s7
	s_mul_i32 s7, s21, s7
	s_add_u32 s7, s26, s7
	s_mul_hi_u32 s27, s21, s15
	s_addc_u32 s7, s23, s28
	s_addc_u32 s23, s27, 0
	s_mul_i32 s15, s21, s15
	s_add_u32 s7, s7, s15
	s_addc_u32 s15, 0, s23
	s_mul_i32 s23, s18, s15
	s_mul_hi_u32 s26, s18, s7
	s_add_i32 s23, s26, s23
	s_mul_i32 s26, s19, s7
	s_add_i32 s23, s23, s26
	s_sub_i32 s28, s21, s23
	s_mul_i32 s26, s18, s7
	s_sub_u32 s20, s20, s26
	s_cselect_b64 s[26:27], -1, 0
	s_cmp_lg_u64 s[26:27], 0
	s_subb_u32 s30, s28, s19
	s_sub_u32 s31, s20, s18
	s_cselect_b64 s[28:29], -1, 0
	s_cmp_lg_u64 s[28:29], 0
	s_subb_u32 s28, s30, 0
	s_cmp_ge_u32 s28, s19
	s_cselect_b32 s29, -1, 0
	s_cmp_ge_u32 s31, s18
	s_cselect_b32 s30, -1, 0
	s_cmp_eq_u32 s28, s19
	s_cselect_b32 s28, s30, s29
	s_add_u32 s29, s7, 1
	s_addc_u32 s30, s15, 0
	s_add_u32 s31, s7, 2
	s_addc_u32 s33, s15, 0
	s_cmp_lg_u32 s28, 0
	s_cselect_b32 s28, s31, s29
	s_cselect_b32 s29, s33, s30
	s_cmp_lg_u64 s[26:27], 0
	s_subb_u32 s21, s21, s23
	s_cmp_ge_u32 s21, s19
	s_cselect_b32 s23, -1, 0
	s_cmp_ge_u32 s20, s18
	s_cselect_b32 s18, -1, 0
	s_cmp_eq_u32 s21, s19
	s_cselect_b32 s18, s18, s23
	s_cmp_lg_u32 s18, 0
	s_cselect_b32 s19, s29, s15
	s_cselect_b32 s18, s28, s7
	s_xor_b64 s[20:21], s[24:25], 0
	s_xor_b64 s[18:19], s[18:19], s[20:21]
	s_sub_u32 s18, s18, s20
	s_cbranch_execnz .LBB22_6
.LBB22_5:
	v_cvt_f32_u32_e32 v1, s22
	s_sub_i32 s7, 0, s22
	v_rcp_iflag_f32_e32 v1, v1
	s_nop 0
	v_mul_f32_e32 v1, 0x4f7ffffe, v1
	v_cvt_u32_f32_e32 v1, v1
	s_waitcnt lgkmcnt(0)
	v_readfirstlane_b32 s15, v1
	s_mul_i32 s7, s7, s15
	s_mul_hi_u32 s7, s15, s7
	s_add_i32 s15, s15, s7
	s_mul_hi_u32 s7, s5, s15
	s_mul_i32 s16, s7, s22
	s_sub_i32 s5, s5, s16
	s_add_i32 s15, s7, 1
	s_sub_i32 s16, s5, s22
	s_cmp_ge_u32 s5, s22
	s_cselect_b32 s7, s15, s7
	s_cselect_b32 s5, s16, s5
	s_add_i32 s15, s7, 1
	s_cmp_ge_u32 s5, s22
	s_cselect_b32 s18, s15, s7
.LBB22_6:
	s_cmp_eq_u32 s6, s18
	s_waitcnt lgkmcnt(0)
	s_mul_hi_u32 s5, s6, s12
	s_cselect_b64 s[16:17], -1, 0
	s_add_i32 s5, s5, s6
	s_lshr_b32 s7, s5, s13
	s_mul_i32 s5, s7, s14
	s_cmp_eq_u32 s5, s6
	s_mul_hi_u32 s5, s18, s12
	s_cselect_b64 s[20:21], -1, 0
	s_add_i32 s5, s5, s18
	s_lshr_b32 s5, s5, s13
	s_cmp_eq_u32 s7, s5
	s_mul_i32 s5, s5, s14
	s_cselect_b64 s[24:25], -1, 0
	s_cmp_lg_u32 s5, s18
	s_cselect_b64 s[18:19], -1, 0
	s_and_b64 s[18:19], s[24:25], s[18:19]
	s_or_b64 s[16:17], s[16:17], s[20:21]
	s_or_b64 s[16:17], s[16:17], s[18:19]
	s_and_b64 vcc, exec, s[16:17]
	s_cbranch_vccnz .LBB22_23
; %bb.7:
	s_load_dwordx8 s[24:31], s[0:1], 0x20
	s_load_dword s5, s[0:1], 0x40
	s_waitcnt lgkmcnt(0)
	s_mul_hi_u32 s15, s6, s24
	s_add_i32 s15, s15, s6
	s_lshr_b32 s20, s15, s25
	s_mul_i32 s15, s20, s26
	s_sub_i32 s15, s6, s15
	s_mul_hi_u32 s16, s15, s27
	s_add_i32 s16, s15, s16
	s_lshr_b32 s21, s16, s28
	s_mul_i32 s16, s21, s29
	s_sub_i32 s15, s15, s16
	;; [unrolled: 5-line block ×3, first 2 shown]
	s_mul_hi_u32 s15, s5, s12
	s_add_i32 s5, s5, s15
	s_lshr_b32 s23, s5, s13
	s_lshl_b32 s5, s23, 2
	s_lshl_b32 s24, s16, 2
	s_add_i32 s5, s5, s3
	s_cmp_lt_i32 s5, s8
	s_cselect_b64 s[16:17], -1, 0
	s_add_i32 s24, s24, s4
	s_cmp_lt_i32 s24, s10
	s_cselect_b64 s[18:19], -1, 0
	s_and_b64 s[16:17], s[16:17], s[18:19]
	s_andn2_b64 vcc, exec, s[16:17]
	s_cbranch_vccnz .LBB22_23
; %bb.8:
	s_load_dwordx4 s[16:19], s[0:1], 0x0
	s_mov_b32 s0, 0
	s_lshl_b32 s15, s3, 2
	s_lshl_b32 s26, s22, 6
	s_mov_b32 s27, s0
	s_add_i32 s15, s15, s4
	s_lshl_b64 s[4:5], s[26:27], 2
	s_waitcnt lgkmcnt(0)
	s_add_u32 s4, s18, s4
	s_mul_i32 s1, s20, s8
	s_addc_u32 s5, s19, s5
	s_mul_i32 s21, s21, s10
	s_add_i32 s1, s1, s3
	s_mul_i32 s1, s1, s9
	s_add_i32 s3, s24, s21
	;; [unrolled: 2-line block ×3, first 2 shown]
	s_mulk_i32 s8, 0x1c0
	s_mulk_i32 s1, 0x70
	s_add_i32 s8, s8, s1
	v_add_u32_e32 v4, s8, v0
	v_mov_b32_e32 v2, s16
	v_mov_b32_e32 v3, s17
	v_ashrrev_i32_e32 v5, 31, v4
	v_lshl_add_u64 v[2:3], v[4:5], 2, v[2:3]
	global_load_dword v1, v[2:3], off
	v_cvt_f32_u32_e32 v4, s22
	s_lshl_b32 s1, s2, 4
	s_add_i32 s8, s15, s1
	s_ashr_i32 s9, s8, 31
	s_lshl_b64 s[8:9], s[8:9], 3
	v_rcp_iflag_f32_e32 v4, v4
	s_add_u32 s8, s18, s8
	s_addc_u32 s9, s19, s9
	s_load_dwordx2 s[8:9], s[8:9], 0x0
	v_mul_f32_e32 v4, 0x4f7ffffe, v4
	v_cvt_u32_f32_e32 v7, v4
	s_mul_i32 s1, s15, 0x70
	s_add_i32 s21, s2, -1
	v_add_u32_e32 v6, s1, v0
	s_waitcnt lgkmcnt(0)
	v_mov_b32_e32 v0, s9
	v_mov_b32_e32 v9, s8
	s_mov_b32 s10, 0x3fb8aa3b
	s_mov_b32 s20, 0xc2ce8ed0
	;; [unrolled: 1-line block ×4, first 2 shown]
	v_mov_b32_e32 v8, 0x7f800000
	s_mul_hi_i32 s1, s21, s11
	s_cmp_lg_u64 s[0:1], 0
	s_mul_i32 s16, s21, s11
	s_cbranch_scc0 .LBB22_19
.LBB22_9:
	s_add_u32 s2, s22, 0
	s_addc_u32 s3, 0, 0
	s_xor_b64 s[2:3], s[2:3], 0
	v_cvt_f32_u32_e32 v4, s2
	v_cvt_f32_u32_e32 v5, s3
	s_sub_u32 s17, 0, s2
	s_subb_u32 s25, 0, s3
	v_fmac_f32_e32 v4, 0x4f800000, v5
	v_rcp_f32_e32 v4, v4
	s_nop 0
	v_mul_f32_e32 v4, 0x5f7ffffc, v4
	v_mul_f32_e32 v5, 0x2f800000, v4
	v_trunc_f32_e32 v5, v5
	v_fmac_f32_e32 v4, 0xcf800000, v5
	v_cvt_u32_f32_e32 v5, v5
	v_cvt_u32_f32_e32 v4, v4
	v_readfirstlane_b32 s26, v5
	v_readfirstlane_b32 s8, v4
	s_mul_i32 s9, s17, s26
	s_mul_hi_u32 s28, s17, s8
	s_mul_i32 s27, s25, s8
	s_add_i32 s9, s28, s9
	s_mul_i32 s29, s17, s8
	s_add_i32 s9, s9, s27
	s_mul_i32 s28, s8, s9
	s_mul_hi_u32 s30, s8, s29
	s_mul_hi_u32 s27, s8, s9
	s_add_u32 s28, s30, s28
	s_addc_u32 s27, 0, s27
	s_mul_hi_u32 s31, s26, s29
	s_mul_i32 s29, s26, s29
	s_add_u32 s28, s28, s29
	s_mul_hi_u32 s30, s26, s9
	s_addc_u32 s27, s27, s31
	s_addc_u32 s28, s30, 0
	s_mul_i32 s9, s26, s9
	s_add_u32 s9, s27, s9
	s_addc_u32 s27, 0, s28
	s_add_u32 s28, s8, s9
	s_cselect_b64 s[8:9], -1, 0
	s_cmp_lg_u64 s[8:9], 0
	s_addc_u32 s26, s26, s27
	s_mul_i32 s8, s17, s26
	s_mul_hi_u32 s9, s17, s28
	s_add_i32 s8, s9, s8
	s_mul_i32 s25, s25, s28
	s_add_i32 s8, s8, s25
	s_mul_i32 s17, s17, s28
	s_mul_hi_u32 s25, s26, s17
	s_mul_i32 s27, s26, s17
	s_mul_i32 s30, s28, s8
	s_mul_hi_u32 s17, s28, s17
	s_mul_hi_u32 s29, s28, s8
	s_add_u32 s17, s17, s30
	s_addc_u32 s29, 0, s29
	s_add_u32 s17, s17, s27
	s_mul_hi_u32 s9, s26, s8
	s_addc_u32 s17, s29, s25
	s_addc_u32 s9, s9, 0
	s_mul_i32 s8, s26, s8
	s_add_u32 s8, s17, s8
	s_addc_u32 s17, 0, s9
	s_add_u32 s25, s28, s8
	s_cselect_b64 s[8:9], -1, 0
	s_cmp_lg_u64 s[8:9], 0
	s_addc_u32 s17, s26, s17
	s_ashr_i32 s8, s1, 31
	s_add_u32 s26, s16, s8
	s_mov_b32 s9, s8
	s_addc_u32 s27, s1, s8
	s_xor_b64 s[26:27], s[26:27], s[8:9]
	s_mul_i32 s28, s26, s17
	s_mul_hi_u32 s29, s26, s25
	s_mul_hi_u32 s1, s26, s17
	s_add_u32 s28, s29, s28
	s_addc_u32 s1, 0, s1
	s_mul_hi_u32 s30, s27, s25
	s_mul_i32 s25, s27, s25
	s_add_u32 s25, s28, s25
	s_mul_hi_u32 s29, s27, s17
	s_addc_u32 s1, s1, s30
	s_addc_u32 s25, s29, 0
	s_mul_i32 s17, s27, s17
	s_add_u32 s1, s1, s17
	s_addc_u32 s17, 0, s25
	s_mul_i32 s25, s2, s17
	s_mul_hi_u32 s28, s2, s1
	s_add_i32 s25, s28, s25
	s_mul_i32 s28, s3, s1
	s_add_i32 s25, s25, s28
	s_sub_i32 s30, s27, s25
	s_mul_i32 s28, s2, s1
	s_sub_u32 s26, s26, s28
	s_cselect_b64 s[28:29], -1, 0
	s_cmp_lg_u64 s[28:29], 0
	s_subb_u32 s33, s30, s3
	s_sub_u32 s34, s26, s2
	s_cselect_b64 s[30:31], -1, 0
	s_cmp_lg_u64 s[30:31], 0
	s_subb_u32 s30, s33, 0
	s_cmp_ge_u32 s30, s3
	s_cselect_b32 s31, -1, 0
	s_cmp_ge_u32 s34, s2
	s_cselect_b32 s33, -1, 0
	s_cmp_eq_u32 s30, s3
	s_cselect_b32 s30, s33, s31
	s_add_u32 s31, s1, 1
	s_addc_u32 s33, s17, 0
	s_add_u32 s34, s1, 2
	s_addc_u32 s35, s17, 0
	s_cmp_lg_u32 s30, 0
	s_cselect_b32 s30, s34, s31
	s_cselect_b32 s31, s35, s33
	s_cmp_lg_u64 s[28:29], 0
	s_subb_u32 s25, s27, s25
	s_cmp_ge_u32 s25, s3
	s_cselect_b32 s27, -1, 0
	s_cmp_ge_u32 s26, s2
	s_cselect_b32 s2, -1, 0
	s_cmp_eq_u32 s25, s3
	s_cselect_b32 s2, s2, s27
	s_cmp_lg_u32 s2, 0
	s_cselect_b32 s3, s31, s17
	s_cselect_b32 s2, s30, s1
	s_xor_b64 s[8:9], s[8:9], 0
	s_xor_b64 s[2:3], s[2:3], s[8:9]
	s_sub_u32 s8, s2, s8
	s_cbranch_execnz .LBB22_11
.LBB22_10:
	s_sub_i32 s1, 0, s22
	v_readfirstlane_b32 s2, v7
	s_mul_i32 s1, s1, s2
	s_mul_hi_u32 s1, s2, s1
	s_add_i32 s2, s2, s1
	s_mul_hi_u32 s1, s16, s2
	s_mul_i32 s3, s1, s22
	s_sub_i32 s3, s16, s3
	s_add_i32 s2, s1, 1
	s_sub_i32 s8, s3, s22
	s_cmp_ge_u32 s3, s22
	s_cselect_b32 s1, s2, s1
	s_cselect_b32 s3, s8, s3
	s_add_i32 s2, s1, 1
	s_cmp_ge_u32 s3, s22
	s_cselect_b32 s8, s2, s1
.LBB22_11:
	s_cmp_lg_u32 s6, s8
	s_cbranch_scc0 .LBB22_15
; %bb.12:
	s_add_i32 s1, s21, s22
	s_lshl_b32 s1, s1, 4
	s_add_i32 s2, s1, s15
	s_mov_b32 s3, s0
	s_lshl_b64 s[2:3], s[2:3], 3
	s_add_u32 s16, s18, s2
	s_mul_hi_u32 s1, s8, s12
	s_addc_u32 s17, s19, s3
	s_add_i32 s1, s1, s8
	s_lshr_b32 s1, s1, s13
	s_mul_i32 s2, s1, s14
	s_cmp_eq_u32 s2, s8
	s_cselect_b64 s[2:3], -1, 0
	s_cmp_lt_u32 s1, s7
	s_cselect_b64 s[26:27], -1, 0
	s_or_b64 s[26:27], s[26:27], s[2:3]
	s_mov_b64 s[2:3], -1
	s_and_b64 vcc, exec, s[26:27]
	s_mov_b32 s1, s21
	s_mov_b32 s25, s6
	s_cbranch_vccnz .LBB22_14
; %bb.13:
	s_add_i32 s1, s21, -1
	s_mov_b64 s[2:3], 0
	s_mov_b32 s25, s8
.LBB22_14:
	s_mul_i32 s8, s21, 0x700
	v_add_u32_e32 v4, s8, v6
	v_ashrrev_i32_e32 v5, 31, v4
	v_lshl_add_u64 v[4:5], v[4:5], 2, s[4:5]
	global_load_dword v5, v[4:5], off
	s_load_dwordx2 s[8:9], s[16:17], 0x0
	v_max_f32_e32 v4, v9, v9
	s_waitcnt lgkmcnt(0)
	v_max_f32_e64 v10, s8, s8
	v_max_f32_e32 v10, v4, v10
	v_sub_f32_e32 v11, v9, v10
	v_sub_f32_e32 v13, s8, v10
	v_mul_f32_e32 v4, 0x3fb8aa3b, v11
	v_mul_f32_e32 v12, 0x3fb8aa3b, v13
	v_fma_f32 v14, v11, s10, -v4
	v_rndne_f32_e32 v15, v4
	v_fma_f32 v16, v13, s10, -v12
	v_rndne_f32_e32 v17, v12
	v_fmac_f32_e32 v14, 0x32a5705f, v11
	v_sub_f32_e32 v4, v4, v15
	v_fmac_f32_e32 v16, 0x32a5705f, v13
	v_sub_f32_e32 v12, v12, v17
	v_add_f32_e32 v4, v4, v14
	v_cvt_i32_f32_e32 v15, v15
	v_add_f32_e32 v12, v12, v16
	v_exp_f32_e32 v14, v4
	v_cvt_i32_f32_e32 v17, v17
	v_exp_f32_e32 v12, v12
	v_cmp_ngt_f32_e32 vcc, s20, v11
	v_ldexp_f32 v14, v14, v15
	v_mov_b32_e32 v4, s9
	v_ldexp_f32 v12, v12, v17
	v_cndmask_b32_e32 v14, 0, v14, vcc
	v_cmp_ngt_f32_e32 vcc, s20, v13
	s_nop 1
	v_cndmask_b32_e32 v12, 0, v12, vcc
	v_cmp_nlt_f32_e32 vcc, s23, v11
	s_nop 1
	v_cndmask_b32_e32 v14, v8, v14, vcc
	v_cmp_nlt_f32_e32 vcc, s23, v13
	s_nop 1
	v_cndmask_b32_e32 v15, v8, v12, vcc
	v_cmp_le_f32_e32 vcc, s24, v11
	s_nop 1
	v_cndmask_b32_e32 v12, 0, v14, vcc
	v_cmp_le_f32_e32 vcc, s24, v13
	s_nop 1
	v_cndmask_b32_e32 v14, 0, v15, vcc
	s_waitcnt vmcnt(0)
	v_pk_mul_f32 v[4:5], v[4:5], v[14:15] op_sel_hi:[1,0]
	s_nop 0
	v_pk_fma_f32 v[4:5], v[0:1], v[12:13], v[4:5] op_sel_hi:[1,0,1]
	s_cbranch_execz .LBB22_16
	s_branch .LBB22_17
.LBB22_15:
                                        ; implicit-def: $vgpr4_vgpr5
                                        ; implicit-def: $sgpr2_sgpr3
                                        ; implicit-def: $vgpr10
                                        ; implicit-def: $sgpr1
                                        ; implicit-def: $sgpr25
.LBB22_16:
	s_add_i32 s1, s21, -1
	s_mov_b64 s[2:3], 0
	s_mov_b32 s25, s6
	v_mov_b32_e32 v10, v9
	s_waitcnt vmcnt(0)
	v_mov_b64_e32 v[4:5], v[0:1]
.LBB22_17:
	s_andn2_b64 vcc, exec, s[2:3]
	s_cbranch_vccz .LBB22_22
; %bb.18:
	s_mov_b32 s6, s25
	s_mov_b32 s21, s1
	v_mov_b32_e32 v9, v10
	s_waitcnt vmcnt(0)
	v_mov_b64_e32 v[0:1], v[4:5]
	s_mul_hi_i32 s1, s21, s11
	s_cmp_lg_u64 s[0:1], 0
	s_mul_i32 s16, s21, s11
	s_cbranch_scc1 .LBB22_9
.LBB22_19:
                                        ; implicit-def: $sgpr8_sgpr9
	s_branch .LBB22_10
.LBB22_20:
                                        ; implicit-def: $sgpr6_sgpr7
	s_load_dwordx4 s[12:15], s[0:1], 0x44
	s_branch .LBB22_2
.LBB22_21:
                                        ; implicit-def: $sgpr18_sgpr19
	s_branch .LBB22_5
.LBB22_22:
	v_div_scale_f32 v0, s[0:1], v4, v4, v5
	s_waitcnt vmcnt(0)
	v_rcp_f32_e32 v1, v0
	v_div_scale_f32 v6, vcc, v5, v4, v5
	v_fma_f32 v7, -v0, v1, 1.0
	v_fmac_f32_e32 v1, v7, v1
	v_mul_f32_e32 v7, v6, v1
	v_fma_f32 v8, -v0, v7, v6
	v_fmac_f32_e32 v7, v8, v1
	v_fma_f32 v0, -v0, v7, v6
	v_div_fmas_f32 v0, v0, v1, v7
	v_div_fixup_f32 v0, v0, v4, v5
	global_store_dword v[2:3], v0, off
.LBB22_23:
	s_endpgm
	.section	.rodata,"a",@progbits
	.p2align	6, 0x0
	.amdhsa_kernel _ZL33flash_attn_stream_k_fixup_generalILi112ELi4ELi4EEvPfPK15HIP_vector_typeIfLj2EEiiiiS1_IjLj3EES5_S5_S5_
		.amdhsa_group_segment_fixed_size 0
		.amdhsa_private_segment_fixed_size 0
		.amdhsa_kernarg_size 336
		.amdhsa_user_sgpr_count 2
		.amdhsa_user_sgpr_dispatch_ptr 0
		.amdhsa_user_sgpr_queue_ptr 0
		.amdhsa_user_sgpr_kernarg_segment_ptr 1
		.amdhsa_user_sgpr_dispatch_id 0
		.amdhsa_user_sgpr_kernarg_preload_length 0
		.amdhsa_user_sgpr_kernarg_preload_offset 0
		.amdhsa_user_sgpr_private_segment_size 0
		.amdhsa_uses_dynamic_stack 0
		.amdhsa_enable_private_segment 0
		.amdhsa_system_sgpr_workgroup_id_x 1
		.amdhsa_system_sgpr_workgroup_id_y 1
		.amdhsa_system_sgpr_workgroup_id_z 1
		.amdhsa_system_sgpr_workgroup_info 0
		.amdhsa_system_vgpr_workitem_id 0
		.amdhsa_next_free_vgpr 18
		.amdhsa_next_free_sgpr 36
		.amdhsa_accum_offset 20
		.amdhsa_reserve_vcc 1
		.amdhsa_float_round_mode_32 0
		.amdhsa_float_round_mode_16_64 0
		.amdhsa_float_denorm_mode_32 3
		.amdhsa_float_denorm_mode_16_64 3
		.amdhsa_dx10_clamp 1
		.amdhsa_ieee_mode 1
		.amdhsa_fp16_overflow 0
		.amdhsa_tg_split 0
		.amdhsa_exception_fp_ieee_invalid_op 0
		.amdhsa_exception_fp_denorm_src 0
		.amdhsa_exception_fp_ieee_div_zero 0
		.amdhsa_exception_fp_ieee_overflow 0
		.amdhsa_exception_fp_ieee_underflow 0
		.amdhsa_exception_fp_ieee_inexact 0
		.amdhsa_exception_int_div_zero 0
	.end_amdhsa_kernel
	.section	.text._ZL33flash_attn_stream_k_fixup_generalILi112ELi4ELi4EEvPfPK15HIP_vector_typeIfLj2EEiiiiS1_IjLj3EES5_S5_S5_,"axG",@progbits,_ZL33flash_attn_stream_k_fixup_generalILi112ELi4ELi4EEvPfPK15HIP_vector_typeIfLj2EEiiiiS1_IjLj3EES5_S5_S5_,comdat
.Lfunc_end22:
	.size	_ZL33flash_attn_stream_k_fixup_generalILi112ELi4ELi4EEvPfPK15HIP_vector_typeIfLj2EEiiiiS1_IjLj3EES5_S5_S5_, .Lfunc_end22-_ZL33flash_attn_stream_k_fixup_generalILi112ELi4ELi4EEvPfPK15HIP_vector_typeIfLj2EEiiiiS1_IjLj3EES5_S5_S5_
                                        ; -- End function
	.set _ZL33flash_attn_stream_k_fixup_generalILi112ELi4ELi4EEvPfPK15HIP_vector_typeIfLj2EEiiiiS1_IjLj3EES5_S5_S5_.num_vgpr, 18
	.set _ZL33flash_attn_stream_k_fixup_generalILi112ELi4ELi4EEvPfPK15HIP_vector_typeIfLj2EEiiiiS1_IjLj3EES5_S5_S5_.num_agpr, 0
	.set _ZL33flash_attn_stream_k_fixup_generalILi112ELi4ELi4EEvPfPK15HIP_vector_typeIfLj2EEiiiiS1_IjLj3EES5_S5_S5_.numbered_sgpr, 36
	.set _ZL33flash_attn_stream_k_fixup_generalILi112ELi4ELi4EEvPfPK15HIP_vector_typeIfLj2EEiiiiS1_IjLj3EES5_S5_S5_.num_named_barrier, 0
	.set _ZL33flash_attn_stream_k_fixup_generalILi112ELi4ELi4EEvPfPK15HIP_vector_typeIfLj2EEiiiiS1_IjLj3EES5_S5_S5_.private_seg_size, 0
	.set _ZL33flash_attn_stream_k_fixup_generalILi112ELi4ELi4EEvPfPK15HIP_vector_typeIfLj2EEiiiiS1_IjLj3EES5_S5_S5_.uses_vcc, 1
	.set _ZL33flash_attn_stream_k_fixup_generalILi112ELi4ELi4EEvPfPK15HIP_vector_typeIfLj2EEiiiiS1_IjLj3EES5_S5_S5_.uses_flat_scratch, 0
	.set _ZL33flash_attn_stream_k_fixup_generalILi112ELi4ELi4EEvPfPK15HIP_vector_typeIfLj2EEiiiiS1_IjLj3EES5_S5_S5_.has_dyn_sized_stack, 0
	.set _ZL33flash_attn_stream_k_fixup_generalILi112ELi4ELi4EEvPfPK15HIP_vector_typeIfLj2EEiiiiS1_IjLj3EES5_S5_S5_.has_recursion, 0
	.set _ZL33flash_attn_stream_k_fixup_generalILi112ELi4ELi4EEvPfPK15HIP_vector_typeIfLj2EEiiiiS1_IjLj3EES5_S5_S5_.has_indirect_call, 0
	.section	.AMDGPU.csdata,"",@progbits
; Kernel info:
; codeLenInByte = 2944
; TotalNumSgprs: 42
; NumVgprs: 18
; NumAgprs: 0
; TotalNumVgprs: 18
; ScratchSize: 0
; MemoryBound: 0
; FloatMode: 240
; IeeeMode: 1
; LDSByteSize: 0 bytes/workgroup (compile time only)
; SGPRBlocks: 5
; VGPRBlocks: 2
; NumSGPRsForWavesPerEU: 42
; NumVGPRsForWavesPerEU: 18
; AccumOffset: 20
; Occupancy: 8
; WaveLimiterHint : 0
; COMPUTE_PGM_RSRC2:SCRATCH_EN: 0
; COMPUTE_PGM_RSRC2:USER_SGPR: 2
; COMPUTE_PGM_RSRC2:TRAP_HANDLER: 0
; COMPUTE_PGM_RSRC2:TGID_X_EN: 1
; COMPUTE_PGM_RSRC2:TGID_Y_EN: 1
; COMPUTE_PGM_RSRC2:TGID_Z_EN: 1
; COMPUTE_PGM_RSRC2:TIDIG_COMP_CNT: 0
; COMPUTE_PGM_RSRC3_GFX90A:ACCUM_OFFSET: 4
; COMPUTE_PGM_RSRC3_GFX90A:TG_SPLIT: 0
	.section	.text._ZL26flash_attn_combine_resultsILi112EEvPKfPK15HIP_vector_typeIfLj2EEPfi,"axG",@progbits,_ZL26flash_attn_combine_resultsILi112EEvPKfPK15HIP_vector_typeIfLj2EEPfi,comdat
	.globl	_ZL26flash_attn_combine_resultsILi112EEvPKfPK15HIP_vector_typeIfLj2EEPfi ; -- Begin function _ZL26flash_attn_combine_resultsILi112EEvPKfPK15HIP_vector_typeIfLj2EEPfi
	.p2align	8
	.type	_ZL26flash_attn_combine_resultsILi112EEvPKfPK15HIP_vector_typeIfLj2EEPfi,@function
_ZL26flash_attn_combine_resultsILi112EEvPKfPK15HIP_vector_typeIfLj2EEPfi: ; @_ZL26flash_attn_combine_resultsILi112EEvPKfPK15HIP_vector_typeIfLj2EEPfi
; %bb.0:
	s_load_dwordx2 s[6:7], s[0:1], 0x20
	s_load_dword s23, s[0:1], 0x18
	s_load_dwordx4 s[16:19], s[0:1], 0x0
	s_load_dwordx2 s[14:15], s[0:1], 0x10
	s_waitcnt lgkmcnt(0)
	s_mul_i32 s0, s6, s4
	s_add_i32 s0, s0, s2
	s_mul_i32 s22, s0, s7
	s_add_i32 s22, s22, s3
	s_lshl_b32 s12, s23, 1
	s_mul_i32 s2, s22, s23
	v_cmp_gt_i32_e32 vcc, s12, v0
	s_and_saveexec_b64 s[0:1], vcc
	s_cbranch_execz .LBB23_13
; %bb.1:
	v_xad_u32 v1, v0, -1, s12
	s_movk_i32 s4, 0x6f
	s_ashr_i32 s3, s2, 31
	v_cmp_lt_u32_e32 vcc, s4, v1
	s_mov_b64 s[6:7], -1
	v_mov_b32_e32 v2, v0
	s_and_saveexec_b64 s[4:5], vcc
	s_cbranch_execz .LBB23_10
; %bb.2:
	v_lshrrev_b32_e32 v1, 4, v1
	s_mov_b32 s6, 0x24924925
	v_mul_hi_u32 v6, v1, s6
	s_lshl_b64 s[6:7], s[2:3], 3
	v_add_u32_e32 v2, -1, v6
	s_add_u32 s6, s18, s6
	v_add_u32_e32 v1, 0x70, v0
	v_lshrrev_b32_e32 v3, 1, v2
	s_addc_u32 s7, s19, s7
	v_add_u32_e32 v7, 1, v3
	v_cmp_lt_u32_e32 vcc, 13, v2
	v_mov_b32_e32 v4, 0
	v_mov_b64_e32 v[2:3], v[0:1]
	s_and_saveexec_b64 s[8:9], vcc
	s_cbranch_execz .LBB23_6
; %bb.3:
	v_and_b32_e32 v8, -8, v7
	s_mov_b32 s13, 0
	v_lshl_add_u32 v9, v0, 2, 0
	s_mov_b64 s[10:11], 0
	v_mov_b32_e32 v5, 0
	v_mov_b64_e32 v[2:3], v[0:1]
.LBB23_4:                               ; =>This Inner Loop Header: Depth=1
	v_mov_b32_e32 v4, v2
	v_lshl_add_u64 v[24:25], v[4:5], 2, s[6:7]
	v_mov_b32_e32 v4, v3
	v_add_u32_e32 v10, 0xe0, v3
	v_mov_b32_e32 v11, v5
	v_lshl_add_u64 v[26:27], v[4:5], 2, s[6:7]
	v_add_u32_e32 v4, 0xe0, v2
	v_lshl_add_u64 v[10:11], v[10:11], 2, s[6:7]
	global_load_dword v1, v[24:25], off
	v_lshl_add_u64 v[24:25], v[4:5], 2, s[6:7]
	v_add_u32_e32 v4, 0x1c0, v2
	global_load_dword v28, v[26:27], off
	global_load_dword v29, v[24:25], off
	;; [unrolled: 1-line block ×3, first 2 shown]
	v_lshl_add_u64 v[10:11], v[4:5], 2, s[6:7]
	v_add_u32_e32 v4, 0x2a0, v2
	v_add_u32_e32 v12, 0x1c0, v3
	v_mov_b32_e32 v13, v5
	v_add_u32_e32 v14, 0x2a0, v3
	v_mov_b32_e32 v15, v5
	v_lshl_add_u64 v[24:25], v[4:5], 2, s[6:7]
	v_add_u32_e32 v4, 0x380, v2
	v_lshl_add_u64 v[12:13], v[12:13], 2, s[6:7]
	v_lshl_add_u64 v[14:15], v[14:15], 2, s[6:7]
	global_load_dword v26, v[10:11], off
	global_load_dword v27, v[12:13], off
	;; [unrolled: 1-line block ×4, first 2 shown]
	v_lshl_add_u64 v[10:11], v[4:5], 2, s[6:7]
	v_add_u32_e32 v4, 0x460, v2
	v_add_u32_e32 v16, 0x380, v3
	v_mov_b32_e32 v17, v5
	v_add_u32_e32 v18, 0x460, v3
	v_mov_b32_e32 v19, v5
	v_lshl_add_u64 v[12:13], v[4:5], 2, s[6:7]
	v_add_u32_e32 v4, 0x540, v2
	v_add_u32_e32 v20, 0x540, v3
	v_mov_b32_e32 v21, v5
	v_add_u32_e32 v22, 0x620, v3
	v_mov_b32_e32 v23, v5
	v_lshl_add_u64 v[16:17], v[16:17], 2, s[6:7]
	v_lshl_add_u64 v[18:19], v[18:19], 2, s[6:7]
	global_load_dword v14, v[10:11], off
	global_load_dword v15, v[16:17], off
	;; [unrolled: 1-line block ×4, first 2 shown]
	v_lshl_add_u64 v[10:11], v[4:5], 2, s[6:7]
	v_add_u32_e32 v4, 0x620, v2
	v_lshl_add_u64 v[20:21], v[20:21], 2, s[6:7]
	v_lshl_add_u64 v[22:23], v[22:23], 2, s[6:7]
	;; [unrolled: 1-line block ×3, first 2 shown]
	global_load_dword v16, v[10:11], off
	global_load_dword v17, v[20:21], off
	;; [unrolled: 1-line block ×4, first 2 shown]
	v_add_u32_e32 v8, -8, v8
	s_add_i32 s13, s13, 16
	v_cmp_eq_u32_e32 vcc, 0, v8
	v_add_u32_e32 v10, 0x200, v9
	v_add_u32_e32 v11, 0x600, v9
	;; [unrolled: 1-line block ×8, first 2 shown]
	v_mov_b32_e32 v4, s13
	s_or_b64 s[10:11], vcc, s[10:11]
	v_add_u32_e32 v2, 0x700, v2
	s_waitcnt vmcnt(14)
	ds_write2_b32 v9, v1, v28 offset1:112
	v_add_u32_e32 v9, 0x1c00, v9
	s_waitcnt vmcnt(12)
	ds_write2_b32 v10, v29, v30 offset0:96 offset1:208
	s_waitcnt vmcnt(10)
	ds_write2_b32 v11, v26, v27 offset0:64 offset1:176
	;; [unrolled: 2-line block ×7, first 2 shown]
	s_andn2_b64 exec, exec, s[10:11]
	s_cbranch_execnz .LBB23_4
; %bb.5:
	s_or_b64 exec, exec, s[10:11]
.LBB23_6:
	s_or_b64 exec, exec, s[8:9]
	v_and_b32_e32 v1, 7, v7
	v_cmp_ne_u32_e32 vcc, 0, v1
	s_and_saveexec_b64 s[8:9], vcc
	s_cbranch_execz .LBB23_9
; %bb.7:
	s_movk_i32 s10, 0x1c0
	v_mul_lo_u32 v4, v4, s10
	v_lshlrev_b32_e32 v5, 2, v0
	v_add3_u32 v7, v4, v5, 0
	s_mov_b64 s[10:11], 0
	v_mov_b32_e32 v5, 0
.LBB23_8:                               ; =>This Inner Loop Header: Depth=1
	v_mov_b32_e32 v4, v2
	v_lshl_add_u64 v[8:9], v[4:5], 2, s[6:7]
	v_mov_b32_e32 v4, v3
	v_lshl_add_u64 v[10:11], v[4:5], 2, s[6:7]
	global_load_dword v4, v[8:9], off
	global_load_dword v12, v[10:11], off
	v_add_u32_e32 v1, -1, v1
	v_cmp_eq_u32_e32 vcc, 0, v1
	v_add_u32_e32 v2, 0xe0, v2
	v_add_u32_e32 v3, 0xe0, v3
	s_or_b64 s[10:11], vcc, s[10:11]
	s_waitcnt vmcnt(0)
	ds_write2_b32 v7, v4, v12 offset1:112
	v_add_u32_e32 v7, 0x380, v7
	s_andn2_b64 exec, exec, s[10:11]
	s_cbranch_execnz .LBB23_8
.LBB23_9:
	s_or_b64 exec, exec, s[8:9]
	v_add_u32_e32 v1, 1, v6
	v_and_b32_e32 v4, 0x7fffffe, v1
	s_movk_i32 s6, 0x70
	v_mad_u64_u32 v[2:3], s[6:7], v4, s6, v[0:1]
	v_cmp_ne_u32_e32 vcc, v1, v4
	s_orn2_b64 s[6:7], vcc, exec
.LBB23_10:
	s_or_b64 exec, exec, s[4:5]
	s_and_b64 exec, exec, s[6:7]
	s_cbranch_execz .LBB23_13
; %bb.11:
	s_lshl_b64 s[4:5], s[2:3], 3
	s_add_u32 s4, s18, s4
	v_mov_b32_e32 v3, 0
	s_addc_u32 s5, s19, s5
	v_lshl_add_u64 v[4:5], v[2:3], 2, s[4:5]
	v_lshl_add_u32 v1, v2, 2, 0
	s_mov_b64 s[4:5], 0
	s_mov_b64 s[6:7], 0x1c0
.LBB23_12:                              ; =>This Inner Loop Header: Depth=1
	global_load_dword v3, v[4:5], off
	v_add_u32_e32 v2, 0x70, v2
	v_cmp_le_i32_e32 vcc, s12, v2
	v_lshl_add_u64 v[4:5], v[4:5], 0, s[6:7]
	s_or_b64 s[4:5], vcc, s[4:5]
	s_waitcnt vmcnt(0)
	ds_write_b32 v1, v3
	v_add_u32_e32 v1, 0x1c0, v1
	s_andn2_b64 exec, exec, s[4:5]
	s_cbranch_execnz .LBB23_12
.LBB23_13:
	s_or_b64 exec, exec, s[0:1]
	v_mov_b32_e32 v1, 0
	s_waitcnt lgkmcnt(0)
	s_barrier
	ds_read_b32 v1, v1
	s_cmp_lt_i32 s23, 2
	s_cbranch_scc1 .LBB23_21
; %bb.14:
	s_cmp_eq_u32 s23, 2
	s_cbranch_scc1 .LBB23_18
; %bb.15:
	s_add_i32 s3, s23, -1
	s_and_b32 s4, s3, -2
	s_add_i32 s6, 0, 8
	s_mov_b32 s5, 2
	s_waitcnt lgkmcnt(0)
	v_mov_b32_e32 v4, v1
.LBB23_16:                              ; =>This Inner Loop Header: Depth=1
	v_mov_b32_e32 v2, v1
	v_mov_b32_e32 v1, s6
	;; [unrolled: 1-line block ×3, first 2 shown]
	ds_read2_b32 v[4:5], v1 offset1:2
	s_cmp_lg_u32 s4, s5
	s_cselect_b64 s[8:9], -1, 0
	v_max_f32_e32 v1, v3, v3
	v_max_f32_e32 v6, v2, v2
	s_waitcnt lgkmcnt(0)
	v_cmp_u_f32_e32 vcc, v5, v5
	v_max_f32_e32 v7, v5, v5
	v_max_f32_e32 v8, v4, v4
	v_cndmask_b32_e64 v5, 0, 1, vcc
	v_cmp_u_f32_e32 vcc, v4, v4
	v_readfirstlane_b32 s0, v5
	s_lshl_b32 s0, s0, 1
	v_cndmask_b32_e64 v9, 0, 1, vcc
	v_max_f32_e32 v4, v1, v7
	v_readfirstlane_b32 s1, v9
	s_or_b32 s0, s1, s0
	s_and_b32 s7, s0, 3
	s_cmp_lg_u32 s7, 0
	s_cselect_b64 s[0:1], -1, 0
	s_cmp_eq_u32 s7, 0
	s_cselect_b64 s[10:11], -1, 0
	s_and_b64 s[8:9], s[10:11], s[8:9]
	v_max_f32_e32 v1, v6, v8
	s_add_i32 s5, s5, 2
	s_add_i32 s6, s6, 16
	s_and_b64 vcc, exec, s[8:9]
	s_cbranch_vccnz .LBB23_16
; %bb.17:
	s_add_i32 s5, s5, -4
	s_and_b64 s[6:7], s[0:1], exec
	s_cselect_b32 s5, s5, s3
	s_or_b32 s5, s5, 1
	v_cndmask_b32_e64 v1, v1, v2, s[0:1]
	v_cndmask_b32_e64 v2, v4, v3, s[0:1]
	s_cmp_lg_u32 s3, s4
	v_max_f32_e32 v2, v2, v2
	v_max_f32_e32 v1, v1, v1
	s_cselect_b64 s[6:7], -1, 0
	v_max_f32_e32 v1, v1, v2
	s_or_b64 s[0:1], s[6:7], s[0:1]
	s_and_b64 vcc, exec, s[0:1]
	s_cbranch_vccnz .LBB23_19
	s_branch .LBB23_21
.LBB23_18:
	s_mov_b32 s5, 1
	s_cbranch_execz .LBB23_21
.LBB23_19:
	s_lshl_b32 s1, s5, 3
	s_sub_i32 s0, s23, s5
	s_add_i32 s1, s1, 0
.LBB23_20:                              ; =>This Inner Loop Header: Depth=1
	v_mov_b32_e32 v2, s1
	ds_read_b32 v2, v2
	s_waitcnt lgkmcnt(1)
	v_max_f32_e32 v1, v1, v1
	s_add_i32 s0, s0, -1
	s_add_i32 s1, s1, 8
	s_cmp_eq_u32 s0, 0
	s_waitcnt lgkmcnt(0)
	v_max_f32_e32 v2, v2, v2
	v_max_f32_e32 v1, v1, v2
	s_cbranch_scc0 .LBB23_20
.LBB23_21:
	s_cmp_lt_i32 s23, 1
	s_cbranch_scc1 .LBB23_26
; %bb.22:
	s_mul_i32 s18, s2, 0x70
	s_ashr_i32 s19, s18, 31
	s_cmp_lt_u32 s23, 8
	s_cbranch_scc1 .LBB23_27
; %bb.23:
	s_lshl_b64 s[0:1], s[18:19], 2
	s_add_u32 s20, s16, s0
	v_mov_b32_e32 v7, 0
	s_addc_u32 s21, s17, s1
	s_and_b32 s24, s23, 0x7ffffff8
	v_add_u32_e32 v4, 0x1c0, v0
	s_mov_b32 s25, 0
	s_mov_b32 s26, 0x3fb8aa3b
	;; [unrolled: 1-line block ×4, first 2 shown]
	v_mov_b32_e32 v8, 0x7f800000
	s_mov_b32 s29, 0
	v_mov_b32_e32 v2, v7
	v_mov_b32_e32 v3, v7
.LBB23_24:                              ; =>This Inner Loop Header: Depth=1
	v_add_u32_e32 v6, 0xfffffe40, v4
	v_mov_b32_e32 v9, s25
	v_lshl_add_u64 v[26:27], v[6:7], 2, s[20:21]
	v_add_u32_e32 v6, 0xfffffeb0, v4
	ds_read2_b64 v[10:13], v9 offset1:1
	ds_read2_b64 v[14:17], v9 offset0:2 offset1:3
	ds_read2_b64 v[18:21], v9 offset0:4 offset1:5
	;; [unrolled: 1-line block ×3, first 2 shown]
	v_lshl_add_u64 v[30:31], v[6:7], 2, s[20:21]
	v_add_u32_e32 v6, 0xffffff20, v4
	global_load_dword v33, v[26:27], off
	global_load_dword v35, v[30:31], off
	v_lshl_add_u64 v[26:27], v[6:7], 2, s[20:21]
	v_add_u32_e32 v6, 0xffffff90, v4
	v_mov_b32_e32 v5, v7
	v_lshl_add_u64 v[30:31], v[6:7], 2, s[20:21]
	v_add_u32_e32 v6, 0x70, v4
	v_lshl_add_u64 v[28:29], v[4:5], 2, s[20:21]
	global_load_dword v37, v[26:27], off
	global_load_dword v39, v[30:31], off
	global_load_dword v41, v[28:29], off
	v_lshl_add_u64 v[26:27], v[6:7], 2, s[20:21]
	v_add_u32_e32 v6, 0xe0, v4
	s_waitcnt lgkmcnt(3)
	v_mov_b32_e32 v32, v11
	v_sub_f32_e32 v9, v12, v1
	v_mov_b32_e32 v34, v13
	global_load_dword v11, v[26:27], off
	v_lshl_add_u64 v[12:13], v[6:7], 2, s[20:21]
	v_add_u32_e32 v6, 0x150, v4
	s_waitcnt lgkmcnt(2)
	v_mov_b32_e32 v36, v15
	global_load_dword v15, v[12:13], off
	v_lshl_add_u64 v[12:13], v[6:7], 2, s[20:21]
	v_mov_b32_e32 v38, v17
	global_load_dword v17, v[12:13], off
	v_sub_f32_e32 v5, v10, v1
	s_waitcnt lgkmcnt(1)
	v_mov_b32_e32 v40, v19
	v_sub_f32_e32 v19, v20, v1
	s_waitcnt lgkmcnt(0)
	v_sub_f32_e32 v20, v22, v1
	v_mul_f32_e32 v22, 0x3fb8aa3b, v5
	v_sub_f32_e32 v28, v14, v1
	v_sub_f32_e32 v29, v16, v1
	v_mov_b32_e32 v14, v23
	v_mul_f32_e32 v23, 0x3fb8aa3b, v9
	v_fma_f32 v6, v5, s26, -v22
	v_rndne_f32_e32 v42, v22
	v_sub_f32_e32 v18, v18, v1
	v_mov_b32_e32 v10, v21
	v_sub_f32_e32 v21, v24, v1
	v_mov_b32_e32 v16, v25
	v_mul_f32_e32 v24, 0x3fb8aa3b, v28
	v_mul_f32_e32 v25, 0x3fb8aa3b, v29
	v_fma_f32 v43, v9, s26, -v23
	v_rndne_f32_e32 v44, v23
	v_fmac_f32_e32 v6, 0x32a5705f, v5
	v_sub_f32_e32 v12, v22, v42
	v_mul_f32_e32 v26, 0x3fb8aa3b, v18
	v_mul_f32_e32 v27, 0x3fb8aa3b, v19
	;; [unrolled: 1-line block ×3, first 2 shown]
	v_fma_f32 v45, v28, s26, -v24
	v_rndne_f32_e32 v46, v24
	v_fma_f32 v47, v29, s26, -v25
	v_rndne_f32_e32 v48, v25
	v_fmac_f32_e32 v43, 0x32a5705f, v9
	v_sub_f32_e32 v22, v23, v44
	v_add_f32_e32 v6, v12, v6
	v_fma_f32 v49, v18, s26, -v26
	v_rndne_f32_e32 v50, v26
	v_fma_f32 v51, v19, s26, -v27
	v_rndne_f32_e32 v52, v27
	;; [unrolled: 2-line block ×3, first 2 shown]
	v_cvt_i32_f32_e32 v13, v42
	v_fmac_f32_e32 v45, 0x32a5705f, v28
	v_sub_f32_e32 v24, v24, v46
	v_fmac_f32_e32 v47, 0x32a5705f, v29
	v_sub_f32_e32 v25, v25, v48
	v_add_f32_e32 v12, v22, v43
	v_exp_f32_e32 v6, v6
	v_cvt_i32_f32_e32 v23, v44
	v_fmac_f32_e32 v49, 0x32a5705f, v18
	v_sub_f32_e32 v26, v26, v50
	v_fmac_f32_e32 v51, 0x32a5705f, v19
	v_sub_f32_e32 v27, v27, v52
	;; [unrolled: 2-line block ×3, first 2 shown]
	v_add_f32_e32 v22, v24, v45
	v_add_f32_e32 v24, v25, v47
	v_exp_f32_e32 v12, v12
	v_mul_f32_e32 v31, 0x3fb8aa3b, v21
	v_cvt_i32_f32_e32 v42, v46
	v_cvt_i32_f32_e32 v44, v48
	v_add_f32_e32 v25, v26, v49
	v_add_f32_e32 v26, v27, v51
	;; [unrolled: 1-line block ×3, first 2 shown]
	v_exp_f32_e32 v22, v22
	v_exp_f32_e32 v24, v24
	v_fma_f32 v55, v21, s26, -v31
	v_rndne_f32_e32 v56, v31
	v_cvt_i32_f32_e32 v46, v50
	v_cvt_i32_f32_e32 v48, v52
	;; [unrolled: 1-line block ×3, first 2 shown]
	v_exp_f32_e32 v25, v25
	v_exp_f32_e32 v26, v26
	;; [unrolled: 1-line block ×3, first 2 shown]
	v_fmac_f32_e32 v55, 0x32a5705f, v21
	v_sub_f32_e32 v31, v31, v56
	v_ldexp_f32 v6, v6, v13
	v_cmp_ngt_f32_e64 s[12:13], s27, v5
	v_add_f32_e32 v30, v31, v55
	v_ldexp_f32 v12, v12, v23
	v_cmp_ngt_f32_e32 vcc, s27, v9
	v_cndmask_b32_e64 v6, 0, v6, s[12:13]
	v_cmp_nlt_f32_e64 s[12:13], s28, v5
	v_cvt_i32_f32_e32 v52, v56
	v_exp_f32_e32 v30, v30
	v_ldexp_f32 v13, v22, v42
	v_cmp_ngt_f32_e64 s[0:1], s27, v28
	v_ldexp_f32 v22, v24, v44
	v_cmp_ngt_f32_e64 s[2:3], s27, v29
	v_cndmask_b32_e32 v12, 0, v12, vcc
	v_cmp_nlt_f32_e32 vcc, s28, v9
	v_cndmask_b32_e64 v6, v8, v6, s[12:13]
	v_ldexp_f32 v23, v25, v46
	v_cmp_ngt_f32_e64 s[4:5], s27, v18
	v_ldexp_f32 v24, v26, v48
	v_cmp_ngt_f32_e64 s[6:7], s27, v19
	;; [unrolled: 2-line block ×3, first 2 shown]
	v_cndmask_b32_e64 v9, 0, v13, s[0:1]
	v_cmp_nlt_f32_e64 s[0:1], s28, v28
	v_cndmask_b32_e64 v13, 0, v22, s[2:3]
	v_cndmask_b32_e32 v12, v8, v12, vcc
	s_waitcnt vmcnt(7)
	v_pk_fma_f32 v[2:3], v[6:7], v[32:33], v[2:3] op_sel_hi:[0,1,1]
	v_cmp_nlt_f32_e64 s[2:3], s28, v29
	v_cndmask_b32_e64 v22, 0, v23, s[4:5]
	v_cmp_nlt_f32_e64 s[4:5], s28, v18
	v_cndmask_b32_e64 v23, 0, v24, s[6:7]
	;; [unrolled: 2-line block ×3, first 2 shown]
	v_cndmask_b32_e64 v18, v8, v9, s[0:1]
	s_waitcnt vmcnt(6)
	v_pk_fma_f32 v[2:3], v[12:13], v[34:35], v[2:3] op_sel_hi:[0,1,1]
	v_cmp_nlt_f32_e64 s[8:9], s28, v20
	v_cndmask_b32_e64 v20, v8, v13, s[2:3]
	s_waitcnt vmcnt(5)
	v_pk_fma_f32 v[2:3], v[18:19], v[36:37], v[2:3] op_sel_hi:[0,1,1]
	v_ldexp_f32 v26, v30, v52
	v_cmp_ngt_f32_e64 s[10:11], s27, v21
	v_cndmask_b32_e64 v22, v8, v22, s[4:5]
	s_waitcnt vmcnt(4)
	v_pk_fma_f32 v[2:3], v[20:21], v[38:39], v[2:3] op_sel_hi:[0,1,1]
	v_cndmask_b32_e64 v25, 0, v26, s[10:11]
	v_cndmask_b32_e64 v24, v8, v23, s[6:7]
	s_waitcnt vmcnt(3)
	v_pk_fma_f32 v[2:3], v[22:23], v[40:41], v[2:3] op_sel_hi:[0,1,1]
	v_cmp_nlt_f32_e64 s[10:11], s28, v21
	v_cndmask_b32_e64 v26, v8, v19, s[8:9]
	s_waitcnt vmcnt(2)
	v_pk_fma_f32 v[2:3], v[24:25], v[10:11], v[2:3] op_sel_hi:[0,1,1]
	s_add_i32 s29, s29, 8
	s_add_i32 s25, s25, 64
	v_cndmask_b32_e64 v28, v8, v25, s[10:11]
	s_waitcnt vmcnt(1)
	v_pk_fma_f32 v[2:3], v[26:27], v[14:15], v[2:3] op_sel_hi:[0,1,1]
	s_cmp_eq_u32 s24, s29
	v_add_u32_e32 v4, 0x380, v4
	s_waitcnt vmcnt(0)
	v_pk_fma_f32 v[2:3], v[28:29], v[16:17], v[2:3] op_sel_hi:[0,1,1]
	s_cbranch_scc0 .LBB23_24
; %bb.25:
	s_and_b32 s2, s23, 7
	s_cmp_eq_u32 s2, 0
	s_cbranch_scc0 .LBB23_28
	s_branch .LBB23_30
.LBB23_26:
	s_waitcnt lgkmcnt(0)
	v_mov_b32_e32 v1, 0x7fc00000
	s_branch .LBB23_31
.LBB23_27:
	v_mov_b32_e32 v2, 0
	s_mov_b32 s24, 0
	v_mov_b32_e32 v3, v2
	s_and_b32 s2, s23, 7
	s_cmp_eq_u32 s2, 0
	s_cbranch_scc1 .LBB23_30
.LBB23_28:
	s_lshl_b64 s[0:1], s[18:19], 2
	s_mul_i32 s3, s24, 0x70
	s_add_u32 s0, s16, s0
	v_add_u32_e32 v4, s3, v0
	v_mov_b32_e32 v5, 0
	s_addc_u32 s1, s17, s1
	v_lshl_add_u64 v[4:5], v[4:5], 2, s[0:1]
	s_lshl_b32 s0, s24, 3
	s_add_i32 s3, s0, 0
	s_mov_b32 s4, 0x3fb8aa3b
	s_mov_b32 s5, 0xc2ce8ed0
	;; [unrolled: 1-line block ×3, first 2 shown]
	v_mov_b32_e32 v6, 0x7f800000
	s_mov_b64 s[0:1], 0x1c0
.LBB23_29:                              ; =>This Inner Loop Header: Depth=1
	global_load_dword v9, v[4:5], off
	v_mov_b32_e32 v7, s3
	ds_read_b64 v[10:11], v7
	s_add_i32 s3, s3, 8
	s_add_i32 s2, s2, -1
	v_lshl_add_u64 v[4:5], v[4:5], 0, s[0:1]
	s_cmp_lg_u32 s2, 0
	s_waitcnt lgkmcnt(0)
	v_sub_f32_e32 v7, v10, v1
	v_mul_f32_e32 v8, 0x3fb8aa3b, v7
	v_fma_f32 v10, v7, s4, -v8
	v_rndne_f32_e32 v12, v8
	v_fmac_f32_e32 v10, 0x32a5705f, v7
	v_sub_f32_e32 v8, v8, v12
	v_add_f32_e32 v8, v8, v10
	v_cvt_i32_f32_e32 v12, v12
	v_exp_f32_e32 v10, v8
	v_cmp_ngt_f32_e32 vcc, s5, v7
	v_mov_b32_e32 v8, v11
	v_ldexp_f32 v10, v10, v12
	v_cndmask_b32_e32 v10, 0, v10, vcc
	v_cmp_nlt_f32_e32 vcc, s6, v7
	s_nop 1
	v_cndmask_b32_e32 v10, v6, v10, vcc
	s_waitcnt vmcnt(0)
	v_pk_fma_f32 v[2:3], v[10:11], v[8:9], v[2:3] op_sel_hi:[0,1,1]
	s_cbranch_scc1 .LBB23_29
.LBB23_30:
	s_waitcnt lgkmcnt(0)
	v_div_scale_f32 v1, s[0:1], v2, v2, v3
	v_rcp_f32_e32 v4, v1
	v_div_scale_f32 v5, vcc, v3, v2, v3
	v_fma_f32 v6, -v1, v4, 1.0
	v_fmac_f32_e32 v4, v6, v4
	v_mul_f32_e32 v6, v5, v4
	v_fma_f32 v7, -v1, v6, v5
	v_fmac_f32_e32 v6, v7, v4
	v_fma_f32 v1, -v1, v6, v5
	v_div_fmas_f32 v1, v1, v4, v6
	v_div_fixup_f32 v1, v1, v2, v3
.LBB23_31:
	s_mul_i32 s0, s22, 0x70
	s_ashr_i32 s1, s0, 31
	s_lshl_b64 s[0:1], s[0:1], 2
	s_add_u32 s0, s14, s0
	s_addc_u32 s1, s15, s1
	v_lshlrev_b32_e32 v0, 2, v0
	global_store_dword v0, v1, s[0:1]
	s_endpgm
	.section	.rodata,"a",@progbits
	.p2align	6, 0x0
	.amdhsa_kernel _ZL26flash_attn_combine_resultsILi112EEvPKfPK15HIP_vector_typeIfLj2EEPfi
		.amdhsa_group_segment_fixed_size 0
		.amdhsa_private_segment_fixed_size 0
		.amdhsa_kernarg_size 288
		.amdhsa_user_sgpr_count 2
		.amdhsa_user_sgpr_dispatch_ptr 0
		.amdhsa_user_sgpr_queue_ptr 0
		.amdhsa_user_sgpr_kernarg_segment_ptr 1
		.amdhsa_user_sgpr_dispatch_id 0
		.amdhsa_user_sgpr_kernarg_preload_length 0
		.amdhsa_user_sgpr_kernarg_preload_offset 0
		.amdhsa_user_sgpr_private_segment_size 0
		.amdhsa_uses_dynamic_stack 0
		.amdhsa_enable_private_segment 0
		.amdhsa_system_sgpr_workgroup_id_x 1
		.amdhsa_system_sgpr_workgroup_id_y 1
		.amdhsa_system_sgpr_workgroup_id_z 1
		.amdhsa_system_sgpr_workgroup_info 0
		.amdhsa_system_vgpr_workitem_id 0
		.amdhsa_next_free_vgpr 57
		.amdhsa_next_free_sgpr 30
		.amdhsa_accum_offset 60
		.amdhsa_reserve_vcc 1
		.amdhsa_float_round_mode_32 0
		.amdhsa_float_round_mode_16_64 0
		.amdhsa_float_denorm_mode_32 3
		.amdhsa_float_denorm_mode_16_64 3
		.amdhsa_dx10_clamp 1
		.amdhsa_ieee_mode 1
		.amdhsa_fp16_overflow 0
		.amdhsa_tg_split 0
		.amdhsa_exception_fp_ieee_invalid_op 0
		.amdhsa_exception_fp_denorm_src 0
		.amdhsa_exception_fp_ieee_div_zero 0
		.amdhsa_exception_fp_ieee_overflow 0
		.amdhsa_exception_fp_ieee_underflow 0
		.amdhsa_exception_fp_ieee_inexact 0
		.amdhsa_exception_int_div_zero 0
	.end_amdhsa_kernel
	.section	.text._ZL26flash_attn_combine_resultsILi112EEvPKfPK15HIP_vector_typeIfLj2EEPfi,"axG",@progbits,_ZL26flash_attn_combine_resultsILi112EEvPKfPK15HIP_vector_typeIfLj2EEPfi,comdat
.Lfunc_end23:
	.size	_ZL26flash_attn_combine_resultsILi112EEvPKfPK15HIP_vector_typeIfLj2EEPfi, .Lfunc_end23-_ZL26flash_attn_combine_resultsILi112EEvPKfPK15HIP_vector_typeIfLj2EEPfi
                                        ; -- End function
	.set _ZL26flash_attn_combine_resultsILi112EEvPKfPK15HIP_vector_typeIfLj2EEPfi.num_vgpr, 57
	.set _ZL26flash_attn_combine_resultsILi112EEvPKfPK15HIP_vector_typeIfLj2EEPfi.num_agpr, 0
	.set _ZL26flash_attn_combine_resultsILi112EEvPKfPK15HIP_vector_typeIfLj2EEPfi.numbered_sgpr, 30
	.set _ZL26flash_attn_combine_resultsILi112EEvPKfPK15HIP_vector_typeIfLj2EEPfi.num_named_barrier, 0
	.set _ZL26flash_attn_combine_resultsILi112EEvPKfPK15HIP_vector_typeIfLj2EEPfi.private_seg_size, 0
	.set _ZL26flash_attn_combine_resultsILi112EEvPKfPK15HIP_vector_typeIfLj2EEPfi.uses_vcc, 1
	.set _ZL26flash_attn_combine_resultsILi112EEvPKfPK15HIP_vector_typeIfLj2EEPfi.uses_flat_scratch, 0
	.set _ZL26flash_attn_combine_resultsILi112EEvPKfPK15HIP_vector_typeIfLj2EEPfi.has_dyn_sized_stack, 0
	.set _ZL26flash_attn_combine_resultsILi112EEvPKfPK15HIP_vector_typeIfLj2EEPfi.has_recursion, 0
	.set _ZL26flash_attn_combine_resultsILi112EEvPKfPK15HIP_vector_typeIfLj2EEPfi.has_indirect_call, 0
	.section	.AMDGPU.csdata,"",@progbits
; Kernel info:
; codeLenInByte = 3040
; TotalNumSgprs: 36
; NumVgprs: 57
; NumAgprs: 0
; TotalNumVgprs: 57
; ScratchSize: 0
; MemoryBound: 0
; FloatMode: 240
; IeeeMode: 1
; LDSByteSize: 0 bytes/workgroup (compile time only)
; SGPRBlocks: 4
; VGPRBlocks: 7
; NumSGPRsForWavesPerEU: 36
; NumVGPRsForWavesPerEU: 57
; AccumOffset: 60
; Occupancy: 8
; WaveLimiterHint : 0
; COMPUTE_PGM_RSRC2:SCRATCH_EN: 0
; COMPUTE_PGM_RSRC2:USER_SGPR: 2
; COMPUTE_PGM_RSRC2:TRAP_HANDLER: 0
; COMPUTE_PGM_RSRC2:TGID_X_EN: 1
; COMPUTE_PGM_RSRC2:TGID_Y_EN: 1
; COMPUTE_PGM_RSRC2:TGID_Z_EN: 1
; COMPUTE_PGM_RSRC2:TIDIG_COMP_CNT: 0
; COMPUTE_PGM_RSRC3_GFX90A:ACCUM_OFFSET: 14
; COMPUTE_PGM_RSRC3_GFX90A:TG_SPLIT: 0
	.section	.text._ZL18flash_attn_ext_f16ILi128ELi128ELi4ELi4ELb0ELb0EEvPKcS1_S1_S1_S1_PKiPfP15HIP_vector_typeIfLj2EEffffjfiS5_IjLj3EEiiiiiiiiiiiliiliiiiil,"axG",@progbits,_ZL18flash_attn_ext_f16ILi128ELi128ELi4ELi4ELb0ELb0EEvPKcS1_S1_S1_S1_PKiPfP15HIP_vector_typeIfLj2EEffffjfiS5_IjLj3EEiiiiiiiiiiiliiliiiiil,comdat
	.globl	_ZL18flash_attn_ext_f16ILi128ELi128ELi4ELi4ELb0ELb0EEvPKcS1_S1_S1_S1_PKiPfP15HIP_vector_typeIfLj2EEffffjfiS5_IjLj3EEiiiiiiiiiiiliiliiiiil ; -- Begin function _ZL18flash_attn_ext_f16ILi128ELi128ELi4ELi4ELb0ELb0EEvPKcS1_S1_S1_S1_PKiPfP15HIP_vector_typeIfLj2EEffffjfiS5_IjLj3EEiiiiiiiiiiiliiliiiiil
	.p2align	8
	.type	_ZL18flash_attn_ext_f16ILi128ELi128ELi4ELi4ELb0ELb0EEvPKcS1_S1_S1_S1_PKiPfP15HIP_vector_typeIfLj2EEffffjfiS5_IjLj3EEiiiiiiiiiiiliiliiiiil,@function
_ZL18flash_attn_ext_f16ILi128ELi128ELi4ELi4ELb0ELb0EEvPKcS1_S1_S1_S1_PKiPfP15HIP_vector_typeIfLj2EEffffjfiS5_IjLj3EEiiiiiiiiiiiliiliiiiil: ; @_ZL18flash_attn_ext_f16ILi128ELi128ELi4ELi4ELb0ELb0EEvPKcS1_S1_S1_S1_PKiPfP15HIP_vector_typeIfLj2EEffffjfiS5_IjLj3EEiiiiiiiiiiiliiliiiiil
; %bb.0:
	s_load_dwordx2 s[4:5], s[0:1], 0x80
	s_load_dwordx4 s[36:39], s[0:1], 0x64
	s_mov_b32 s33, s2
	s_load_dword s44, s[0:1], 0xd0
                                        ; implicit-def: $vgpr200 : SGPR spill to VGPR lane
	s_mov_b32 s6, 0
	s_waitcnt lgkmcnt(0)
	s_abs_i32 s2, s5
	v_cvt_f32_u32_e32 v1, s2
	s_sub_i32 s8, 0, s2
	s_abs_i32 s7, s37
	s_xor_b32 s3, s37, s5
	v_rcp_iflag_f32_e32 v1, v1
	s_ashr_i32 s3, s3, 31
	v_mul_f32_e32 v1, 0x4f7ffffe, v1
	v_cvt_u32_f32_e32 v1, v1
	s_nop 0
	v_readfirstlane_b32 s9, v1
	s_mul_i32 s8, s8, s9
	s_mul_hi_u32 s8, s9, s8
	s_add_i32 s9, s9, s8
	s_mul_hi_u32 s8, s7, s9
	s_mul_i32 s9, s8, s2
	s_sub_i32 s7, s7, s9
	s_add_i32 s10, s8, 1
	s_sub_i32 s9, s7, s2
	s_cmp_ge_u32 s7, s2
	s_cselect_b32 s8, s10, s8
	s_cselect_b32 s7, s9, s7
	s_add_i32 s9, s8, 1
	s_cmp_ge_u32 s7, s2
	s_cselect_b32 s2, s9, s8
	s_add_i32 s4, s4, 63
	s_xor_b32 s2, s2, s3
	s_ashr_i32 s7, s4, 31
	s_sub_i32 s3, s2, s3
	s_lshr_b32 s2, s7, 26
	s_add_i32 s4, s4, s2
	s_add_i32 s2, s36, 3
	s_lshr_b32 s7, s2, 2
	s_add_i32 s2, s3, 3
	s_ashr_i32 s90, s4, 6
	s_ashr_i32 s4, s2, 31
	s_lshr_b32 s4, s4, 30
	s_add_i32 s2, s2, s4
	s_ashr_i32 s2, s2, 2
	s_mul_i32 s87, s7, s90
	s_mul_i32 s88, s87, s2
	;; [unrolled: 1-line block ×4, first 2 shown]
	s_ashr_i32 s10, s2, 31
	s_mul_i32 s4, s10, s33
	s_mul_hi_u32 s5, s2, s33
	v_writelane_b32 v200, s7, 0
	s_add_i32 s7, s5, s4
	s_cmp_lg_u64 s[6:7], 0
	s_mul_i32 s6, s2, s33
	s_cbranch_scc0 .LBB24_263
; %bb.1:
	s_add_u32 s4, s44, 0
	s_addc_u32 s5, 0, 0
	s_xor_b64 s[8:9], s[4:5], 0
	v_cvt_f32_u32_e32 v1, s8
	v_cvt_f32_u32_e32 v2, s9
	s_sub_u32 s11, 0, s8
	s_subb_u32 s14, 0, s9
	v_fmamk_f32 v1, v2, 0x4f800000, v1
	v_rcp_f32_e32 v1, v1
	s_nop 0
	v_mul_f32_e32 v1, 0x5f7ffffc, v1
	v_mul_f32_e32 v2, 0x2f800000, v1
	v_trunc_f32_e32 v2, v2
	v_fmamk_f32 v1, v2, 0xcf800000, v1
	v_cvt_u32_f32_e32 v2, v2
	v_cvt_u32_f32_e32 v1, v1
	v_readfirstlane_b32 s15, v2
	v_readfirstlane_b32 s12, v1
	s_mul_i32 s13, s11, s15
	s_mul_hi_u32 s17, s11, s12
	s_mul_i32 s16, s14, s12
	s_add_i32 s13, s17, s13
	s_add_i32 s13, s13, s16
	s_mul_i32 s18, s11, s12
	s_mul_i32 s17, s12, s13
	s_mul_hi_u32 s19, s12, s18
	s_mul_hi_u32 s16, s12, s13
	s_add_u32 s17, s19, s17
	s_addc_u32 s16, 0, s16
	s_mul_hi_u32 s20, s15, s18
	s_mul_i32 s18, s15, s18
	s_add_u32 s17, s17, s18
	s_mul_hi_u32 s19, s15, s13
	s_addc_u32 s16, s16, s20
	s_addc_u32 s17, s19, 0
	s_mul_i32 s13, s15, s13
	s_add_u32 s13, s16, s13
	s_addc_u32 s16, 0, s17
	s_add_u32 s17, s12, s13
	s_cselect_b64 s[12:13], -1, 0
	s_cmp_lg_u64 s[12:13], 0
	s_addc_u32 s15, s15, s16
	s_mul_i32 s12, s11, s15
	s_mul_hi_u32 s13, s11, s17
	s_add_i32 s12, s13, s12
	s_mul_i32 s14, s14, s17
	s_add_i32 s12, s12, s14
	s_mul_i32 s11, s11, s17
	s_mul_hi_u32 s14, s15, s11
	s_mul_i32 s16, s15, s11
	s_mul_i32 s19, s17, s12
	s_mul_hi_u32 s11, s17, s11
	s_mul_hi_u32 s18, s17, s12
	s_add_u32 s11, s11, s19
	s_addc_u32 s18, 0, s18
	s_add_u32 s11, s11, s16
	s_mul_hi_u32 s13, s15, s12
	s_addc_u32 s11, s18, s14
	s_addc_u32 s13, s13, 0
	s_mul_i32 s12, s15, s12
	s_add_u32 s11, s11, s12
	s_addc_u32 s14, 0, s13
	s_add_u32 s11, s17, s11
	s_cselect_b64 s[12:13], -1, 0
	s_cmp_lg_u64 s[12:13], 0
	s_addc_u32 s16, s15, s14
	s_ashr_i32 s12, s7, 31
	s_add_u32 s14, s6, s12
	s_mov_b32 s13, s12
	s_addc_u32 s15, s7, s12
	s_xor_b64 s[14:15], s[14:15], s[12:13]
	s_mul_i32 s17, s14, s16
	s_mul_hi_u32 s18, s14, s11
	s_mul_hi_u32 s7, s14, s16
	s_add_u32 s17, s18, s17
	s_addc_u32 s7, 0, s7
	s_mul_hi_u32 s19, s15, s11
	s_mul_i32 s11, s15, s11
	s_add_u32 s11, s17, s11
	s_mul_hi_u32 s18, s15, s16
	s_addc_u32 s7, s7, s19
	s_addc_u32 s11, s18, 0
	s_mul_i32 s16, s15, s16
	s_add_u32 s7, s7, s16
	s_addc_u32 s11, 0, s11
	s_mul_i32 s16, s8, s11
	s_mul_hi_u32 s17, s8, s7
	s_add_i32 s16, s17, s16
	s_mul_i32 s17, s9, s7
	s_add_i32 s20, s16, s17
	s_sub_i32 s18, s15, s20
	s_mul_i32 s16, s8, s7
	s_sub_u32 s14, s14, s16
	s_cselect_b64 s[16:17], -1, 0
	s_cmp_lg_u64 s[16:17], 0
	s_subb_u32 s21, s18, s9
	s_sub_u32 s22, s14, s8
	s_cselect_b64 s[18:19], -1, 0
	s_cmp_lg_u64 s[18:19], 0
	s_subb_u32 s18, s21, 0
	s_cmp_ge_u32 s18, s9
	s_cselect_b32 s19, -1, 0
	s_cmp_ge_u32 s22, s8
	s_cselect_b32 s21, -1, 0
	s_cmp_eq_u32 s18, s9
	s_cselect_b32 s18, s21, s19
	s_add_u32 s19, s7, 1
	s_addc_u32 s21, s11, 0
	s_add_u32 s22, s7, 2
	s_addc_u32 s23, s11, 0
	s_cmp_lg_u32 s18, 0
	s_cselect_b32 s18, s22, s19
	s_cselect_b32 s19, s23, s21
	s_cmp_lg_u64 s[16:17], 0
	s_subb_u32 s15, s15, s20
	s_cmp_ge_u32 s15, s9
	s_cselect_b32 s16, -1, 0
	s_cmp_ge_u32 s14, s8
	s_cselect_b32 s8, -1, 0
	s_cmp_eq_u32 s15, s9
	s_cselect_b32 s8, s8, s16
	s_cmp_lg_u32 s8, 0
	s_cselect_b32 s9, s19, s11
	s_cselect_b32 s8, s18, s7
	s_xor_b64 s[12:13], s[12:13], 0
	s_xor_b64 s[8:9], s[8:9], s[12:13]
	s_sub_u32 s54, s8, s12
	s_load_dwordx2 s[46:47], s[0:1], 0x74
	v_cvt_f32_u32_e32 v1, s44
	s_cbranch_execnz .LBB24_3
.LBB24_2:
	v_rcp_iflag_f32_e32 v2, v1
	s_sub_i32 s4, 0, s44
	v_mul_f32_e32 v2, 0x4f7ffffe, v2
	v_cvt_u32_f32_e32 v2, v2
	s_nop 0
	v_readfirstlane_b32 s5, v2
	s_mul_i32 s4, s4, s5
	s_mul_hi_u32 s4, s5, s4
	s_add_i32 s5, s5, s4
	s_mul_hi_u32 s4, s6, s5
	s_mul_i32 s7, s4, s44
	s_sub_i32 s6, s6, s7
	s_add_i32 s5, s4, 1
	s_sub_i32 s7, s6, s44
	s_cmp_ge_u32 s6, s44
	s_cselect_b32 s4, s5, s4
	s_cselect_b32 s6, s7, s6
	s_add_i32 s5, s4, 1
	s_cmp_ge_u32 s6, s44
	s_cselect_b32 s54, s5, s4
.LBB24_3:
	s_add_i32 s4, s33, 1
	s_mul_i32 s5, s10, s4
	s_mul_hi_u32 s6, s2, s4
	s_add_i32 s9, s6, s5
	s_mov_b32 s8, 0
	s_cmp_lg_u64 s[8:9], 0
	s_mul_i32 s2, s2, s4
	s_cbranch_scc0 .LBB24_264
; %bb.4:
	s_add_u32 s4, s44, 0
	s_addc_u32 s5, 0, 0
	s_xor_b64 s[6:7], s[4:5], 0
	v_cvt_f32_u32_e32 v2, s6
	v_cvt_f32_u32_e32 v3, s7
	s_sub_u32 s8, 0, s6
	s_subb_u32 s12, 0, s7
	v_fmamk_f32 v2, v3, 0x4f800000, v2
	v_rcp_f32_e32 v2, v2
	s_nop 0
	v_mul_f32_e32 v2, 0x5f7ffffc, v2
	v_mul_f32_e32 v3, 0x2f800000, v2
	v_trunc_f32_e32 v3, v3
	v_fmamk_f32 v2, v3, 0xcf800000, v2
	v_cvt_u32_f32_e32 v3, v3
	v_cvt_u32_f32_e32 v2, v2
	v_readfirstlane_b32 s13, v3
	v_readfirstlane_b32 s10, v2
	s_mul_i32 s11, s8, s13
	s_mul_hi_u32 s15, s8, s10
	s_mul_i32 s14, s12, s10
	s_add_i32 s11, s15, s11
	s_add_i32 s11, s11, s14
	s_mul_i32 s16, s8, s10
	s_mul_i32 s15, s10, s11
	s_mul_hi_u32 s17, s10, s16
	s_mul_hi_u32 s14, s10, s11
	s_add_u32 s15, s17, s15
	s_addc_u32 s14, 0, s14
	s_mul_hi_u32 s18, s13, s16
	s_mul_i32 s16, s13, s16
	s_add_u32 s15, s15, s16
	s_mul_hi_u32 s17, s13, s11
	s_addc_u32 s14, s14, s18
	s_addc_u32 s15, s17, 0
	s_mul_i32 s11, s13, s11
	s_add_u32 s11, s14, s11
	s_addc_u32 s14, 0, s15
	s_add_u32 s15, s10, s11
	s_cselect_b64 s[10:11], -1, 0
	s_cmp_lg_u64 s[10:11], 0
	s_addc_u32 s13, s13, s14
	s_mul_i32 s10, s8, s13
	s_mul_hi_u32 s11, s8, s15
	s_add_i32 s10, s11, s10
	s_mul_i32 s12, s12, s15
	s_add_i32 s10, s10, s12
	s_mul_i32 s8, s8, s15
	s_mul_hi_u32 s12, s13, s8
	s_mul_i32 s14, s13, s8
	s_mul_i32 s17, s15, s10
	s_mul_hi_u32 s8, s15, s8
	s_mul_hi_u32 s16, s15, s10
	s_add_u32 s8, s8, s17
	s_addc_u32 s16, 0, s16
	s_add_u32 s8, s8, s14
	s_mul_hi_u32 s11, s13, s10
	s_addc_u32 s8, s16, s12
	s_addc_u32 s11, s11, 0
	s_mul_i32 s10, s13, s10
	s_add_u32 s8, s8, s10
	s_addc_u32 s12, 0, s11
	s_add_u32 s14, s15, s8
	s_cselect_b64 s[10:11], -1, 0
	s_cmp_lg_u64 s[10:11], 0
	s_addc_u32 s12, s13, s12
	s_ashr_i32 s10, s9, 31
	s_add_u32 s8, s2, s10
	s_mov_b32 s11, s10
	s_addc_u32 s9, s9, s10
	s_xor_b64 s[8:9], s[8:9], s[10:11]
	s_mul_i32 s15, s8, s12
	s_mul_hi_u32 s16, s8, s14
	s_mul_hi_u32 s13, s8, s12
	s_add_u32 s15, s16, s15
	s_addc_u32 s13, 0, s13
	s_mul_hi_u32 s17, s9, s14
	s_mul_i32 s14, s9, s14
	s_add_u32 s14, s15, s14
	s_mul_hi_u32 s16, s9, s12
	s_addc_u32 s13, s13, s17
	s_addc_u32 s14, s16, 0
	s_mul_i32 s12, s9, s12
	s_add_u32 s16, s13, s12
	s_addc_u32 s17, 0, s14
	s_mul_i32 s12, s6, s17
	s_mul_hi_u32 s13, s6, s16
	s_add_i32 s12, s13, s12
	s_mul_i32 s13, s7, s16
	s_add_i32 s18, s12, s13
	s_sub_i32 s14, s9, s18
	s_mul_i32 s12, s6, s16
	s_sub_u32 s8, s8, s12
	s_cselect_b64 s[12:13], -1, 0
	s_cmp_lg_u64 s[12:13], 0
	s_subb_u32 s19, s14, s7
	s_sub_u32 s20, s8, s6
	s_cselect_b64 s[14:15], -1, 0
	s_cmp_lg_u64 s[14:15], 0
	s_subb_u32 s14, s19, 0
	s_cmp_ge_u32 s14, s7
	s_cselect_b32 s15, -1, 0
	s_cmp_ge_u32 s20, s6
	s_cselect_b32 s19, -1, 0
	s_cmp_eq_u32 s14, s7
	s_cselect_b32 s14, s19, s15
	s_add_u32 s15, s16, 1
	s_addc_u32 s19, s17, 0
	s_add_u32 s20, s16, 2
	s_addc_u32 s21, s17, 0
	s_cmp_lg_u32 s14, 0
	s_cselect_b32 s14, s20, s15
	s_cselect_b32 s15, s21, s19
	s_cmp_lg_u64 s[12:13], 0
	s_subb_u32 s9, s9, s18
	s_cmp_ge_u32 s9, s7
	s_cselect_b32 s12, -1, 0
	s_cmp_ge_u32 s8, s6
	s_cselect_b32 s6, -1, 0
	s_cmp_eq_u32 s9, s7
	s_cselect_b32 s6, s6, s12
	s_cmp_lg_u32 s6, 0
	s_cselect_b32 s7, s15, s17
	s_cselect_b32 s6, s14, s16
	s_xor_b64 s[8:9], s[10:11], 0
	s_xor_b64 s[6:7], s[6:7], s[8:9]
	s_sub_u32 s58, s6, s8
	s_load_dwordx2 s[34:35], s[0:1], 0x5c
	s_cbranch_execnz .LBB24_6
.LBB24_5:
	v_rcp_iflag_f32_e32 v1, v1
	s_sub_i32 s4, 0, s44
	v_mul_f32_e32 v1, 0x4f7ffffe, v1
	v_cvt_u32_f32_e32 v1, v1
	s_nop 0
	v_readfirstlane_b32 s5, v1
	s_mul_i32 s4, s4, s5
	s_mul_hi_u32 s4, s5, s4
	s_add_i32 s5, s5, s4
	s_mul_hi_u32 s4, s2, s5
	s_mul_i32 s6, s4, s44
	s_sub_i32 s2, s2, s6
	s_add_i32 s5, s4, 1
	s_sub_i32 s6, s2, s44
	s_cmp_ge_u32 s2, s44
	s_cselect_b32 s4, s5, s4
	s_cselect_b32 s2, s6, s2
	s_add_i32 s5, s4, 1
	s_cmp_ge_u32 s2, s44
	s_cselect_b32 s58, s5, s4
.LBB24_6:
	s_abs_i32 s91, s90
	v_cvt_f32_u32_e32 v1, s91
	s_load_dwordx16 s[16:31], s[0:1], 0x0
	s_load_dword s2, s[0:1], 0x40
	s_load_dwordx2 s[4:5], s[0:1], 0x8c
	s_load_dwordx4 s[40:43], s[0:1], 0x98
	s_load_dwordx2 s[48:49], s[0:1], 0xa8
	s_load_dwordx2 s[12:13], s[0:1], 0xb8
	;; [unrolled: 1-line block ×3, first 2 shown]
	s_waitcnt lgkmcnt(0)
	s_mov_b32 s1, s5
	s_ashr_i32 s38, s4, 2
	v_rcp_iflag_f32_e32 v1, v1
	s_sub_i32 s4, 0, s91
	v_writelane_b32 v200, s0, 1
	s_ashr_i32 s55, s39, 3
	v_mul_f32_e32 v1, 0x4f7ffffe, v1
	v_cvt_u32_f32_e32 v1, v1
	v_writelane_b32 v200, s1, 2
	s_ashr_i32 s1, s90, 31
	v_writelane_b32 v200, s1, 3
	v_readfirstlane_b32 s52, v1
	s_mul_i32 s4, s4, s52
	s_mul_hi_u32 s4, s52, s4
	s_abs_i32 s1, s54
	s_add_i32 s52, s52, s4
	s_mul_hi_u32 s4, s1, s52
	s_mul_i32 s4, s4, s91
	s_sub_i32 s1, s1, s4
	s_ashr_i32 s39, s46, 3
	s_ashr_i32 s62, s13, 1
	;; [unrolled: 1-line block ×4, first 2 shown]
	s_sub_i32 s4, s1, s91
	s_cmp_ge_u32 s1, s91
	s_cselect_b32 s1, s4, s1
	s_sub_i32 s4, s1, s91
	s_cmp_ge_u32 s1, s91
	s_cselect_b32 s1, s4, s1
	s_xor_b32 s1, s1, s0
	s_sub_i32 s82, s1, s0
	s_sub_i32 s0, s58, s54
	s_add_i32 s4, s0, s82
	s_min_i32 s65, s90, s4
	s_cmp_gt_i32 s58, s54
	s_cselect_b64 s[8:9], -1, 0
	s_cmp_le_i32 s58, s54
	s_cselect_b64 s[0:1], -1, 0
	s_cmp_gt_i32 s90, s4
	v_cvt_f16_f32_e32 v83, s2
	s_cselect_b64 s[4:5], -1, 0
	s_or_b64 s[0:1], s[4:5], s[0:1]
	v_bfe_u32 v49, v0, 10, 10
	v_bfe_u32 v75, v0, 10, 2
	s_mov_b32 s61, 0
	s_and_b64 vcc, exec, s[0:1]
	v_lshlrev_b32_e32 v51, 2, v49
	v_lshlrev_b32_e32 v47, 4, v49
	v_cmp_eq_u32_e64 s[0:1], 0, v75
	v_cmp_ne_u32_e64 s[10:11], 0, v75
	v_lshrrev_b32_e32 v85, 10, v0
	v_add_u32_e32 v81, 4, v49
	v_add_u32_e32 v79, 8, v49
	;; [unrolled: 1-line block ×3, first 2 shown]
	v_mbcnt_lo_u32_b32 v77, -1, 0
	s_cbranch_vccz .LBB24_9
; %bb.7:
	s_andn2_b64 vcc, exec, s[8:9]
	s_cbranch_vccz .LBB24_240
.LBB24_8:
	s_endpgm
.LBB24_9:
	v_and_b32_e32 v3, 0x3f0, v51
	s_movk_i32 s2, 0x110
	v_and_b32_e32 v5, 15, v0
	v_lshrrev_b32_e32 v7, 1, v0
	v_and_b32_e32 v46, 0x3ff, v0
	v_mad_u32_u24 v4, v3, s2, 0
	v_mul_u32_u24_e32 v6, 0x110, v5
	v_and_b32_e32 v7, 0x78, v7
	v_add3_u32 v87, v4, v6, v7
	v_bfe_u32 v4, v0, 5, 5
	v_lshlrev_b32_e32 v8, 1, v46
	v_lshl_add_u32 v89, v49, 1, v4
	v_and_b32_e32 v48, 62, v8
	v_mul_u32_u24_e32 v4, 0x90, v89
	v_lshlrev_b32_e32 v8, 1, v48
	v_lshlrev_b32_e32 v2, 2, v46
	v_add3_u32 v91, 0, v4, v8
	v_bfe_u32 v4, v0, 4, 6
	v_add_u32_e32 v4, v51, v4
	v_and_b32_e32 v50, 60, v2
	v_mul_u32_u24_e32 v8, 0x110, v4
	v_lshlrev_b32_e32 v9, 2, v50
	v_add3_u32 v93, 0, v8, v9
	v_and_b32_e32 v8, 48, v47
	v_mad_u32_u24 v9, v8, s2, 0
	v_add3_u32 v95, v9, v6, v7
	v_bfe_u32 v6, v0, 2, 8
	v_and_b32_e32 v10, 60, v6
	v_and_or_b32 v3, v0, 12, v3
	v_add_u16_e32 v8, v8, v10
	v_lshrrev_b32_e32 v3, 2, v3
	v_lshrrev_b16_e32 v8, 1, v8
	v_mul_u32_u24_e32 v3, 0x90, v3
	v_lshlrev_b32_e32 v8, 2, v8
	v_add3_u32 v97, 0, v3, v8
	v_mul_u32_u24_e32 v3, 0x110, v10
	v_or_b32_e32 v6, 3, v6
	v_lshlrev_b32_e32 v8, 1, v5
	v_bfe_u32 v142, v85, 2, 8
	v_mul_u32_u24_e32 v6, 0x110, v6
	v_add3_u32 v99, v9, v3, v8
	v_add_u32_e32 v3, 1, v142
	v_add3_u32 v103, v9, v6, v8
	v_lshlrev_b32_e32 v6, 2, v3
	v_and_b32_e32 v8, 15, v3
	s_movk_i32 s2, 0x1c0
	v_and_or_b32 v6, v6, s2, v8
	v_add_u32_e32 v8, 2, v142
	v_lshlrev_b32_e32 v9, 2, v8
	v_and_b32_e32 v10, 15, v8
	v_and_or_b32 v9, v9, s2, v10
	v_add_u32_e32 v10, 3, v142
	v_lshlrev_b32_e32 v11, 2, v10
	v_and_b32_e32 v12, 15, v10
	;; [unrolled: 4-line block ×5, first 2 shown]
	v_and_or_b32 v17, v17, s2, v18
	v_add_u32_e32 v18, 7, v142
	s_cmp_eq_u64 s[24:25], 0
	v_writelane_b32 v200, s44, 4
	v_lshlrev_b32_e32 v19, 2, v18
	v_and_b32_e32 v20, 15, v18
	s_cselect_b64 s[4:5], -1, 0
	v_and_or_b32 v19, v19, s2, v20
	v_add_u32_e32 v20, 8, v142
	v_writelane_b32 v200, s4, 5
	s_cmp_lg_u64 s[26:27], 0
	v_lshlrev_b32_e32 v21, 2, v20
	v_and_b32_e32 v22, 15, v20
	v_writelane_b32 v200, s5, 6
	s_cselect_b64 s[4:5], -1, 0
	v_and_or_b32 v21, v21, s2, v22
	v_add_u32_e32 v22, 9, v142
	v_writelane_b32 v200, s4, 7
	s_lshl_b32 s60, s33, 4
	v_lshlrev_b32_e32 v23, 2, v22
	v_and_b32_e32 v24, 15, v22
	v_writelane_b32 v200, s5, 8
	s_ashr_i32 s63, s62, 31
	s_mov_b32 s42, s39
	s_ashr_i32 s39, s38, 31
	s_lshl_b32 s6, s38, 4
	s_ashr_i32 s15, s14, 31
	s_lshl_b32 s7, s14, 4
	s_lshl_b64 s[4:5], s[60:61], 3
	v_and_or_b32 v23, v23, s2, v24
	v_add_u32_e32 v24, 10, v142
	s_add_u32 s4, s30, s4
	v_lshlrev_b32_e32 v25, 2, v24
	v_and_b32_e32 v26, 15, v24
	s_addc_u32 s5, s31, s5
	s_abs_i32 s57, s89
	v_and_or_b32 v25, v25, s2, v26
	v_add_u32_e32 v26, 11, v142
	v_cvt_f32_u32_e32 v35, s57
	v_lshlrev_b32_e32 v27, 2, v26
	v_and_b32_e32 v28, 15, v26
	v_and_or_b32 v27, v27, s2, v28
	v_add_u32_e32 v28, 12, v142
	v_lshlrev_b32_e32 v29, 2, v28
	v_and_b32_e32 v30, 15, v28
	v_and_or_b32 v29, v29, s2, v30
	v_add_u32_e32 v30, 13, v142
	v_rcp_iflag_f32_e32 v35, v35
	s_abs_i32 s92, s88
	v_lshlrev_b32_e32 v31, 2, v30
	v_and_b32_e32 v32, 15, v30
	v_cvt_f32_u32_e32 v37, s92
	v_and_or_b32 v31, v31, s2, v32
	v_add_u32_e32 v32, 14, v142
	v_lshlrev_b32_e32 v33, 2, v32
	v_and_b32_e32 v34, 15, v32
	v_and_or_b32 v33, v33, s2, v34
	v_add_u32_e32 v34, 15, v142
	v_mul_f32_e32 v35, 0x4f7ffffe, v35
	v_lshlrev_b32_e32 v36, 2, v34
	v_and_b32_e32 v38, 15, v34
	v_rcp_iflag_f32_e32 v37, v37
	s_abs_i32 s93, s87
	v_cvt_u32_f32_e32 v35, v35
	v_add_u32_e32 v143, 0, v2
	v_add_u32_e32 v2, v47, v46
	v_writelane_b32 v200, s33, 9
	v_and_or_b32 v36, v36, s2, v38
	v_cvt_f32_u32_e32 v38, s93
	s_mov_b32 s2, s12
	v_mul_u32_u24_e32 v144, 0x110, v2
	v_or_b32_e32 v2, v47, v5
	v_writelane_b32 v200, s2, 10
	v_mul_u32_u24_e32 v146, 0x110, v2
	s_movk_i32 s33, 0xc0
	v_bfe_u32 v2, v49, 2, 4
	v_writelane_b32 v200, s3, 11
	v_and_or_b32 v2, v85, s33, v2
	s_ashr_i32 s33, s89, 31
	s_abs_i32 s94, s12
	v_mul_f32_e32 v37, 0x4f7ffffe, v37
	v_readfirstlane_b32 s2, v35
	v_writelane_b32 v200, s33, 12
	s_sub_i32 s33, 0, s57
	v_cvt_f32_u32_e32 v39, s94
	v_rcp_iflag_f32_e32 v38, v38
	v_cvt_u32_f32_e32 v37, v37
	s_mul_i32 s33, s33, s2
	s_mul_hi_u32 s33, s2, s33
	s_add_i32 s2, s2, s33
	v_writelane_b32 v200, s2, 13
	s_ashr_i32 s2, s88, 31
	v_rcp_iflag_f32_e32 v39, v39
	v_mul_f32_e32 v38, 0x4f7ffffe, v38
	v_readfirstlane_b32 s8, v37
	v_writelane_b32 v200, s2, 14
	s_sub_i32 s2, 0, s92
	v_cvt_u32_f32_e32 v38, v38
	s_mul_i32 s2, s2, s8
	s_mul_hi_u32 s2, s8, s2
	s_add_i32 s2, s8, s2
	v_mul_f32_e32 v39, 0x4f7ffffe, v39
	v_writelane_b32 v200, s2, 15
	s_ashr_i32 s2, s87, 31
	v_cvt_u32_f32_e32 v39, v39
	v_readfirstlane_b32 s9, v38
	v_writelane_b32 v200, s2, 16
	s_sub_i32 s2, 0, s93
	s_mul_i32 s2, s2, s9
	s_mul_hi_u32 s2, s9, s2
	s_add_i32 s2, s9, s2
	v_readfirstlane_b32 s12, v39
	v_writelane_b32 v200, s2, 17
	s_sub_i32 s2, 0, s94
	s_mul_i32 s2, s2, s12
	s_mul_hi_u32 s2, s12, s2
	v_mul_lo_u32 v56, s38, v4
	v_mul_lo_u32 v64, s14, v4
	s_add_i32 s2, s12, s2
	v_add_u32_e32 v58, s6, v56
	v_add_u32_e32 v66, s7, v64
	v_writelane_b32 v200, s2, 18
	s_mov_b32 s2, s62
	v_or_b32_e32 v35, v51, v46
	v_add_u32_e32 v60, s6, v58
	v_add_u32_e32 v68, s7, v66
	v_writelane_b32 v200, s2, 19
	v_lshlrev_b32_e32 v52, 3, v35
	v_mov_b32_e32 v53, 0
	v_and_b32_e32 v35, 31, v0
	v_add_u32_e32 v62, s6, v60
	v_add_u32_e32 v70, s7, v68
	v_writelane_b32 v200, s3, 20
	s_lshl_b64 s[8:9], s[62:63], 1
	v_lshl_add_u64 v[54:55], s[4:5], 0, v[52:53]
	v_lshlrev_b32_e32 v52, 2, v35
	s_mov_b32 s13, 0x10001
	v_ashrrev_i32_e32 v57, 31, v56
	v_ashrrev_i32_e32 v59, 31, v58
	;; [unrolled: 1-line block ×8, first 2 shown]
	v_writelane_b32 v200, s8, 21
	v_cmp_gt_u32_e64 s[4:5], 4, v89
	v_cmp_gt_u32_e64 s[6:7], 16, v46
	v_add_u32_e32 v145, 0, v7
	v_mul_u32_u24_e32 v147, 0x110, v2
	v_mul_u32_u24_e32 v148, 0x110, v6
	v_mul_u32_u24_e32 v149, 0x110, v9
	v_mul_u32_u24_e32 v150, 0x110, v11
	v_lshrrev_b32_e32 v151, 2, v12
	v_mul_u32_u24_e32 v152, 0x110, v13
	v_mul_u32_u24_e32 v153, 0x110, v15
	v_mul_u32_u24_e32 v154, 0x110, v17
	v_mul_u32_u24_e32 v155, 0x110, v19
	v_lshrrev_b32_e32 v156, 2, v20
	;; [unrolled: 5-line block ×3, first 2 shown]
	v_mul_u32_u24_e32 v162, 0x110, v29
	v_mul_u32_u24_e32 v163, 0x110, v31
	v_mul_u32_u24_e32 v164, 0x110, v33
	v_mul_u32_u24_e32 v165, 0x110, v36
	v_writelane_b32 v200, s9, 22
	v_lshlrev_b32_e32 v72, 4, v5
	v_mov_b32_e32 v73, v53
	s_lshl_b64 s[68:69], s[14:15], 8
	s_lshl_b64 s[70:71], s[38:39], 8
	s_mov_b32 s45, 0x3fb8aa3b
	s_mov_b32 s67, 0xc2ce8ed0
	;; [unrolled: 1-line block ×5, first 2 shown]
	v_mul_lo_u32 v166, v83, s13
	v_add_u32_e32 v167, 0x1100, v93
	v_add_u32_e32 v168, 0x2200, v93
	v_add_u32_e32 v169, 0x3300, v93
	v_mul_u32_u24_e32 v170, 0x110, v49
	v_lshrrev_b32_e32 v171, 2, v81
	v_lshrrev_b32_e32 v172, 2, v79
	;; [unrolled: 1-line block ×3, first 2 shown]
	v_bfe_u32 v174, v85, 4, 6
	v_lshrrev_b32_e32 v175, 2, v3
	v_and_b32_e32 v74, 3, v3
	v_lshrrev_b32_e32 v176, 2, v8
	v_and_b32_e32 v76, 3, v8
	;; [unrolled: 2-line block ×12, first 2 shown]
	v_mbcnt_hi_u32_b32 v187, -1, v77
	v_mov_b32_e32 v188, 0x7f800000
	v_and_b32_e32 v98, 3, v0
	v_mad_u64_u32 v[100:101], s[8:9], v75, s42, v[46:47]
	v_bfe_u32 v102, v49, 2, 2
	v_lshl_add_u64 v[104:105], s[22:23], 0, v[52:53]
	v_lshl_add_u64 v[106:107], v[64:65], 2, s[20:21]
	v_lshl_add_u64 v[108:109], v[66:67], 2, s[20:21]
	v_lshl_add_u64 v[110:111], v[68:69], 2, s[20:21]
	v_lshl_add_u64 v[112:113], v[70:71], 2, s[20:21]
	v_lshl_add_u64 v[114:115], v[56:57], 2, s[18:19]
	v_lshl_add_u64 v[116:117], v[58:59], 2, s[18:19]
	v_lshl_add_u64 v[118:119], v[60:61], 2, s[18:19]
	v_lshl_add_u64 v[120:121], v[62:63], 2, s[18:19]
	v_writelane_b32 v200, s42, 23
	s_branch .LBB24_12
.LBB24_10:                              ;   in Loop: Header=BB24_12 Depth=1
	s_or_b64 exec, exec, s[74:75]
	s_barrier
.LBB24_11:                              ;   in Loop: Header=BB24_12 Depth=1
	s_add_i32 s2, s54, s90
	s_abs_i32 s9, s2
	s_mul_hi_u32 s12, s9, s52
	s_mul_i32 s12, s12, s91
	s_sub_i32 s9, s9, s12
	s_ashr_i32 s8, s2, 31
	s_sub_i32 s12, s9, s91
	s_cmp_ge_u32 s9, s91
	s_cselect_b32 s9, s12, s9
	s_sub_i32 s12, s9, s91
	s_cmp_ge_u32 s9, s91
	s_cselect_b32 s9, s12, s9
	s_xor_b32 s9, s9, s8
	s_sub_i32 s8, s8, s9
	s_add_i32 s54, s2, s8
	s_sub_i32 s2, s58, s54
	s_min_i32 s65, s90, s2
	s_cmp_gt_i32 s58, s54
	s_cselect_b64 s[8:9], -1, 0
	s_cmp_le_i32 s90, s2
	s_cselect_b64 s[12:13], -1, 0
	s_and_b64 s[12:13], s[12:13], s[8:9]
	s_mov_b32 s82, 0
	s_and_b64 vcc, exec, s[12:13]
	s_cbranch_vccz .LBB24_239
.LBB24_12:                              ; =>This Loop Header: Depth=1
                                        ;     Child Loop BB24_148 Depth 2
                                        ;     Child Loop BB24_34 Depth 2
	s_ashr_i32 s2, s54, 31
	v_readlane_b32 s8, v200, 12
	s_xor_b32 s2, s2, s8
	s_abs_i32 s8, s54
	v_readlane_b32 s9, v200, 13
	s_mul_hi_u32 s9, s8, s9
	s_mul_i32 s12, s9, s57
	s_sub_i32 s8, s8, s12
	s_add_i32 s12, s9, 1
	s_sub_i32 s13, s8, s57
	s_cmp_ge_u32 s8, s57
	s_cselect_b32 s9, s12, s9
	s_cselect_b32 s8, s13, s8
	s_add_i32 s12, s9, 1
	s_cmp_ge_u32 s8, s57
	s_cselect_b32 s8, s12, s9
	s_xor_b32 s8, s8, s2
	s_sub_i32 s8, s8, s2
	s_mul_i32 s2, s8, s89
	s_sub_i32 s2, s54, s2
	s_ashr_i32 s9, s2, 31
	v_readlane_b32 s12, v200, 14
	s_xor_b32 s9, s9, s12
	s_abs_i32 s12, s2
	v_readlane_b32 s13, v200, 15
	s_mul_hi_u32 s13, s12, s13
	s_mul_i32 s42, s13, s92
	s_sub_i32 s12, s12, s42
	s_add_i32 s42, s13, 1
	s_sub_i32 s44, s12, s92
	s_cmp_ge_u32 s12, s92
	s_cselect_b32 s13, s42, s13
	s_cselect_b32 s12, s44, s12
	s_add_i32 s42, s13, 1
	s_cmp_ge_u32 s12, s92
	s_cselect_b32 s12, s42, s13
	s_xor_b32 s12, s12, s9
	s_sub_i32 s9, s12, s9
	s_mul_i32 s12, s9, s88
	s_sub_i32 s12, s2, s12
	;; [unrolled: 20-line block ×3, first 2 shown]
	s_ashr_i32 s13, s12, 31
	v_readlane_b32 s42, v200, 3
	s_abs_i32 s12, s12
	s_xor_b32 s13, s13, s42
	s_mul_hi_u32 s42, s12, s52
	s_mul_i32 s44, s42, s91
	s_sub_i32 s12, s12, s44
	s_add_i32 s44, s42, 1
	s_sub_i32 s53, s12, s91
	s_cmp_ge_u32 s12, s91
	s_cselect_b32 s42, s44, s42
	s_cselect_b32 s12, s53, s12
	s_add_i32 s44, s42, 1
	s_cmp_ge_u32 s12, s91
	s_cselect_b32 s12, s44, s42
	v_readlane_b32 s62, v200, 7
	s_xor_b32 s12, s12, s13
	v_readlane_b32 s63, v200, 8
	s_andn2_b64 vcc, exec, s[62:63]
	s_sub_i32 s42, s12, s13
	s_cbranch_vccnz .LBB24_14
; %bb.13:                               ;   in Loop: Header=BB24_12 Depth=1
	v_readlane_b32 s12, v200, 0
	s_mul_i32 s12, s8, s12
	s_add_i32 s12, s42, s12
	s_ashr_i32 s13, s12, 31
	s_lshl_b64 s[12:13], s[12:13], 2
	s_add_u32 s12, s26, s12
	s_addc_u32 s13, s27, s13
	global_load_dword v2, v53, s[12:13]
	s_waitcnt vmcnt(0)
	v_readfirstlane_b32 s12, v2
	s_ashr_i32 s13, s12, 31
	s_lshr_b32 s13, s13, 26
	s_add_i32 s12, s12, s13
	s_ashr_i32 s12, s12, 6
	s_min_i32 s65, s65, s12
.LBB24_14:                              ;   in Loop: Header=BB24_12 Depth=1
	s_mul_i32 s12, s9, s3
	s_lshl_b32 s2, s2, 2
	s_mul_i32 s13, s8, s47
	s_add_i32 s12, s2, s12
	s_ashr_i32 s44, s13, 31
	s_add_u32 s13, s16, s13
	s_mul_i32 s53, s12, s46
	s_addc_u32 s44, s17, s44
	s_ashr_i32 s56, s53, 31
	s_add_u32 s80, s13, s53
	s_addc_u32 s81, s44, s56
	s_ashr_i32 s13, s8, 31
	s_mul_hi_u32 s44, s40, s8
	s_mul_i32 s53, s40, s13
	s_add_i32 s44, s44, s53
	s_mul_i32 s53, s41, s8
	v_readlane_b32 s62, v200, 1
	s_add_i32 s95, s44, s53
	s_mul_i32 s96, s40, s8
	v_readlane_b32 s63, v200, 2
	s_add_u32 s44, s18, s96
	s_mul_i32 s97, s9, s63
	s_addc_u32 s53, s19, s95
	s_ashr_i32 s98, s97, 31
	s_add_u32 s63, s44, s97
	s_addc_u32 s64, s53, s98
	s_abs_i32 s44, s8
	v_readlane_b32 s53, v200, 18
	s_mul_hi_u32 s53, s44, s53
	s_mul_i32 s53, s53, s94
	s_sub_i32 s44, s44, s53
	s_sub_i32 s53, s44, s94
	s_cmp_ge_u32 s44, s94
	s_cselect_b32 s44, s53, s44
	s_sub_i32 s53, s44, s94
	s_cmp_ge_u32 s44, s94
	s_cselect_b32 s44, s53, s44
	s_xor_b32 s44, s44, s13
	s_sub_i32 s44, s44, s13
	s_ashr_i32 s53, s44, 31
	s_mul_i32 s53, s50, s53
	s_mul_hi_u32 s56, s50, s44
	s_add_i32 s53, s56, s53
	s_mul_i32 s56, s51, s44
	s_add_i32 s79, s53, s56
	s_mul_i32 s78, s50, s44
	s_mul_i32 s44, s36, s37
	s_add_u32 s76, s22, s78
	s_mul_i32 s44, s44, s8
	s_addc_u32 s77, s23, s79
	s_add_i32 s44, s12, s44
	s_lshl_b32 s60, s44, 6
	s_lshl_b64 s[72:73], s[60:61], 3
	s_add_u32 s72, s28, s72
	s_mul_hi_u32 s44, s48, s8
	s_mul_i32 s13, s48, s13
	s_addc_u32 s73, s29, s73
	s_add_i32 s13, s44, s13
	s_mul_i32 s44, s49, s8
	s_add_i32 s60, s13, s44
	s_mul_i32 s99, s48, s8
	s_add_u32 s8, s20, s99
	s_mul_i32 s59, s9, s43
	s_addc_u32 s13, s21, s60
	s_ashr_i32 s56, s59, 31
	s_add_u32 s44, s8, s59
	s_addc_u32 s62, s13, s56
	s_ashr_i32 s13, s12, 31
	s_lshl_b64 s[8:9], s[12:13], 2
	s_add_u32 s12, s24, s8
	s_addc_u32 s13, s25, s9
	v_readlane_b32 s8, v200, 5
	v_readlane_b32 s9, v200, 6
	s_and_b64 s[8:9], s[8:9], exec
	s_cselect_b32 s75, 0, s13
	s_cselect_b32 s74, 0, s12
	s_cmp_lg_u32 s82, 0
	v_or_b32_e32 v101, s2, v75
	s_cbranch_scc0 .LBB24_36
; %bb.15:                               ;   in Loop: Header=BB24_12 Depth=1
	s_lshl_b32 s53, s42, 2
	v_add_u32_e32 v2, s53, v142
	v_cmp_le_i32_e64 s[8:9], s36, v2
	v_cmp_le_i32_e64 s[12:13], s3, v101
	v_cmp_gt_i32_e32 vcc, s3, v101
	s_or_b64 s[8:9], s[8:9], s[12:13]
	s_and_saveexec_b64 s[12:13], s[8:9]
	s_xor_b64 s[8:9], exec, s[12:13]
; %bb.16:                               ;   in Loop: Header=BB24_12 Depth=1
	v_add_u32_e32 v2, v143, v170
	ds_write_b32 v2, v53
                                        ; implicit-def: $vgpr2
; %bb.17:                               ;   in Loop: Header=BB24_12 Depth=1
	s_andn2_saveexec_b64 s[8:9], s[8:9]
	s_cbranch_execz .LBB24_19
; %bb.18:                               ;   in Loop: Header=BB24_12 Depth=1
	v_mad_u64_u32 v[2:3], s[12:13], v2, s55, v[100:101]
	v_ashrrev_i32_e32 v3, 31, v2
	v_lshl_add_u64 v[2:3], v[2:3], 3, s[80:81]
	global_load_dwordx2 v[2:3], v[2:3], off
	s_waitcnt vmcnt(0)
	v_cvt_pk_f16_f32 v2, v2, v3
	v_pk_mul_f16 v2, v2, v166
	v_add_u32_e32 v3, v143, v170
	ds_write_b32 v3, v2
.LBB24_19:                              ;   in Loop: Header=BB24_12 Depth=1
	s_or_b64 exec, exec, s[8:9]
	v_add_u32_e32 v2, s53, v171
	v_cmp_le_i32_e64 s[8:9], s36, v2
	s_xor_b64 s[12:13], vcc, -1
	s_or_b64 s[8:9], s[8:9], s[12:13]
	s_and_saveexec_b64 s[84:85], s[8:9]
	s_xor_b64 s[8:9], exec, s[84:85]
; %bb.20:                               ;   in Loop: Header=BB24_12 Depth=1
	v_add_u32_e32 v2, v143, v170
	ds_write_b32 v2, v53 offset:1088
                                        ; implicit-def: $vgpr2
; %bb.21:                               ;   in Loop: Header=BB24_12 Depth=1
	s_andn2_saveexec_b64 s[8:9], s[8:9]
	s_cbranch_execz .LBB24_23
; %bb.22:                               ;   in Loop: Header=BB24_12 Depth=1
	v_mad_u64_u32 v[2:3], s[84:85], v2, s55, v[100:101]
	v_ashrrev_i32_e32 v3, 31, v2
	v_lshl_add_u64 v[2:3], v[2:3], 3, s[80:81]
	global_load_dwordx2 v[2:3], v[2:3], off
	s_waitcnt vmcnt(0)
	v_cvt_pk_f16_f32 v2, v2, v3
	v_pk_mul_f16 v2, v2, v166
	v_add_u32_e32 v3, v143, v170
	ds_write_b32 v3, v2 offset:1088
.LBB24_23:                              ;   in Loop: Header=BB24_12 Depth=1
	s_or_b64 exec, exec, s[8:9]
	v_add_u32_e32 v2, s53, v172
	v_cmp_le_i32_e32 vcc, s36, v2
	s_or_b64 s[8:9], vcc, s[12:13]
	s_and_saveexec_b64 s[84:85], s[8:9]
	s_xor_b64 s[8:9], exec, s[84:85]
; %bb.24:                               ;   in Loop: Header=BB24_12 Depth=1
	v_add_u32_e32 v2, v143, v170
	ds_write_b32 v2, v53 offset:2176
                                        ; implicit-def: $vgpr2
; %bb.25:                               ;   in Loop: Header=BB24_12 Depth=1
	s_andn2_saveexec_b64 s[8:9], s[8:9]
	s_cbranch_execz .LBB24_27
; %bb.26:                               ;   in Loop: Header=BB24_12 Depth=1
	v_mad_u64_u32 v[2:3], s[84:85], v2, s55, v[100:101]
	v_ashrrev_i32_e32 v3, 31, v2
	v_lshl_add_u64 v[2:3], v[2:3], 3, s[80:81]
	global_load_dwordx2 v[2:3], v[2:3], off
	s_waitcnt vmcnt(0)
	v_cvt_pk_f16_f32 v2, v2, v3
	v_pk_mul_f16 v2, v2, v166
	v_add_u32_e32 v3, v143, v170
	ds_write_b32 v3, v2 offset:2176
.LBB24_27:                              ;   in Loop: Header=BB24_12 Depth=1
	s_or_b64 exec, exec, s[8:9]
	v_add_u32_e32 v2, s53, v173
	v_cmp_le_i32_e32 vcc, s36, v2
	s_or_b64 s[8:9], vcc, s[12:13]
	s_and_saveexec_b64 s[12:13], s[8:9]
	s_xor_b64 s[8:9], exec, s[12:13]
; %bb.28:                               ;   in Loop: Header=BB24_12 Depth=1
	v_add_u32_e32 v2, v143, v170
	ds_write_b32 v2, v53 offset:3264
                                        ; implicit-def: $vgpr2
; %bb.29:                               ;   in Loop: Header=BB24_12 Depth=1
	s_andn2_saveexec_b64 s[8:9], s[8:9]
	s_cbranch_execz .LBB24_31
; %bb.30:                               ;   in Loop: Header=BB24_12 Depth=1
	v_mad_u64_u32 v[2:3], s[12:13], v2, s55, v[100:101]
	v_ashrrev_i32_e32 v3, 31, v2
	v_lshl_add_u64 v[2:3], v[2:3], 3, s[80:81]
	global_load_dwordx2 v[2:3], v[2:3], off
	s_waitcnt vmcnt(0)
	v_cvt_pk_f16_f32 v2, v2, v3
	v_pk_mul_f16 v2, v2, v166
	v_add_u32_e32 v3, v143, v170
	ds_write_b32 v3, v2 offset:3264
.LBB24_31:                              ;   in Loop: Header=BB24_12 Depth=1
	s_or_b64 exec, exec, s[8:9]
	s_waitcnt lgkmcnt(0)
	s_barrier
	ds_read2_b64 v[14:17], v87 offset1:4
	ds_read2_b64 v[10:13], v87 offset0:8 offset1:12
	ds_read2_b64 v[6:9], v87 offset0:16 offset1:20
	;; [unrolled: 1-line block ×3, first 2 shown]
	s_add_i32 s83, s65, -1
	s_cmp_ge_i32 s82, s83
	s_waitcnt lgkmcnt(0)
	s_barrier
	s_cbranch_scc1 .LBB24_37
; %bb.32:                               ;   in Loop: Header=BB24_12 Depth=1
	v_add_u32_e32 v18, s53, v89
	v_mul_hi_u32 v19, s34, v18
	v_add_u32_e32 v19, v18, v19
	v_lshrrev_b32_e32 v19, s35, v19
	v_mul_lo_u32 v19, v19, s36
	v_readlane_b32 s8, v200, 19
	v_sub_u32_e32 v18, v18, v19
	v_readlane_b32 s9, v200, 20
	v_mad_i64_i32 v[18:19], s[8:9], v18, s8, 0
	v_lshl_add_u64 v[18:19], v[18:19], 1, s[76:77]
	v_lshlrev_b32_e32 v52, 1, v48
	v_lshl_add_u64 v[122:123], v[18:19], 0, v[52:53]
	v_and_b32_e32 v18, 64, v187
	v_add_u32_e32 v18, 64, v18
	v_xor_b32_e32 v19, 32, v187
	v_cmp_lt_i32_e32 vcc, v19, v18
	s_lshl_b32 s8, s82, 6
	v_mov_b32_e32 v124, 0
	v_cndmask_b32_e32 v19, v187, v19, vcc
	v_lshlrev_b32_e32 v128, 2, v19
	v_xor_b32_e32 v19, 16, v187
	v_cmp_lt_i32_e32 vcc, v19, v18
	v_mov_b32_e32 v125, 0
	v_mov_b32_e32 v43, 0
	v_cndmask_b32_e32 v18, v187, v19, vcc
	v_lshlrev_b32_e32 v129, 2, v18
	v_mov_b32_e32 v19, 0xfeffffff
	v_mov_b32_e32 v18, 0
	;; [unrolled: 1-line block ×15, first 2 shown]
	s_ashr_i32 s9, s8, 31
	s_and_saveexec_b64 s[12:13], s[4:5]
	s_cbranch_execz .LBB24_34
.LBB24_33:                              ;   in Loop: Header=BB24_12 Depth=1
	v_lshl_add_u64 v[20:21], s[8:9], 1, v[122:123]
	global_load_dword v20, v[20:21], off
	s_waitcnt vmcnt(0)
	ds_write_b32 v91, v20 offset:17408
.LBB24_34:                              ;   Parent Loop BB24_12 Depth=1
                                        ; =>  This Inner Loop Header: Depth=2
	s_or_b64 exec, exec, s[12:13]
	s_mul_hi_i32 s13, s8, s38
	s_mul_i32 s12, s8, s38
	s_lshl_b64 s[12:13], s[12:13], 2
	s_add_u32 s12, s63, s12
	s_addc_u32 s13, s64, s13
	v_lshlrev_b32_e32 v52, 2, v50
	v_lshl_add_u64 v[22:23], v[58:59], 2, s[12:13]
	v_lshl_add_u64 v[20:21], v[56:57], 2, s[12:13]
	;; [unrolled: 1-line block ×8, first 2 shown]
	global_load_dwordx4 v[20:23], v[20:21], off
	s_mul_hi_i32 s13, s8, s14
	s_mul_i32 s12, s8, s14
	s_lshl_b64 s[12:13], s[12:13], 2
	s_add_u32 s12, s44, s12
	s_addc_u32 s13, s62, s13
	s_add_i32 s82, s82, 1
	s_add_i32 s8, s8, 64
	s_cmp_lt_i32 s82, s83
	s_waitcnt vmcnt(0)
	ds_write_b128 v93, v[20:23]
	global_load_dwordx4 v[20:23], v[24:25], off
	v_add_u32_e32 v24, 0x4400, v97
	s_waitcnt vmcnt(0)
	ds_write_b128 v167, v[20:23]
	global_load_dwordx4 v[20:23], v[28:29], off
	s_waitcnt vmcnt(0)
	ds_write_b128 v168, v[20:23]
	global_load_dwordx4 v[20:23], v[44:45], off
	s_waitcnt vmcnt(0)
	ds_write_b128 v169, v[20:23]
	s_waitcnt lgkmcnt(0)
	s_barrier
	ds_read2_b64 v[20:23], v95 offset1:4
	s_waitcnt lgkmcnt(0)
	v_mfma_f32_16x16x16_f16 v[130:133], v[20:21], v[14:15], 0
	v_mfma_f32_16x16x16_f16 v[20:23], v[22:23], v[16:17], v[130:133]
	s_nop 6
	ds_read2_b64 v[130:133], v95 offset0:8 offset1:12
	s_waitcnt lgkmcnt(0)
	v_mfma_f32_16x16x16_f16 v[20:23], v[130:131], v[10:11], v[20:23]
	v_mfma_f32_16x16x16_f16 v[20:23], v[132:133], v[12:13], v[20:23]
	ds_read2_b64 v[130:133], v95 offset0:16 offset1:20
	s_waitcnt lgkmcnt(0)
	v_mfma_f32_16x16x16_f16 v[20:23], v[130:131], v[6:7], v[20:23]
	v_mfma_f32_16x16x16_f16 v[20:23], v[132:133], v[8:9], v[20:23]
	ds_read2_b64 v[130:133], v95 offset0:24 offset1:28
	s_waitcnt lgkmcnt(0)
	s_barrier
	ds_read2_b32 v[24:25], v24 offset1:1
	v_mfma_f32_16x16x16_f16 v[20:23], v[130:131], v[2:3], v[20:23]
	s_waitcnt lgkmcnt(0)
	v_cvt_f32_f16_e32 v26, v24
	v_cvt_f32_f16_sdwa v24, v24 dst_sel:DWORD dst_unused:UNUSED_PAD src0_sel:WORD_1
	v_mfma_f32_16x16x16_f16 v[20:23], v[132:133], v[4:5], v[20:23]
	s_nop 7
	v_add_f32_e32 v21, v21, v24
	v_cvt_f32_f16_e32 v24, v25
	v_cvt_f32_f16_sdwa v25, v25 dst_sel:DWORD dst_unused:UNUSED_PAD src0_sel:WORD_1
	v_add_f32_e32 v20, v20, v26
	v_add_f32_e32 v22, v22, v24
	;; [unrolled: 1-line block ×5, first 2 shown]
	v_max3_f32 v24, v19, v24, v25
	v_add_f32_e32 v25, 0x40051340, v22
	v_add_f32_e32 v26, 0x40051340, v23
	v_max3_f32 v24, v24, v25, v26
	ds_bpermute_b32 v25, v128, v24
	s_waitcnt lgkmcnt(0)
	v_max_f32_e32 v25, v25, v25
	v_max_f32_e32 v24, v24, v25
	ds_bpermute_b32 v25, v129, v24
	s_waitcnt lgkmcnt(0)
	v_max_f32_e32 v25, v25, v25
	v_max_f32_e32 v126, v24, v25
	v_sub_f32_e32 v20, v20, v126
	v_mul_f32_e32 v24, 0x3fb8aa3b, v20
	v_fma_f32 v25, v20, s45, -v24
	v_rndne_f32_e32 v26, v24
	v_fmac_f32_e32 v25, 0x32a5705f, v20
	v_sub_f32_e32 v24, v24, v26
	v_add_f32_e32 v24, v24, v25
	v_exp_f32_e32 v24, v24
	v_cvt_i32_f32_e32 v25, v26
	v_cmp_ngt_f32_e32 vcc, s67, v20
	v_sub_f32_e32 v19, v19, v126
	v_ldexp_f32 v24, v24, v25
	v_cndmask_b32_e32 v24, 0, v24, vcc
	v_cmp_nlt_f32_e32 vcc, s66, v20
	v_sub_f32_e32 v20, v21, v126
	v_mul_f32_e32 v21, 0x3fb8aa3b, v20
	v_fma_f32 v25, v20, s45, -v21
	v_rndne_f32_e32 v26, v21
	v_fmac_f32_e32 v25, 0x32a5705f, v20
	v_sub_f32_e32 v21, v21, v26
	v_add_f32_e32 v21, v21, v25
	v_exp_f32_e32 v21, v21
	v_cvt_i32_f32_e32 v25, v26
	v_cndmask_b32_e32 v24, v188, v24, vcc
	v_cmp_ngt_f32_e32 vcc, s67, v20
	v_ldexp_f32 v21, v21, v25
	s_nop 0
	v_cndmask_b32_e32 v21, 0, v21, vcc
	v_cmp_nlt_f32_e32 vcc, s66, v20
	s_nop 1
	v_cndmask_b32_e32 v25, v188, v21, vcc
	v_sub_f32_e32 v21, v22, v126
	v_mul_f32_e32 v22, 0x3fb8aa3b, v21
	v_fma_f32 v26, v21, s45, -v22
	v_rndne_f32_e32 v28, v22
	v_fmac_f32_e32 v26, 0x32a5705f, v21
	v_sub_f32_e32 v22, v22, v28
	v_add_f32_e32 v22, v22, v26
	v_exp_f32_e32 v22, v22
	v_cvt_i32_f32_e32 v26, v28
	v_cmp_ngt_f32_e32 vcc, s67, v21
	v_add_f32_e32 v20, v24, v25
	v_ldexp_f32 v22, v22, v26
	v_cndmask_b32_e32 v22, 0, v22, vcc
	v_cmp_nlt_f32_e32 vcc, s66, v21
	v_sub_f32_e32 v21, v23, v126
	s_nop 0
	v_cndmask_b32_e32 v28, v188, v22, vcc
	v_mul_f32_e32 v22, 0x3fb8aa3b, v21
	v_fma_f32 v23, v21, s45, -v22
	v_rndne_f32_e32 v26, v22
	v_fmac_f32_e32 v23, 0x32a5705f, v21
	v_sub_f32_e32 v22, v22, v26
	v_add_f32_e32 v22, v22, v23
	v_exp_f32_e32 v22, v22
	v_cvt_i32_f32_e32 v23, v26
	v_cmp_ngt_f32_e32 vcc, s67, v21
	v_add_f32_e32 v20, v28, v20
	v_ldexp_f32 v22, v22, v23
	v_cndmask_b32_e32 v22, 0, v22, vcc
	v_cmp_nlt_f32_e32 vcc, s66, v21
	s_nop 1
	v_cndmask_b32_e32 v33, v188, v22, vcc
	v_add_f32_e32 v127, v33, v20
	v_mul_f32_e32 v20, 0x3fb8aa3b, v19
	v_fma_f32 v21, v19, s45, -v20
	v_rndne_f32_e32 v22, v20
	v_fmac_f32_e32 v21, 0x32a5705f, v19
	v_sub_f32_e32 v20, v20, v22
	v_add_f32_e32 v20, v20, v21
	v_exp_f32_e32 v20, v20
	v_cvt_i32_f32_e32 v21, v22
	v_cmp_ngt_f32_e32 vcc, s67, v19
	v_ldexp_f32 v20, v20, v21
	s_nop 0
	v_cndmask_b32_e32 v20, 0, v20, vcc
	v_cmp_nlt_f32_e32 vcc, s66, v19
	s_nop 1
	v_cndmask_b32_e32 v20, v188, v20, vcc
	v_cmp_le_f32_e32 vcc, s33, v19
	s_nop 1
	v_cndmask_b32_e32 v19, 0, v20, vcc
	v_fmac_f32_e32 v127, v18, v19
	v_cvt_f16_f32_e32 v18, v19
	v_lshl_add_u64 v[20:21], v[66:67], 2, s[12:13]
	v_mul_u32_u24_e32 v18, 0x10001, v18
	v_pk_mul_f16 v32, v32, v18
	v_pk_mul_f16 v29, v27, v18
	;; [unrolled: 1-line block ×16, first 2 shown]
	v_lshl_add_u64 v[18:19], v[64:65], 2, s[12:13]
	v_lshl_add_u64 v[36:37], v[20:21], 0, v[52:53]
	;; [unrolled: 1-line block ×7, first 2 shown]
	global_load_dwordx4 v[18:21], v[18:19], off
	v_cvt_pk_f16_f32 v125, v28, v33
	v_cvt_pk_f16_f32 v124, v24, v25
	v_cvt_f32_f16_e32 v132, v23
	v_cvt_f32_f16_sdwa v133, v23 dst_sel:DWORD dst_unused:UNUSED_PAD src0_sel:WORD_1
	v_cvt_f32_f16_e32 v134, v22
	v_cvt_f32_f16_sdwa v135, v22 dst_sel:DWORD dst_unused:UNUSED_PAD src0_sel:WORD_1
	s_waitcnt vmcnt(0)
	ds_write_b128 v93, v[18:21]
	global_load_dwordx4 v[18:21], v[36:37], off
	s_waitcnt vmcnt(0)
	ds_write_b128 v167, v[18:21]
	global_load_dwordx4 v[18:21], v[40:41], off
	;; [unrolled: 3-line block ×3, first 2 shown]
	s_waitcnt vmcnt(0)
	ds_write_b128 v169, v[18:21]
	s_waitcnt lgkmcnt(0)
	s_barrier
	ds_read_u16 v18, v99 offset:272
	ds_read_u16 v19, v99 offset:544
	ds_read_u16 v20, v103
	ds_read_u16 v28, v103 offset:32
	v_cvt_f32_f16_sdwa v21, v29 dst_sel:DWORD dst_unused:UNUSED_PAD src0_sel:WORD_1
	s_waitcnt lgkmcnt(1)
	v_perm_b32 v25, v20, v19, s86
	ds_read_u16 v19, v99
	ds_read_u16 v33, v99 offset:32
	v_cvt_f32_f16_e32 v20, v29
	s_waitcnt lgkmcnt(1)
	v_perm_b32 v24, v18, v19, s86
	v_cvt_f32_f16_e32 v18, v32
	v_cvt_f32_f16_sdwa v19, v32 dst_sel:DWORD dst_unused:UNUSED_PAD src0_sel:WORD_1
	s_nop 1
	v_mfma_f32_16x16x16_f16 v[18:21], v[24:25], v[124:125], v[18:21]
	ds_read_u16 v24, v99 offset:304
	ds_read_u16 v25, v99 offset:576
	s_waitcnt lgkmcnt(1)
	v_perm_b32 v24, v24, v33, s86
	s_waitcnt lgkmcnt(0)
	v_perm_b32 v25, v28, v25, s86
	ds_read_u16 v28, v99 offset:64
	ds_read_u16 v32, v99 offset:336
	;; [unrolled: 1-line block ×4, first 2 shown]
	v_mfma_f32_16x16x16_f16 v[22:25], v[24:25], v[124:125], v[132:135]
	s_waitcnt lgkmcnt(0)
	v_perm_b32 v29, v33, v29, s86
	v_perm_b32 v28, v32, v28, s86
	ds_read_u16 v32, v99 offset:96
	ds_read_u16 v36, v99 offset:368
	ds_read_u16 v33, v99 offset:640
	ds_read_u16 v37, v103 offset:96
	v_cvt_f32_f16_e32 v132, v27
	v_cvt_f32_f16_sdwa v133, v27 dst_sel:DWORD dst_unused:UNUSED_PAD src0_sel:WORD_1
	v_cvt_f32_f16_e32 v134, v26
	v_cvt_f32_f16_sdwa v135, v26 dst_sel:DWORD dst_unused:UNUSED_PAD src0_sel:WORD_1
	s_waitcnt lgkmcnt(0)
	v_perm_b32 v33, v37, v33, s86
	v_perm_b32 v32, v36, v32, s86
	ds_read_u16 v36, v99 offset:128
	ds_read_u16 v40, v99 offset:400
	;; [unrolled: 1-line block ×4, first 2 shown]
	v_mfma_f32_16x16x16_f16 v[26:29], v[28:29], v[124:125], v[132:135]
	s_waitcnt lgkmcnt(2)
	v_perm_b32 v36, v40, v36, s86
	s_waitcnt lgkmcnt(0)
	v_perm_b32 v37, v41, v37, s86
	v_cvt_f32_f16_e32 v132, v31
	v_cvt_f32_f16_sdwa v133, v31 dst_sel:DWORD dst_unused:UNUSED_PAD src0_sel:WORD_1
	v_cvt_f32_f16_e32 v134, v30
	v_cvt_f32_f16_sdwa v135, v30 dst_sel:DWORD dst_unused:UNUSED_PAD src0_sel:WORD_1
	ds_read_u16 v40, v99 offset:160
	ds_read_u16 v44, v99 offset:432
	;; [unrolled: 1-line block ×4, first 2 shown]
	v_mfma_f32_16x16x16_f16 v[30:33], v[32:33], v[124:125], v[132:135]
	s_waitcnt lgkmcnt(2)
	v_perm_b32 v40, v44, v40, s86
	s_nop 0
	v_cvt_f32_f16_e32 v132, v35
	v_cvt_f32_f16_sdwa v133, v35 dst_sel:DWORD dst_unused:UNUSED_PAD src0_sel:WORD_1
	v_cvt_f32_f16_e32 v134, v34
	v_cvt_f32_f16_sdwa v135, v34 dst_sel:DWORD dst_unused:UNUSED_PAD src0_sel:WORD_1
	s_waitcnt lgkmcnt(0)
	v_perm_b32 v41, v45, v41, s86
	v_cvt_pk_f16_f32 v31, v30, v31
	v_mfma_f32_16x16x16_f16 v[34:37], v[36:37], v[124:125], v[132:135]
	v_cvt_pk_f16_f32 v30, v32, v33
	v_cvt_pk_f16_f32 v32, v18, v19
	s_nop 0
	v_cvt_f32_f16_e32 v132, v39
	v_cvt_f32_f16_sdwa v133, v39 dst_sel:DWORD dst_unused:UNUSED_PAD src0_sel:WORD_1
	v_cvt_f32_f16_e32 v134, v38
	v_cvt_f32_f16_sdwa v135, v38 dst_sel:DWORD dst_unused:UNUSED_PAD src0_sel:WORD_1
	s_nop 0
	v_cvt_pk_f16_f32 v35, v34, v35
	v_cvt_pk_f16_f32 v34, v36, v37
	v_mfma_f32_16x16x16_f16 v[38:41], v[40:41], v[124:125], v[132:135]
	ds_read_u16 v44, v99 offset:192
	ds_read_u16 v52, v99 offset:464
	;; [unrolled: 1-line block ×4, first 2 shown]
	v_cvt_f32_f16_sdwa v133, v43 dst_sel:DWORD dst_unused:UNUSED_PAD src0_sel:WORD_1
	v_cvt_f32_f16_e32 v134, v42
	s_waitcnt lgkmcnt(2)
	v_perm_b32 v44, v52, v44, s86
	v_cvt_f32_f16_sdwa v135, v42 dst_sel:DWORD dst_unused:UNUSED_PAD src0_sel:WORD_1
	s_waitcnt lgkmcnt(0)
	v_perm_b32 v45, v132, v45, s86
	v_cvt_f32_f16_e32 v132, v43
	v_cvt_pk_f16_f32 v39, v38, v39
	v_cvt_pk_f16_f32 v38, v40, v41
	v_mfma_f32_16x16x16_f16 v[42:45], v[44:45], v[124:125], v[132:135]
	ds_read_u16 v52, v99 offset:224
	s_nop 1
	ds_read_u16 v132, v99 offset:496
	ds_read_u16 v133, v99 offset:768
	;; [unrolled: 1-line block ×3, first 2 shown]
	v_cvt_f32_f16_sdwa v135, v130 dst_sel:DWORD dst_unused:UNUSED_PAD src0_sel:WORD_1
	v_cvt_pk_f16_f32 v37, v26, v27
	s_waitcnt lgkmcnt(2)
	v_perm_b32 v136, v132, v52, s86
	v_cvt_f32_f16_e32 v132, v131
	s_waitcnt lgkmcnt(0)
	v_perm_b32 v137, v134, v133, s86
	v_cvt_f32_f16_sdwa v133, v131 dst_sel:DWORD dst_unused:UNUSED_PAD src0_sel:WORD_1
	v_cvt_f32_f16_e32 v134, v130
	v_cvt_pk_f16_f32 v43, v42, v43
	v_cvt_pk_f16_f32 v42, v44, v45
	v_mfma_f32_16x16x16_f16 v[130:133], v[136:137], v[124:125], v[132:135]
	v_cvt_pk_f16_f32 v36, v28, v29
	v_cvt_pk_f16_f32 v41, v22, v23
	;; [unrolled: 1-line block ×4, first 2 shown]
	s_nop 3
	v_cvt_pk_f16_f32 v124, v130, v131
	v_cvt_pk_f16_f32 v125, v132, v133
	s_barrier
	s_cbranch_scc0 .LBB24_38
; %bb.35:                               ;   in Loop: Header=BB24_34 Depth=2
	v_mov_b32_e32 v18, v127
	v_mov_b32_e32 v19, v126
	s_ashr_i32 s9, s8, 31
	s_and_saveexec_b64 s[12:13], s[4:5]
	s_cbranch_execnz .LBB24_33
	s_branch .LBB24_34
.LBB24_36:                              ;   in Loop: Header=BB24_12 Depth=1
	s_cbranch_execz .LBB24_11
	s_branch .LBB24_129
.LBB24_37:                              ;   in Loop: Header=BB24_12 Depth=1
	v_mov_b32_e32 v126, 0xfeffffff
	v_mov_b32_e32 v127, 0
	;; [unrolled: 1-line block ×18, first 2 shown]
.LBB24_38:                              ;   in Loop: Header=BB24_12 Depth=1
	s_lshl_b32 s8, s82, 6
	s_ashr_i32 s9, s8, 31
	s_and_saveexec_b64 s[12:13], s[4:5]
	s_cbranch_execz .LBB24_40
; %bb.39:                               ;   in Loop: Header=BB24_12 Depth=1
	v_or_b32_e32 v18, s53, v89
	v_mul_hi_u32 v19, s34, v18
	v_add_u32_e32 v19, v18, v19
	v_lshrrev_b32_e32 v19, s35, v19
	s_lshl_b64 s[82:83], s[8:9], 1
	v_mul_lo_u32 v19, v19, s36
	v_readlane_b32 s84, v200, 19
	s_add_u32 s82, s76, s82
	v_sub_u32_e32 v18, v18, v19
	v_readlane_b32 s85, v200, 20
	s_addc_u32 s83, s77, s83
	v_mad_i64_i32 v[18:19], s[84:85], v18, s84, 0
	v_lshl_add_u64 v[18:19], v[18:19], 1, s[82:83]
	v_lshlrev_b32_e32 v52, 1, v48
	v_lshl_add_u64 v[18:19], v[18:19], 0, v[52:53]
	global_load_dword v18, v[18:19], off
	s_waitcnt vmcnt(0)
	ds_write_b32 v91, v18 offset:17408
.LBB24_40:                              ;   in Loop: Header=BB24_12 Depth=1
	s_or_b64 exec, exec, s[12:13]
	s_mul_hi_i32 s13, s8, s38
	s_mul_i32 s12, s8, s38
	s_lshl_b64 s[12:13], s[12:13], 2
	s_add_u32 s12, s63, s12
	s_addc_u32 s13, s64, s13
	v_lshlrev_b32_e32 v52, 2, v50
	v_lshl_add_u64 v[20:21], v[58:59], 2, s[12:13]
	v_lshl_add_u64 v[18:19], v[56:57], 2, s[12:13]
	;; [unrolled: 1-line block ×8, first 2 shown]
	global_load_dwordx4 v[18:21], v[18:19], off
	s_mul_hi_i32 s9, s8, s14
	s_mul_i32 s8, s8, s14
	s_lshl_b64 s[8:9], s[8:9], 2
	s_add_u32 s8, s44, s8
	s_addc_u32 s9, s62, s9
	s_cmp_lg_u64 s[74:75], 0
	s_waitcnt vmcnt(0)
	ds_write_b128 v93, v[18:21]
	global_load_dwordx4 v[18:21], v[22:23], off
	s_waitcnt vmcnt(0)
	ds_write_b128 v167, v[18:21]
	global_load_dwordx4 v[18:21], v[24:25], off
	;; [unrolled: 3-line block ×3, first 2 shown]
	s_waitcnt vmcnt(0)
	ds_write_b128 v169, v[18:21]
	s_waitcnt lgkmcnt(0)
	s_barrier
	ds_read2_b64 v[18:21], v95 offset1:4
	s_waitcnt lgkmcnt(0)
	v_mfma_f32_16x16x16_f16 v[22:25], v[18:19], v[14:15], 0
	v_mfma_f32_16x16x16_f16 v[14:17], v[20:21], v[16:17], v[22:25]
	ds_read2_b64 v[18:21], v95 offset0:8 offset1:12
	s_waitcnt lgkmcnt(0)
	v_mfma_f32_16x16x16_f16 v[14:17], v[18:19], v[10:11], v[14:17]
	v_mfma_f32_16x16x16_f16 v[10:13], v[20:21], v[12:13], v[14:17]
	s_nop 6
	ds_read2_b64 v[14:17], v95 offset0:16 offset1:20
	s_waitcnt lgkmcnt(0)
	v_mfma_f32_16x16x16_f16 v[10:13], v[14:15], v[6:7], v[10:13]
	v_mfma_f32_16x16x16_f16 v[6:9], v[16:17], v[8:9], v[10:13]
	s_nop 6
	ds_read2_b64 v[10:13], v95 offset0:24 offset1:28
	s_waitcnt lgkmcnt(0)
	v_mfma_f32_16x16x16_f16 v[6:9], v[10:11], v[2:3], v[6:9]
	s_barrier
	v_mfma_f32_16x16x16_f16 v[2:5], v[12:13], v[4:5], v[6:9]
	s_nop 5
	v_add_u32_e32 v6, 0x4400, v97
	ds_read2_b32 v[6:7], v6 offset1:1
	s_waitcnt lgkmcnt(0)
	v_cvt_f32_f16_e32 v8, v6
	v_cvt_f32_f16_sdwa v6, v6 dst_sel:DWORD dst_unused:UNUSED_PAD src0_sel:WORD_1
	v_add_f32_e32 v2, v2, v8
	v_add_f32_e32 v3, v3, v6
	v_cvt_f32_f16_e32 v6, v7
	v_cvt_f32_f16_sdwa v7, v7 dst_sel:DWORD dst_unused:UNUSED_PAD src0_sel:WORD_1
	v_add_f32_e32 v4, v4, v6
	v_add_f32_e32 v5, v5, v7
	;; [unrolled: 1-line block ×4, first 2 shown]
	v_max3_f32 v6, v126, v6, v7
	v_add_f32_e32 v7, 0x40051340, v4
	v_add_f32_e32 v8, 0x40051340, v5
	v_max3_f32 v6, v6, v7, v8
	v_and_b32_e32 v7, 64, v187
	v_add_u32_e32 v7, 64, v7
	v_xor_b32_e32 v8, 32, v187
	v_cmp_lt_i32_e32 vcc, v8, v7
	s_nop 1
	v_cndmask_b32_e32 v8, v187, v8, vcc
	v_lshlrev_b32_e32 v22, 2, v8
	ds_bpermute_b32 v8, v22, v6
	s_waitcnt lgkmcnt(0)
	v_max_f32_e32 v8, v8, v8
	v_max_f32_e32 v6, v6, v8
	v_xor_b32_e32 v8, 16, v187
	v_cmp_lt_i32_e32 vcc, v8, v7
	s_nop 1
	v_cndmask_b32_e32 v7, v187, v8, vcc
	v_lshlrev_b32_e32 v23, 2, v7
	ds_bpermute_b32 v7, v23, v6
	s_waitcnt lgkmcnt(0)
	v_max_f32_e32 v7, v7, v7
	v_max_f32_e32 v20, v6, v7
	v_sub_f32_e32 v2, v2, v20
	v_mul_f32_e32 v6, 0x3fb8aa3b, v2
	v_fma_f32 v7, v2, s45, -v6
	v_rndne_f32_e32 v8, v6
	v_fmac_f32_e32 v7, 0x32a5705f, v2
	v_sub_f32_e32 v6, v6, v8
	v_add_f32_e32 v6, v6, v7
	v_exp_f32_e32 v6, v6
	v_cvt_i32_f32_e32 v7, v8
	v_cmp_ngt_f32_e32 vcc, s67, v2
	v_ldexp_f32 v6, v6, v7
	s_nop 0
	v_cndmask_b32_e32 v6, 0, v6, vcc
	v_cmp_nlt_f32_e32 vcc, s66, v2
	v_sub_f32_e32 v2, v3, v20
	v_mul_f32_e32 v3, 0x3fb8aa3b, v2
	v_cndmask_b32_e32 v18, v188, v6, vcc
	v_fma_f32 v6, v2, s45, -v3
	v_rndne_f32_e32 v7, v3
	v_fmac_f32_e32 v6, 0x32a5705f, v2
	v_sub_f32_e32 v3, v3, v7
	v_add_f32_e32 v3, v3, v6
	v_exp_f32_e32 v3, v3
	v_cvt_i32_f32_e32 v6, v7
	v_cmp_ngt_f32_e32 vcc, s67, v2
	v_ldexp_f32 v3, v3, v6
	s_nop 0
	v_cndmask_b32_e32 v3, 0, v3, vcc
	v_cmp_nlt_f32_e32 vcc, s66, v2
	s_nop 1
	v_cndmask_b32_e32 v26, v188, v3, vcc
	v_sub_f32_e32 v3, v4, v20
	v_mul_f32_e32 v4, 0x3fb8aa3b, v3
	v_fma_f32 v6, v3, s45, -v4
	v_rndne_f32_e32 v7, v4
	v_fmac_f32_e32 v6, 0x32a5705f, v3
	v_sub_f32_e32 v4, v4, v7
	v_add_f32_e32 v4, v4, v6
	v_exp_f32_e32 v4, v4
	v_cvt_i32_f32_e32 v6, v7
	v_cmp_ngt_f32_e32 vcc, s67, v3
	v_add_f32_e32 v2, v18, v26
	v_cvt_pk_f16_f32 v18, v18, v26
	v_ldexp_f32 v4, v4, v6
	v_cndmask_b32_e32 v4, 0, v4, vcc
	v_cmp_nlt_f32_e32 vcc, s66, v3
	v_sub_f32_e32 v3, v5, v20
	s_nop 0
	v_cndmask_b32_e32 v19, v188, v4, vcc
	v_mul_f32_e32 v4, 0x3fb8aa3b, v3
	v_fma_f32 v5, v3, s45, -v4
	v_rndne_f32_e32 v6, v4
	v_fmac_f32_e32 v5, 0x32a5705f, v3
	v_sub_f32_e32 v4, v4, v6
	v_add_f32_e32 v4, v4, v5
	v_exp_f32_e32 v4, v4
	v_cvt_i32_f32_e32 v5, v6
	v_cmp_ngt_f32_e32 vcc, s67, v3
	v_add_f32_e32 v2, v19, v2
	v_ldexp_f32 v4, v4, v5
	v_cndmask_b32_e32 v4, 0, v4, vcc
	v_cmp_nlt_f32_e32 vcc, s66, v3
	s_nop 1
	v_cndmask_b32_e32 v29, v188, v4, vcc
	v_add_f32_e32 v21, v29, v2
	v_sub_f32_e32 v2, v126, v20
	v_mul_f32_e32 v3, 0x3fb8aa3b, v2
	v_fma_f32 v4, v2, s45, -v3
	v_rndne_f32_e32 v5, v3
	v_fmac_f32_e32 v4, 0x32a5705f, v2
	v_sub_f32_e32 v3, v3, v5
	v_add_f32_e32 v3, v3, v4
	v_exp_f32_e32 v3, v3
	v_cvt_i32_f32_e32 v4, v5
	v_cmp_ngt_f32_e32 vcc, s67, v2
	v_cvt_pk_f16_f32 v19, v19, v29
	v_ldexp_f32 v3, v3, v4
	v_cndmask_b32_e32 v3, 0, v3, vcc
	v_cmp_nlt_f32_e32 vcc, s66, v2
	v_lshl_add_u64 v[4:5], v[66:67], 2, s[8:9]
	s_nop 0
	v_cndmask_b32_e32 v3, v188, v3, vcc
	v_cmp_le_f32_e32 vcc, s33, v2
	s_nop 1
	v_cndmask_b32_e32 v2, 0, v3, vcc
	v_fmac_f32_e32 v21, v127, v2
	v_cvt_f16_f32_e32 v2, v2
	v_mul_u32_u24_e32 v2, 0x10001, v2
	v_pk_mul_f16 v28, v32, v2
	v_pk_mul_f16 v27, v27, v2
	;; [unrolled: 1-line block ×16, first 2 shown]
	v_lshl_add_u64 v[2:3], v[64:65], 2, s[8:9]
	v_lshl_add_u64 v[30:31], v[4:5], 0, v[52:53]
	;; [unrolled: 1-line block ×7, first 2 shown]
	global_load_dwordx4 v[2:5], v[2:3], off
	v_cvt_f32_f16_e32 v40, v11
	v_cvt_f32_f16_sdwa v41, v11 dst_sel:DWORD dst_unused:UNUSED_PAD src0_sel:WORD_1
	v_cvt_f32_f16_e32 v42, v10
	v_cvt_f32_f16_sdwa v43, v10 dst_sel:DWORD dst_unused:UNUSED_PAD src0_sel:WORD_1
	v_cvt_f32_f16_e32 v44, v12
	v_cvt_f32_f16_sdwa v45, v12 dst_sel:DWORD dst_unused:UNUSED_PAD src0_sel:WORD_1
	v_cvt_f32_f16_e32 v122, v15
	v_cvt_f32_f16_sdwa v123, v15 dst_sel:DWORD dst_unused:UNUSED_PAD src0_sel:WORD_1
	v_cvt_f32_f16_e32 v124, v14
	v_cvt_f32_f16_sdwa v125, v14 dst_sel:DWORD dst_unused:UNUSED_PAD src0_sel:WORD_1
	s_cselect_b64 s[8:9], -1, 0
	s_and_b64 s[12:13], s[0:1], s[8:9]
	s_waitcnt vmcnt(0)
	ds_write_b128 v93, v[2:5]
	global_load_dwordx4 v[2:5], v[30:31], off
	s_waitcnt vmcnt(0)
	ds_write_b128 v167, v[2:5]
	global_load_dwordx4 v[2:5], v[32:33], off
	;; [unrolled: 3-line block ×3, first 2 shown]
	s_waitcnt vmcnt(0)
	ds_write_b128 v169, v[2:5]
	s_waitcnt lgkmcnt(0)
	s_barrier
	ds_read_u16 v2, v99 offset:272
	ds_read_u16 v3, v99 offset:544
	ds_read_u16 v4, v103
	ds_read_u16 v29, v103 offset:32
	v_cvt_f32_f16_sdwa v5, v27 dst_sel:DWORD dst_unused:UNUSED_PAD src0_sel:WORD_1
	s_waitcnt lgkmcnt(1)
	v_perm_b32 v31, v4, v3, s86
	ds_read_u16 v3, v99
	ds_read_u16 v32, v99 offset:32
	v_cvt_f32_f16_e32 v4, v27
	s_waitcnt lgkmcnt(1)
	v_perm_b32 v30, v2, v3, s86
	v_cvt_f32_f16_e32 v2, v28
	v_cvt_f32_f16_sdwa v3, v28 dst_sel:DWORD dst_unused:UNUSED_PAD src0_sel:WORD_1
	v_cvt_f32_f16_e32 v28, v7
	s_nop 0
	v_mfma_f32_16x16x16_f16 v[2:5], v[30:31], v[18:19], v[2:5]
	v_cvt_f32_f16_e32 v30, v6
	v_cvt_f32_f16_sdwa v31, v6 dst_sel:DWORD dst_unused:UNUSED_PAD src0_sel:WORD_1
	s_nop 5
	v_cvt_f16_f32_e32 v4, v4
	v_cvt_f16_f32_e32 v5, v5
	;; [unrolled: 1-line block ×4, first 2 shown]
	v_perm_b32 v26, v5, v4, s86
	ds_read_u16 v4, v99 offset:304
	ds_read_u16 v5, v99 offset:576
	v_perm_b32 v33, v34, v33, s86
	s_waitcnt lgkmcnt(1)
	v_perm_b32 v4, v4, v32, s86
	s_waitcnt lgkmcnt(0)
	v_perm_b32 v5, v29, v5, s86
	v_cvt_f32_f16_sdwa v29, v7 dst_sel:DWORD dst_unused:UNUSED_PAD src0_sel:WORD_1
	s_nop 1
	v_mfma_f32_16x16x16_f16 v[4:7], v[4:5], v[18:19], v[28:31]
	s_nop 2
	v_cvt_f32_f16_e32 v30, v8
	v_cvt_f32_f16_sdwa v31, v8 dst_sel:DWORD dst_unused:UNUSED_PAD src0_sel:WORD_1
	s_nop 2
	v_cvt_f16_f32_e32 v6, v6
	v_cvt_f16_f32_e32 v7, v7
	;; [unrolled: 1-line block ×4, first 2 shown]
	v_perm_b32 v27, v7, v6, s86
	ds_read_u16 v6, v99 offset:64
	ds_read_u16 v28, v99 offset:336
	;; [unrolled: 1-line block ×4, first 2 shown]
	v_perm_b32 v35, v36, v35, s86
	s_waitcnt lgkmcnt(2)
	v_perm_b32 v6, v28, v6, s86
	v_cvt_f32_f16_e32 v28, v9
	s_waitcnt lgkmcnt(0)
	v_perm_b32 v7, v29, v7, s86
	v_cvt_f32_f16_sdwa v29, v9 dst_sel:DWORD dst_unused:UNUSED_PAD src0_sel:WORD_1
	s_nop 1
	v_mfma_f32_16x16x16_f16 v[6:9], v[6:7], v[18:19], v[28:31]
	s_nop 7
	v_cvt_f16_f32_e32 v8, v8
	v_cvt_f16_f32_e32 v9, v9
	v_cvt_f16_f32_e32 v37, v6
	v_cvt_f16_f32_e32 v38, v7
	v_perm_b32 v28, v9, v8, s86
	ds_read_u16 v8, v99 offset:96
	ds_read_u16 v29, v99 offset:368
	;; [unrolled: 1-line block ×4, first 2 shown]
	v_perm_b32 v37, v38, v37, s86
	s_waitcnt lgkmcnt(2)
	v_perm_b32 v8, v29, v8, s86
	s_waitcnt lgkmcnt(0)
	v_perm_b32 v9, v30, v9, s86
	s_nop 1
	v_mfma_f32_16x16x16_f16 v[8:11], v[8:9], v[18:19], v[40:43]
	s_nop 2
	v_cvt_f32_f16_e32 v42, v13
	v_cvt_f32_f16_sdwa v43, v13 dst_sel:DWORD dst_unused:UNUSED_PAD src0_sel:WORD_1
	s_nop 2
	v_cvt_f16_f32_e32 v10, v10
	v_cvt_f16_f32_e32 v11, v11
	;; [unrolled: 1-line block ×4, first 2 shown]
	v_perm_b32 v29, v11, v10, s86
	ds_read_u16 v10, v99 offset:128
	ds_read_u16 v30, v99 offset:400
	;; [unrolled: 1-line block ×4, first 2 shown]
	v_perm_b32 v39, v40, v39, s86
	s_waitcnt lgkmcnt(2)
	v_perm_b32 v10, v30, v10, s86
	s_waitcnt lgkmcnt(0)
	v_perm_b32 v11, v31, v11, s86
	s_nop 1
	v_mfma_f32_16x16x16_f16 v[10:13], v[10:11], v[18:19], v[42:45]
	s_nop 7
	v_cvt_f16_f32_e32 v12, v12
	v_cvt_f16_f32_e32 v13, v13
	v_cvt_f16_f32_e32 v41, v10
	v_cvt_f16_f32_e32 v42, v11
	v_perm_b32 v30, v13, v12, s86
	ds_read_u16 v12, v99 offset:160
	ds_read_u16 v31, v99 offset:432
	;; [unrolled: 1-line block ×4, first 2 shown]
	v_perm_b32 v41, v42, v41, s86
	s_waitcnt lgkmcnt(2)
	v_perm_b32 v12, v31, v12, s86
	s_waitcnt lgkmcnt(0)
	v_perm_b32 v13, v32, v13, s86
	s_nop 1
	v_mfma_f32_16x16x16_f16 v[12:15], v[12:13], v[18:19], v[122:125]
	s_nop 2
	v_cvt_f32_f16_e32 v122, v17
	v_cvt_f32_f16_sdwa v123, v17 dst_sel:DWORD dst_unused:UNUSED_PAD src0_sel:WORD_1
	v_cvt_f32_f16_e32 v124, v16
	s_nop 1
	v_cvt_f16_f32_e32 v14, v14
	v_cvt_f16_f32_e32 v15, v15
	v_cvt_f32_f16_sdwa v125, v16 dst_sel:DWORD dst_unused:UNUSED_PAD src0_sel:WORD_1
	v_cvt_f16_f32_e32 v43, v12
	v_cvt_f16_f32_e32 v44, v13
	v_perm_b32 v31, v15, v14, s86
	ds_read_u16 v14, v99 offset:192
	ds_read_u16 v32, v99 offset:464
	ds_read_u16 v15, v99 offset:736
	ds_read_u16 v45, v103 offset:192
	s_waitcnt lgkmcnt(2)
	v_perm_b32 v14, v32, v14, s86
	s_waitcnt lgkmcnt(0)
	v_perm_b32 v15, v45, v15, s86
	s_nop 1
	v_mfma_f32_16x16x16_f16 v[14:17], v[14:15], v[18:19], v[122:125]
	s_nop 2
	v_cvt_f32_f16_e32 v124, v24
	v_cvt_f32_f16_sdwa v125, v24 dst_sel:DWORD dst_unused:UNUSED_PAD src0_sel:WORD_1
	s_nop 2
	v_cvt_f16_f32_e32 v16, v16
	v_cvt_f16_f32_e32 v17, v17
	;; [unrolled: 1-line block ×4, first 2 shown]
	v_perm_b32 v32, v17, v16, s86
	ds_read_u16 v16, v99 offset:224
	ds_read_u16 v122, v99 offset:496
	;; [unrolled: 1-line block ×4, first 2 shown]
	s_waitcnt lgkmcnt(0)
	s_barrier
	v_perm_b32 v16, v122, v16, s86
	v_cvt_f32_f16_e32 v122, v25
	v_perm_b32 v17, v123, v17, s86
	v_cvt_f32_f16_sdwa v123, v25 dst_sel:DWORD dst_unused:UNUSED_PAD src0_sel:WORD_1
	s_nop 1
	v_mfma_f32_16x16x16_f16 v[16:19], v[16:17], v[18:19], v[122:125]
	s_nop 7
	v_cvt_f16_f32_e32 v18, v18
	v_cvt_f16_f32_e32 v19, v19
	v_cvt_f16_f32_e32 v24, v16
	v_cvt_f16_f32_e32 v25, v17
	v_perm_b32 v18, v19, v18, s86
	ds_bpermute_b32 v19, v22, v21
	s_waitcnt lgkmcnt(0)
	v_add_f32_e32 v19, v21, v19
	ds_bpermute_b32 v21, v23, v19
	s_waitcnt lgkmcnt(0)
	v_add_f32_e32 v21, v19, v21
	v_perm_b32 v19, v25, v24, s86
	v_perm_b32 v24, v52, v45, s86
	;; [unrolled: 1-line block ×3, first 2 shown]
	s_and_saveexec_b64 s[8:9], s[12:13]
	s_cbranch_execz .LBB24_42
; %bb.41:                               ;   in Loop: Header=BB24_12 Depth=1
	v_cvt_pk_f16_f32 v3, v2, v3
	v_lshlrev_b32_e32 v2, 2, v98
	v_cvt_pk_f16_f32 v4, v4, v5
	v_cvt_pk_f16_f32 v5, v6, v7
	;; [unrolled: 1-line block ×3, first 2 shown]
	global_load_dword v11, v2, s[74:75]
	v_cvt_pk_f16_f32 v6, v8, v9
	v_cvt_pk_f16_f32 v8, v12, v13
	v_max_f32_e32 v12, v20, v20
	v_cvt_pk_f16_f32 v9, v14, v15
	v_cvt_pk_f16_f32 v10, v16, v17
	s_waitcnt vmcnt(0)
	v_max_f32_e32 v2, v11, v11
	v_max_f32_e32 v2, v12, v2
	v_sub_f32_e32 v12, v20, v2
	v_mul_f32_e32 v13, 0x3fb8aa3b, v12
	v_fma_f32 v14, v12, s45, -v13
	v_rndne_f32_e32 v15, v13
	v_fmac_f32_e32 v14, 0x32a5705f, v12
	v_sub_f32_e32 v13, v13, v15
	v_add_f32_e32 v13, v13, v14
	v_exp_f32_e32 v13, v13
	v_cvt_i32_f32_e32 v14, v15
	v_cmp_ngt_f32_e32 vcc, s67, v12
	v_sub_f32_e32 v11, v11, v2
	v_ldexp_f32 v13, v13, v14
	v_cndmask_b32_e32 v13, 0, v13, vcc
	v_cmp_nlt_f32_e32 vcc, s66, v12
	s_nop 1
	v_cndmask_b32_e32 v13, v188, v13, vcc
	v_cmp_le_f32_e32 vcc, s33, v12
	s_nop 1
	v_cndmask_b32_e32 v12, 0, v13, vcc
	v_cvt_f16_f32_e32 v13, v12
	v_cmp_ngt_f32_e32 vcc, s67, v11
	v_mul_u32_u24_e32 v13, 0x10001, v13
	v_pk_mul_f16 v33, v3, v13
	v_mul_f32_e32 v3, 0x3fb8aa3b, v11
	v_pk_mul_f16 v35, v4, v13
	v_pk_mul_f16 v37, v5, v13
	v_fma_f32 v4, v11, s45, -v3
	v_rndne_f32_e32 v5, v3
	v_fmac_f32_e32 v4, 0x32a5705f, v11
	v_sub_f32_e32 v3, v3, v5
	v_add_f32_e32 v3, v3, v4
	v_exp_f32_e32 v3, v3
	v_cvt_i32_f32_e32 v4, v5
	v_pk_mul_f16 v26, v26, v13
	v_pk_mul_f16 v27, v27, v13
	;; [unrolled: 1-line block ×3, first 2 shown]
	v_ldexp_f32 v3, v3, v4
	v_cndmask_b32_e32 v3, 0, v3, vcc
	v_cmp_nlt_f32_e32 vcc, s66, v11
	v_pk_mul_f16 v39, v6, v13
	v_pk_mul_f16 v29, v29, v13
	v_cndmask_b32_e32 v3, v188, v3, vcc
	v_fmac_f32_e32 v3, v21, v12
	v_pk_mul_f16 v41, v7, v13
	v_pk_mul_f16 v30, v30, v13
	;; [unrolled: 1-line block ×8, first 2 shown]
	v_mov_b64_e32 v[20:21], v[2:3]
.LBB24_42:                              ;   in Loop: Header=BB24_12 Depth=1
	s_or_b64 exec, exec, s[8:9]
	s_and_saveexec_b64 s[8:9], s[6:7]
; %bb.43:                               ;   in Loop: Header=BB24_12 Depth=1
	v_add_u32_e32 v2, 0, v144
	ds_write2_b32 v2, v20, v21 offset0:64 offset1:65
; %bb.44:                               ;   in Loop: Header=BB24_12 Depth=1
	s_or_b64 exec, exec, s[8:9]
	s_waitcnt lgkmcnt(0)
	s_barrier
	s_and_saveexec_b64 s[8:9], s[10:11]
	s_xor_b64 s[8:9], exec, s[8:9]
	s_cbranch_execz .LBB24_46
; %bb.45:                               ;   in Loop: Header=BB24_12 Depth=1
	s_barrier
                                        ; implicit-def: $vgpr22
                                        ; implicit-def: $vgpr23
.LBB24_46:                              ;   in Loop: Header=BB24_12 Depth=1
	s_andn2_saveexec_b64 s[8:9], s[8:9]
	s_cbranch_execz .LBB24_50
; %bb.47:                               ;   in Loop: Header=BB24_12 Depth=1
	v_add_u32_e32 v3, 0, v144
	ds_read_b64 v[4:5], v3 offset:256
	s_waitcnt lgkmcnt(0)
	s_barrier
	ds_bpermute_b32 v2, v22, v4
	v_max_f32_e32 v6, v4, v4
	s_waitcnt lgkmcnt(0)
	v_max_f32_e32 v2, v2, v2
	v_max_f32_e32 v2, v6, v2
	ds_bpermute_b32 v6, v23, v2
	s_waitcnt lgkmcnt(0)
	v_max_f32_e32 v6, v6, v6
	v_max_f32_e32 v2, v2, v6
	v_sub_f32_e32 v4, v4, v2
	v_mul_f32_e32 v6, 0x3fb8aa3b, v4
	v_fma_f32 v7, v4, s45, -v6
	v_rndne_f32_e32 v8, v6
	v_fmac_f32_e32 v7, 0x32a5705f, v4
	v_sub_f32_e32 v6, v6, v8
	v_add_f32_e32 v6, v6, v7
	v_cvt_i32_f32_e32 v8, v8
	v_exp_f32_e32 v6, v6
	v_cmp_ngt_f32_e32 vcc, s67, v4
	v_ldexp_f32 v6, v6, v8
	s_nop 0
	v_cndmask_b32_e32 v6, 0, v6, vcc
	v_cmp_nlt_f32_e32 vcc, s66, v4
	s_nop 1
	v_cndmask_b32_e32 v4, v188, v6, vcc
	v_mul_f32_e32 v6, v5, v4
	ds_bpermute_b32 v6, v22, v6
	s_waitcnt lgkmcnt(0)
	v_fmac_f32_e32 v6, v5, v4
	ds_bpermute_b32 v5, v23, v6
	s_waitcnt lgkmcnt(0)
	v_add_f32_e32 v5, v6, v5
	ds_write_b64 v3, v[4:5] offset:256
	s_and_saveexec_b64 s[12:13], s[6:7]
	s_cbranch_execz .LBB24_49
; %bb.48:                               ;   in Loop: Header=BB24_12 Depth=1
	v_mov_b32_e32 v3, v5
	global_store_dwordx2 v[54:55], v[2:3], off
.LBB24_49:                              ;   in Loop: Header=BB24_12 Depth=1
	s_or_b64 exec, exec, s[12:13]
.LBB24_50:                              ;   in Loop: Header=BB24_12 Depth=1
	s_or_b64 exec, exec, s[8:9]
	v_add_u32_e32 v2, v145, v146
	ds_write2_b32 v2, v33, v26 offset1:1
	ds_write2_b32 v2, v35, v27 offset0:8 offset1:9
	ds_write2_b32 v2, v37, v28 offset0:16 offset1:17
	;; [unrolled: 1-line block ×7, first 2 shown]
	s_waitcnt lgkmcnt(0)
	s_barrier
	s_and_saveexec_b64 s[82:83], s[0:1]
	s_cbranch_execz .LBB24_128
; %bb.51:                               ;   in Loop: Header=BB24_12 Depth=1
	v_add_u32_e32 v3, s53, v174
	v_or_b32_e32 v2, s2, v102
	v_cmp_gt_i32_e64 s[8:9], s36, v3
	v_cmp_gt_i32_e32 vcc, s3, v2
	s_and_b64 s[12:13], s[8:9], vcc
	v_mov_b32_e32 v2, 0x47
	s_and_saveexec_b64 s[8:9], s[12:13]
	s_cbranch_execz .LBB24_53
; %bb.52:                               ;   in Loop: Header=BB24_12 Depth=1
	v_mad_u64_u32 v[2:3], s[12:13], v3, s37, v[102:103]
	v_add_u32_e32 v3, 0, v147
	v_add_u32_e32 v10, v143, v147
	ds_read2st64_b32 v[4:5], v3 offset0:1 offset1:18
	ds_read2st64_b32 v[6:7], v10 offset1:17
	ds_read2st64_b32 v[8:9], v3 offset0:35 offset1:52
	ds_read2st64_b32 v[10:11], v10 offset0:34 offset1:51
	v_lshl_add_u32 v2, v2, 6, v46
	v_ashrrev_i32_e32 v3, 31, v2
	s_waitcnt lgkmcnt(2)
	v_cvt_f32_f16_e32 v12, v6
	v_cvt_f32_f16_sdwa v13, v6 dst_sel:DWORD dst_unused:UNUSED_PAD src0_sel:WORD_1
	v_cvt_f32_f16_e32 v6, v7
	v_cvt_f32_f16_sdwa v7, v7 dst_sel:DWORD dst_unused:UNUSED_PAD src0_sel:WORD_1
	v_lshl_add_u64 v[2:3], v[2:3], 3, s[72:73]
	v_pk_fma_f32 v[12:13], v[4:5], v[12:13], 0 op_sel_hi:[0,1,0]
	v_mov_b32_e32 v4, v5
	v_pk_fma_f32 v[4:5], v[4:5], v[6:7], v[12:13] op_sel_hi:[0,1,1]
	s_waitcnt lgkmcnt(0)
	v_cvt_f32_f16_e32 v6, v10
	v_cvt_f32_f16_sdwa v7, v10 dst_sel:DWORD dst_unused:UNUSED_PAD src0_sel:WORD_1
	v_pk_fma_f32 v[4:5], v[8:9], v[6:7], v[4:5] op_sel_hi:[0,1,1]
	v_cvt_f32_f16_e32 v6, v11
	v_cvt_f32_f16_sdwa v7, v11 dst_sel:DWORD dst_unused:UNUSED_PAD src0_sel:WORD_1
	v_mov_b32_e32 v8, v9
	v_pk_fma_f32 v[4:5], v[8:9], v[6:7], v[4:5] op_sel_hi:[0,1,1]
	global_store_dwordx2 v[2:3], v[4:5], off
	v_mov_b32_e32 v2, 0
.LBB24_53:                              ;   in Loop: Header=BB24_12 Depth=1
	s_or_b64 exec, exec, s[8:9]
	s_movk_i32 s8, 0x47
	v_cmp_gt_i32_e64 s[8:9], s8, v2
	s_mov_b64 s[12:13], -1
	s_and_saveexec_b64 s[84:85], s[8:9]
; %bb.54:                               ;   in Loop: Header=BB24_12 Depth=1
	v_cmp_eq_u32_e64 s[8:9], 0, v2
	s_orn2_b64 s[12:13], s[8:9], exec
; %bb.55:                               ;   in Loop: Header=BB24_12 Depth=1
	s_or_b64 exec, exec, s[84:85]
	s_and_b64 exec, exec, s[12:13]
	s_cbranch_execz .LBB24_128
; %bb.56:                               ;   in Loop: Header=BB24_12 Depth=1
	v_add_u32_e32 v3, s53, v175
	v_or_b32_e32 v2, s2, v74
	v_cmp_gt_i32_e64 s[8:9], s36, v3
	v_cmp_gt_i32_e64 s[12:13], s3, v2
	s_and_b64 s[12:13], s[8:9], s[12:13]
	v_mov_b32_e32 v2, 0x47
	s_and_saveexec_b64 s[8:9], s[12:13]
	s_cbranch_execz .LBB24_58
; %bb.57:                               ;   in Loop: Header=BB24_12 Depth=1
	v_mad_u64_u32 v[2:3], s[12:13], v3, s37, v[74:75]
	v_add_u32_e32 v3, 0, v148
	v_add_u32_e32 v10, v143, v148
	ds_read2st64_b32 v[4:5], v3 offset0:1 offset1:18
	ds_read2st64_b32 v[6:7], v10 offset1:17
	ds_read2st64_b32 v[8:9], v3 offset0:35 offset1:52
	ds_read2st64_b32 v[10:11], v10 offset0:34 offset1:51
	v_lshl_add_u32 v2, v2, 6, v46
	v_ashrrev_i32_e32 v3, 31, v2
	s_waitcnt lgkmcnt(2)
	v_cvt_f32_f16_e32 v12, v6
	v_cvt_f32_f16_sdwa v13, v6 dst_sel:DWORD dst_unused:UNUSED_PAD src0_sel:WORD_1
	v_cvt_f32_f16_e32 v6, v7
	v_cvt_f32_f16_sdwa v7, v7 dst_sel:DWORD dst_unused:UNUSED_PAD src0_sel:WORD_1
	v_lshl_add_u64 v[2:3], v[2:3], 3, s[72:73]
	v_pk_fma_f32 v[12:13], v[4:5], v[12:13], 0 op_sel_hi:[0,1,0]
	v_mov_b32_e32 v4, v5
	v_pk_fma_f32 v[4:5], v[4:5], v[6:7], v[12:13] op_sel_hi:[0,1,1]
	s_waitcnt lgkmcnt(0)
	v_cvt_f32_f16_e32 v6, v10
	v_cvt_f32_f16_sdwa v7, v10 dst_sel:DWORD dst_unused:UNUSED_PAD src0_sel:WORD_1
	v_pk_fma_f32 v[4:5], v[8:9], v[6:7], v[4:5] op_sel_hi:[0,1,1]
	v_cvt_f32_f16_e32 v6, v11
	v_cvt_f32_f16_sdwa v7, v11 dst_sel:DWORD dst_unused:UNUSED_PAD src0_sel:WORD_1
	v_mov_b32_e32 v8, v9
	v_pk_fma_f32 v[4:5], v[8:9], v[6:7], v[4:5] op_sel_hi:[0,1,1]
	global_store_dwordx2 v[2:3], v[4:5], off
	v_mov_b32_e32 v2, 0
.LBB24_58:                              ;   in Loop: Header=BB24_12 Depth=1
	s_or_b64 exec, exec, s[8:9]
	s_movk_i32 s8, 0x47
	v_cmp_gt_i32_e64 s[8:9], s8, v2
	s_mov_b64 s[12:13], -1
	s_and_saveexec_b64 s[84:85], s[8:9]
; %bb.59:                               ;   in Loop: Header=BB24_12 Depth=1
	v_cmp_eq_u32_e64 s[8:9], 0, v2
	s_orn2_b64 s[12:13], s[8:9], exec
; %bb.60:                               ;   in Loop: Header=BB24_12 Depth=1
	s_or_b64 exec, exec, s[84:85]
	s_and_b64 exec, exec, s[12:13]
	s_cbranch_execz .LBB24_128
; %bb.61:                               ;   in Loop: Header=BB24_12 Depth=1
	v_add_u32_e32 v3, s53, v176
	v_or_b32_e32 v2, s2, v76
	v_cmp_gt_i32_e64 s[8:9], s36, v3
	v_cmp_gt_i32_e64 s[12:13], s3, v2
	s_and_b64 s[12:13], s[8:9], s[12:13]
	;; [unrolled: 51-line block ×3, first 2 shown]
	v_mov_b32_e32 v2, 0x47
	s_and_saveexec_b64 s[8:9], s[12:13]
	s_cbranch_execz .LBB24_68
; %bb.67:                               ;   in Loop: Header=BB24_12 Depth=1
	v_mad_u64_u32 v[2:3], s[12:13], v3, s37, v[78:79]
	v_add_u32_e32 v3, 0, v150
	v_add_u32_e32 v10, v143, v150
	ds_read2st64_b32 v[4:5], v3 offset0:1 offset1:18
	ds_read2st64_b32 v[6:7], v10 offset1:17
	ds_read2st64_b32 v[8:9], v3 offset0:35 offset1:52
	ds_read2st64_b32 v[10:11], v10 offset0:34 offset1:51
	v_lshl_add_u32 v2, v2, 6, v46
	v_ashrrev_i32_e32 v3, 31, v2
	s_waitcnt lgkmcnt(2)
	v_cvt_f32_f16_e32 v12, v6
	v_cvt_f32_f16_sdwa v13, v6 dst_sel:DWORD dst_unused:UNUSED_PAD src0_sel:WORD_1
	v_cvt_f32_f16_e32 v6, v7
	v_cvt_f32_f16_sdwa v7, v7 dst_sel:DWORD dst_unused:UNUSED_PAD src0_sel:WORD_1
	v_lshl_add_u64 v[2:3], v[2:3], 3, s[72:73]
	v_pk_fma_f32 v[12:13], v[4:5], v[12:13], 0 op_sel_hi:[0,1,0]
	v_mov_b32_e32 v4, v5
	v_pk_fma_f32 v[4:5], v[4:5], v[6:7], v[12:13] op_sel_hi:[0,1,1]
	s_waitcnt lgkmcnt(0)
	v_cvt_f32_f16_e32 v6, v10
	v_cvt_f32_f16_sdwa v7, v10 dst_sel:DWORD dst_unused:UNUSED_PAD src0_sel:WORD_1
	v_pk_fma_f32 v[4:5], v[8:9], v[6:7], v[4:5] op_sel_hi:[0,1,1]
	v_cvt_f32_f16_e32 v6, v11
	v_cvt_f32_f16_sdwa v7, v11 dst_sel:DWORD dst_unused:UNUSED_PAD src0_sel:WORD_1
	v_mov_b32_e32 v8, v9
	v_pk_fma_f32 v[4:5], v[8:9], v[6:7], v[4:5] op_sel_hi:[0,1,1]
	global_store_dwordx2 v[2:3], v[4:5], off
	v_mov_b32_e32 v2, 0
.LBB24_68:                              ;   in Loop: Header=BB24_12 Depth=1
	s_or_b64 exec, exec, s[8:9]
	s_movk_i32 s8, 0x47
	v_cmp_gt_i32_e64 s[8:9], s8, v2
	s_mov_b64 s[12:13], -1
	s_and_saveexec_b64 s[84:85], s[8:9]
; %bb.69:                               ;   in Loop: Header=BB24_12 Depth=1
	v_cmp_eq_u32_e64 s[8:9], 0, v2
	s_orn2_b64 s[12:13], s[8:9], exec
; %bb.70:                               ;   in Loop: Header=BB24_12 Depth=1
	s_or_b64 exec, exec, s[84:85]
	s_and_b64 exec, exec, s[12:13]
	s_cbranch_execz .LBB24_128
; %bb.71:                               ;   in Loop: Header=BB24_12 Depth=1
	v_add_u32_e32 v3, s53, v151
	v_cmp_gt_i32_e64 s[8:9], s36, v3
	s_and_b64 s[12:13], s[8:9], vcc
	v_mov_b32_e32 v2, 0x47
	s_and_saveexec_b64 s[8:9], s[12:13]
	s_cbranch_execz .LBB24_73
; %bb.72:                               ;   in Loop: Header=BB24_12 Depth=1
	v_mad_u64_u32 v[2:3], s[12:13], v3, s37, v[102:103]
	v_add_u32_e32 v3, 0, v152
	v_add_u32_e32 v10, v143, v152
	ds_read2st64_b32 v[4:5], v3 offset0:1 offset1:18
	ds_read2st64_b32 v[6:7], v10 offset1:17
	ds_read2st64_b32 v[8:9], v3 offset0:35 offset1:52
	ds_read2st64_b32 v[10:11], v10 offset0:34 offset1:51
	v_lshl_add_u32 v2, v2, 6, v46
	v_ashrrev_i32_e32 v3, 31, v2
	s_waitcnt lgkmcnt(2)
	v_cvt_f32_f16_e32 v12, v6
	v_cvt_f32_f16_sdwa v13, v6 dst_sel:DWORD dst_unused:UNUSED_PAD src0_sel:WORD_1
	v_cvt_f32_f16_e32 v6, v7
	v_cvt_f32_f16_sdwa v7, v7 dst_sel:DWORD dst_unused:UNUSED_PAD src0_sel:WORD_1
	v_lshl_add_u64 v[2:3], v[2:3], 3, s[72:73]
	v_pk_fma_f32 v[12:13], v[4:5], v[12:13], 0 op_sel_hi:[0,1,0]
	v_mov_b32_e32 v4, v5
	v_pk_fma_f32 v[4:5], v[4:5], v[6:7], v[12:13] op_sel_hi:[0,1,1]
	s_waitcnt lgkmcnt(0)
	v_cvt_f32_f16_e32 v6, v10
	v_cvt_f32_f16_sdwa v7, v10 dst_sel:DWORD dst_unused:UNUSED_PAD src0_sel:WORD_1
	v_pk_fma_f32 v[4:5], v[8:9], v[6:7], v[4:5] op_sel_hi:[0,1,1]
	v_cvt_f32_f16_e32 v6, v11
	v_cvt_f32_f16_sdwa v7, v11 dst_sel:DWORD dst_unused:UNUSED_PAD src0_sel:WORD_1
	v_mov_b32_e32 v8, v9
	v_pk_fma_f32 v[4:5], v[8:9], v[6:7], v[4:5] op_sel_hi:[0,1,1]
	global_store_dwordx2 v[2:3], v[4:5], off
	v_mov_b32_e32 v2, 0
.LBB24_73:                              ;   in Loop: Header=BB24_12 Depth=1
	s_or_b64 exec, exec, s[8:9]
	s_movk_i32 s8, 0x47
	v_cmp_gt_i32_e64 s[8:9], s8, v2
	s_mov_b64 s[12:13], -1
	s_and_saveexec_b64 s[84:85], s[8:9]
; %bb.74:                               ;   in Loop: Header=BB24_12 Depth=1
	v_cmp_eq_u32_e64 s[8:9], 0, v2
	s_orn2_b64 s[12:13], s[8:9], exec
; %bb.75:                               ;   in Loop: Header=BB24_12 Depth=1
	s_or_b64 exec, exec, s[84:85]
	s_and_b64 exec, exec, s[12:13]
	s_cbranch_execz .LBB24_128
; %bb.76:                               ;   in Loop: Header=BB24_12 Depth=1
	v_add_u32_e32 v3, s53, v178
	v_or_b32_e32 v2, s2, v80
	v_cmp_gt_i32_e64 s[8:9], s36, v3
	v_cmp_gt_i32_e64 s[12:13], s3, v2
	s_and_b64 s[12:13], s[8:9], s[12:13]
	v_mov_b32_e32 v2, 0x47
	s_and_saveexec_b64 s[8:9], s[12:13]
	s_cbranch_execz .LBB24_78
; %bb.77:                               ;   in Loop: Header=BB24_12 Depth=1
	v_mad_u64_u32 v[2:3], s[12:13], v3, s37, v[80:81]
	v_add_u32_e32 v3, 0, v153
	v_add_u32_e32 v10, v143, v153
	ds_read2st64_b32 v[4:5], v3 offset0:1 offset1:18
	ds_read2st64_b32 v[6:7], v10 offset1:17
	ds_read2st64_b32 v[8:9], v3 offset0:35 offset1:52
	ds_read2st64_b32 v[10:11], v10 offset0:34 offset1:51
	v_lshl_add_u32 v2, v2, 6, v46
	v_ashrrev_i32_e32 v3, 31, v2
	s_waitcnt lgkmcnt(2)
	v_cvt_f32_f16_e32 v12, v6
	v_cvt_f32_f16_sdwa v13, v6 dst_sel:DWORD dst_unused:UNUSED_PAD src0_sel:WORD_1
	v_cvt_f32_f16_e32 v6, v7
	v_cvt_f32_f16_sdwa v7, v7 dst_sel:DWORD dst_unused:UNUSED_PAD src0_sel:WORD_1
	v_lshl_add_u64 v[2:3], v[2:3], 3, s[72:73]
	v_pk_fma_f32 v[12:13], v[4:5], v[12:13], 0 op_sel_hi:[0,1,0]
	v_mov_b32_e32 v4, v5
	v_pk_fma_f32 v[4:5], v[4:5], v[6:7], v[12:13] op_sel_hi:[0,1,1]
	s_waitcnt lgkmcnt(0)
	v_cvt_f32_f16_e32 v6, v10
	v_cvt_f32_f16_sdwa v7, v10 dst_sel:DWORD dst_unused:UNUSED_PAD src0_sel:WORD_1
	v_pk_fma_f32 v[4:5], v[8:9], v[6:7], v[4:5] op_sel_hi:[0,1,1]
	v_cvt_f32_f16_e32 v6, v11
	v_cvt_f32_f16_sdwa v7, v11 dst_sel:DWORD dst_unused:UNUSED_PAD src0_sel:WORD_1
	v_mov_b32_e32 v8, v9
	v_pk_fma_f32 v[4:5], v[8:9], v[6:7], v[4:5] op_sel_hi:[0,1,1]
	global_store_dwordx2 v[2:3], v[4:5], off
	v_mov_b32_e32 v2, 0
.LBB24_78:                              ;   in Loop: Header=BB24_12 Depth=1
	s_or_b64 exec, exec, s[8:9]
	s_movk_i32 s8, 0x47
	v_cmp_gt_i32_e64 s[8:9], s8, v2
	s_mov_b64 s[12:13], -1
	s_and_saveexec_b64 s[84:85], s[8:9]
; %bb.79:                               ;   in Loop: Header=BB24_12 Depth=1
	v_cmp_eq_u32_e64 s[8:9], 0, v2
	s_orn2_b64 s[12:13], s[8:9], exec
; %bb.80:                               ;   in Loop: Header=BB24_12 Depth=1
	s_or_b64 exec, exec, s[84:85]
	s_and_b64 exec, exec, s[12:13]
	s_cbranch_execz .LBB24_128
; %bb.81:                               ;   in Loop: Header=BB24_12 Depth=1
	v_add_u32_e32 v3, s53, v179
	v_or_b32_e32 v2, s2, v82
	v_cmp_gt_i32_e64 s[8:9], s36, v3
	v_cmp_gt_i32_e64 s[12:13], s3, v2
	s_and_b64 s[12:13], s[8:9], s[12:13]
	;; [unrolled: 51-line block ×3, first 2 shown]
	v_mov_b32_e32 v2, 0x47
	s_and_saveexec_b64 s[8:9], s[12:13]
	s_cbranch_execz .LBB24_88
; %bb.87:                               ;   in Loop: Header=BB24_12 Depth=1
	v_mad_u64_u32 v[2:3], s[12:13], v3, s37, v[84:85]
	v_add_u32_e32 v3, 0, v155
	v_add_u32_e32 v10, v143, v155
	ds_read2st64_b32 v[4:5], v3 offset0:1 offset1:18
	ds_read2st64_b32 v[6:7], v10 offset1:17
	ds_read2st64_b32 v[8:9], v3 offset0:35 offset1:52
	ds_read2st64_b32 v[10:11], v10 offset0:34 offset1:51
	v_lshl_add_u32 v2, v2, 6, v46
	v_ashrrev_i32_e32 v3, 31, v2
	s_waitcnt lgkmcnt(2)
	v_cvt_f32_f16_e32 v12, v6
	v_cvt_f32_f16_sdwa v13, v6 dst_sel:DWORD dst_unused:UNUSED_PAD src0_sel:WORD_1
	v_cvt_f32_f16_e32 v6, v7
	v_cvt_f32_f16_sdwa v7, v7 dst_sel:DWORD dst_unused:UNUSED_PAD src0_sel:WORD_1
	v_lshl_add_u64 v[2:3], v[2:3], 3, s[72:73]
	v_pk_fma_f32 v[12:13], v[4:5], v[12:13], 0 op_sel_hi:[0,1,0]
	v_mov_b32_e32 v4, v5
	v_pk_fma_f32 v[4:5], v[4:5], v[6:7], v[12:13] op_sel_hi:[0,1,1]
	s_waitcnt lgkmcnt(0)
	v_cvt_f32_f16_e32 v6, v10
	v_cvt_f32_f16_sdwa v7, v10 dst_sel:DWORD dst_unused:UNUSED_PAD src0_sel:WORD_1
	v_pk_fma_f32 v[4:5], v[8:9], v[6:7], v[4:5] op_sel_hi:[0,1,1]
	v_cvt_f32_f16_e32 v6, v11
	v_cvt_f32_f16_sdwa v7, v11 dst_sel:DWORD dst_unused:UNUSED_PAD src0_sel:WORD_1
	v_mov_b32_e32 v8, v9
	v_pk_fma_f32 v[4:5], v[8:9], v[6:7], v[4:5] op_sel_hi:[0,1,1]
	global_store_dwordx2 v[2:3], v[4:5], off
	v_mov_b32_e32 v2, 0
.LBB24_88:                              ;   in Loop: Header=BB24_12 Depth=1
	s_or_b64 exec, exec, s[8:9]
	s_movk_i32 s8, 0x47
	v_cmp_gt_i32_e64 s[8:9], s8, v2
	s_mov_b64 s[12:13], -1
	s_and_saveexec_b64 s[84:85], s[8:9]
; %bb.89:                               ;   in Loop: Header=BB24_12 Depth=1
	v_cmp_eq_u32_e64 s[8:9], 0, v2
	s_orn2_b64 s[12:13], s[8:9], exec
; %bb.90:                               ;   in Loop: Header=BB24_12 Depth=1
	s_or_b64 exec, exec, s[84:85]
	s_and_b64 exec, exec, s[12:13]
	s_cbranch_execz .LBB24_128
; %bb.91:                               ;   in Loop: Header=BB24_12 Depth=1
	v_add_u32_e32 v3, s53, v156
	v_cmp_gt_i32_e64 s[8:9], s36, v3
	s_and_b64 s[12:13], s[8:9], vcc
	v_mov_b32_e32 v2, 0x47
	s_and_saveexec_b64 s[8:9], s[12:13]
	s_cbranch_execz .LBB24_93
; %bb.92:                               ;   in Loop: Header=BB24_12 Depth=1
	v_mad_u64_u32 v[2:3], s[12:13], v3, s37, v[102:103]
	v_add_u32_e32 v3, 0, v157
	v_add_u32_e32 v10, v143, v157
	ds_read2st64_b32 v[4:5], v3 offset0:1 offset1:18
	ds_read2st64_b32 v[6:7], v10 offset1:17
	ds_read2st64_b32 v[8:9], v3 offset0:35 offset1:52
	ds_read2st64_b32 v[10:11], v10 offset0:34 offset1:51
	v_lshl_add_u32 v2, v2, 6, v46
	v_ashrrev_i32_e32 v3, 31, v2
	s_waitcnt lgkmcnt(2)
	v_cvt_f32_f16_e32 v12, v6
	v_cvt_f32_f16_sdwa v13, v6 dst_sel:DWORD dst_unused:UNUSED_PAD src0_sel:WORD_1
	v_cvt_f32_f16_e32 v6, v7
	v_cvt_f32_f16_sdwa v7, v7 dst_sel:DWORD dst_unused:UNUSED_PAD src0_sel:WORD_1
	v_lshl_add_u64 v[2:3], v[2:3], 3, s[72:73]
	v_pk_fma_f32 v[12:13], v[4:5], v[12:13], 0 op_sel_hi:[0,1,0]
	v_mov_b32_e32 v4, v5
	v_pk_fma_f32 v[4:5], v[4:5], v[6:7], v[12:13] op_sel_hi:[0,1,1]
	s_waitcnt lgkmcnt(0)
	v_cvt_f32_f16_e32 v6, v10
	v_cvt_f32_f16_sdwa v7, v10 dst_sel:DWORD dst_unused:UNUSED_PAD src0_sel:WORD_1
	v_pk_fma_f32 v[4:5], v[8:9], v[6:7], v[4:5] op_sel_hi:[0,1,1]
	v_cvt_f32_f16_e32 v6, v11
	v_cvt_f32_f16_sdwa v7, v11 dst_sel:DWORD dst_unused:UNUSED_PAD src0_sel:WORD_1
	v_mov_b32_e32 v8, v9
	v_pk_fma_f32 v[4:5], v[8:9], v[6:7], v[4:5] op_sel_hi:[0,1,1]
	global_store_dwordx2 v[2:3], v[4:5], off
	v_mov_b32_e32 v2, 0
.LBB24_93:                              ;   in Loop: Header=BB24_12 Depth=1
	s_or_b64 exec, exec, s[8:9]
	s_movk_i32 s8, 0x47
	v_cmp_gt_i32_e64 s[8:9], s8, v2
	s_mov_b64 s[12:13], -1
	s_and_saveexec_b64 s[84:85], s[8:9]
; %bb.94:                               ;   in Loop: Header=BB24_12 Depth=1
	v_cmp_eq_u32_e64 s[8:9], 0, v2
	s_orn2_b64 s[12:13], s[8:9], exec
; %bb.95:                               ;   in Loop: Header=BB24_12 Depth=1
	s_or_b64 exec, exec, s[84:85]
	s_and_b64 exec, exec, s[12:13]
	s_cbranch_execz .LBB24_128
; %bb.96:                               ;   in Loop: Header=BB24_12 Depth=1
	v_add_u32_e32 v3, s53, v181
	v_or_b32_e32 v2, s2, v86
	v_cmp_gt_i32_e64 s[8:9], s36, v3
	v_cmp_gt_i32_e64 s[12:13], s3, v2
	s_and_b64 s[12:13], s[8:9], s[12:13]
	v_mov_b32_e32 v2, 0x47
	s_and_saveexec_b64 s[8:9], s[12:13]
	s_cbranch_execz .LBB24_98
; %bb.97:                               ;   in Loop: Header=BB24_12 Depth=1
	v_mad_u64_u32 v[2:3], s[12:13], v3, s37, v[86:87]
	v_add_u32_e32 v3, 0, v158
	v_add_u32_e32 v10, v143, v158
	ds_read2st64_b32 v[4:5], v3 offset0:1 offset1:18
	ds_read2st64_b32 v[6:7], v10 offset1:17
	ds_read2st64_b32 v[8:9], v3 offset0:35 offset1:52
	ds_read2st64_b32 v[10:11], v10 offset0:34 offset1:51
	v_lshl_add_u32 v2, v2, 6, v46
	v_ashrrev_i32_e32 v3, 31, v2
	s_waitcnt lgkmcnt(2)
	v_cvt_f32_f16_e32 v12, v6
	v_cvt_f32_f16_sdwa v13, v6 dst_sel:DWORD dst_unused:UNUSED_PAD src0_sel:WORD_1
	v_cvt_f32_f16_e32 v6, v7
	v_cvt_f32_f16_sdwa v7, v7 dst_sel:DWORD dst_unused:UNUSED_PAD src0_sel:WORD_1
	v_lshl_add_u64 v[2:3], v[2:3], 3, s[72:73]
	v_pk_fma_f32 v[12:13], v[4:5], v[12:13], 0 op_sel_hi:[0,1,0]
	v_mov_b32_e32 v4, v5
	v_pk_fma_f32 v[4:5], v[4:5], v[6:7], v[12:13] op_sel_hi:[0,1,1]
	s_waitcnt lgkmcnt(0)
	v_cvt_f32_f16_e32 v6, v10
	v_cvt_f32_f16_sdwa v7, v10 dst_sel:DWORD dst_unused:UNUSED_PAD src0_sel:WORD_1
	v_pk_fma_f32 v[4:5], v[8:9], v[6:7], v[4:5] op_sel_hi:[0,1,1]
	v_cvt_f32_f16_e32 v6, v11
	v_cvt_f32_f16_sdwa v7, v11 dst_sel:DWORD dst_unused:UNUSED_PAD src0_sel:WORD_1
	v_mov_b32_e32 v8, v9
	v_pk_fma_f32 v[4:5], v[8:9], v[6:7], v[4:5] op_sel_hi:[0,1,1]
	global_store_dwordx2 v[2:3], v[4:5], off
	v_mov_b32_e32 v2, 0
.LBB24_98:                              ;   in Loop: Header=BB24_12 Depth=1
	s_or_b64 exec, exec, s[8:9]
	s_movk_i32 s8, 0x47
	v_cmp_gt_i32_e64 s[8:9], s8, v2
	s_mov_b64 s[12:13], -1
	s_and_saveexec_b64 s[84:85], s[8:9]
; %bb.99:                               ;   in Loop: Header=BB24_12 Depth=1
	v_cmp_eq_u32_e64 s[8:9], 0, v2
	s_orn2_b64 s[12:13], s[8:9], exec
; %bb.100:                              ;   in Loop: Header=BB24_12 Depth=1
	s_or_b64 exec, exec, s[84:85]
	s_and_b64 exec, exec, s[12:13]
	s_cbranch_execz .LBB24_128
; %bb.101:                              ;   in Loop: Header=BB24_12 Depth=1
	v_add_u32_e32 v3, s53, v182
	v_or_b32_e32 v2, s2, v88
	v_cmp_gt_i32_e64 s[8:9], s36, v3
	v_cmp_gt_i32_e64 s[12:13], s3, v2
	s_and_b64 s[12:13], s[8:9], s[12:13]
	v_mov_b32_e32 v2, 0x47
	s_and_saveexec_b64 s[8:9], s[12:13]
	s_cbranch_execz .LBB24_103
; %bb.102:                              ;   in Loop: Header=BB24_12 Depth=1
	v_mad_u64_u32 v[2:3], s[12:13], v3, s37, v[88:89]
	v_add_u32_e32 v3, 0, v159
	v_add_u32_e32 v10, v143, v159
	ds_read2st64_b32 v[4:5], v3 offset0:1 offset1:18
	ds_read2st64_b32 v[6:7], v10 offset1:17
	ds_read2st64_b32 v[8:9], v3 offset0:35 offset1:52
	ds_read2st64_b32 v[10:11], v10 offset0:34 offset1:51
	v_lshl_add_u32 v2, v2, 6, v46
	v_ashrrev_i32_e32 v3, 31, v2
	s_waitcnt lgkmcnt(2)
	v_cvt_f32_f16_e32 v12, v6
	v_cvt_f32_f16_sdwa v13, v6 dst_sel:DWORD dst_unused:UNUSED_PAD src0_sel:WORD_1
	v_cvt_f32_f16_e32 v6, v7
	v_cvt_f32_f16_sdwa v7, v7 dst_sel:DWORD dst_unused:UNUSED_PAD src0_sel:WORD_1
	v_lshl_add_u64 v[2:3], v[2:3], 3, s[72:73]
	v_pk_fma_f32 v[12:13], v[4:5], v[12:13], 0 op_sel_hi:[0,1,0]
	v_mov_b32_e32 v4, v5
	v_pk_fma_f32 v[4:5], v[4:5], v[6:7], v[12:13] op_sel_hi:[0,1,1]
	s_waitcnt lgkmcnt(0)
	v_cvt_f32_f16_e32 v6, v10
	v_cvt_f32_f16_sdwa v7, v10 dst_sel:DWORD dst_unused:UNUSED_PAD src0_sel:WORD_1
	v_pk_fma_f32 v[4:5], v[8:9], v[6:7], v[4:5] op_sel_hi:[0,1,1]
	v_cvt_f32_f16_e32 v6, v11
	v_cvt_f32_f16_sdwa v7, v11 dst_sel:DWORD dst_unused:UNUSED_PAD src0_sel:WORD_1
	v_mov_b32_e32 v8, v9
	v_pk_fma_f32 v[4:5], v[8:9], v[6:7], v[4:5] op_sel_hi:[0,1,1]
	global_store_dwordx2 v[2:3], v[4:5], off
	v_mov_b32_e32 v2, 0
.LBB24_103:                             ;   in Loop: Header=BB24_12 Depth=1
	s_or_b64 exec, exec, s[8:9]
	s_movk_i32 s8, 0x47
	v_cmp_gt_i32_e64 s[8:9], s8, v2
	s_mov_b64 s[12:13], -1
	s_and_saveexec_b64 s[84:85], s[8:9]
; %bb.104:                              ;   in Loop: Header=BB24_12 Depth=1
	v_cmp_eq_u32_e64 s[8:9], 0, v2
	s_orn2_b64 s[12:13], s[8:9], exec
; %bb.105:                              ;   in Loop: Header=BB24_12 Depth=1
	s_or_b64 exec, exec, s[84:85]
	s_and_b64 exec, exec, s[12:13]
	s_cbranch_execz .LBB24_128
; %bb.106:                              ;   in Loop: Header=BB24_12 Depth=1
	v_add_u32_e32 v3, s53, v183
	v_or_b32_e32 v2, s2, v90
	v_cmp_gt_i32_e64 s[8:9], s36, v3
	v_cmp_gt_i32_e64 s[12:13], s3, v2
	s_and_b64 s[12:13], s[8:9], s[12:13]
	v_mov_b32_e32 v2, 0x47
	s_and_saveexec_b64 s[8:9], s[12:13]
	s_cbranch_execz .LBB24_108
; %bb.107:                              ;   in Loop: Header=BB24_12 Depth=1
	v_mad_u64_u32 v[2:3], s[12:13], v3, s37, v[90:91]
	v_add_u32_e32 v3, 0, v160
	v_add_u32_e32 v10, v143, v160
	ds_read2st64_b32 v[4:5], v3 offset0:1 offset1:18
	ds_read2st64_b32 v[6:7], v10 offset1:17
	ds_read2st64_b32 v[8:9], v3 offset0:35 offset1:52
	ds_read2st64_b32 v[10:11], v10 offset0:34 offset1:51
	v_lshl_add_u32 v2, v2, 6, v46
	v_ashrrev_i32_e32 v3, 31, v2
	s_waitcnt lgkmcnt(2)
	v_cvt_f32_f16_e32 v12, v6
	v_cvt_f32_f16_sdwa v13, v6 dst_sel:DWORD dst_unused:UNUSED_PAD src0_sel:WORD_1
	v_cvt_f32_f16_e32 v6, v7
	v_cvt_f32_f16_sdwa v7, v7 dst_sel:DWORD dst_unused:UNUSED_PAD src0_sel:WORD_1
	v_lshl_add_u64 v[2:3], v[2:3], 3, s[72:73]
	v_pk_fma_f32 v[12:13], v[4:5], v[12:13], 0 op_sel_hi:[0,1,0]
	v_mov_b32_e32 v4, v5
	v_pk_fma_f32 v[4:5], v[4:5], v[6:7], v[12:13] op_sel_hi:[0,1,1]
	s_waitcnt lgkmcnt(0)
	v_cvt_f32_f16_e32 v6, v10
	v_cvt_f32_f16_sdwa v7, v10 dst_sel:DWORD dst_unused:UNUSED_PAD src0_sel:WORD_1
	v_pk_fma_f32 v[4:5], v[8:9], v[6:7], v[4:5] op_sel_hi:[0,1,1]
	v_cvt_f32_f16_e32 v6, v11
	v_cvt_f32_f16_sdwa v7, v11 dst_sel:DWORD dst_unused:UNUSED_PAD src0_sel:WORD_1
	v_mov_b32_e32 v8, v9
	v_pk_fma_f32 v[4:5], v[8:9], v[6:7], v[4:5] op_sel_hi:[0,1,1]
	global_store_dwordx2 v[2:3], v[4:5], off
	v_mov_b32_e32 v2, 0
.LBB24_108:                             ;   in Loop: Header=BB24_12 Depth=1
	s_or_b64 exec, exec, s[8:9]
	s_movk_i32 s8, 0x47
	v_cmp_gt_i32_e64 s[8:9], s8, v2
	s_mov_b64 s[12:13], -1
	s_and_saveexec_b64 s[84:85], s[8:9]
; %bb.109:                              ;   in Loop: Header=BB24_12 Depth=1
	v_cmp_eq_u32_e64 s[8:9], 0, v2
	s_orn2_b64 s[12:13], s[8:9], exec
; %bb.110:                              ;   in Loop: Header=BB24_12 Depth=1
	s_or_b64 exec, exec, s[84:85]
	s_and_b64 exec, exec, s[12:13]
	s_cbranch_execz .LBB24_128
; %bb.111:                              ;   in Loop: Header=BB24_12 Depth=1
	v_add_u32_e32 v3, s53, v161
	v_cmp_gt_i32_e64 s[8:9], s36, v3
	s_and_b64 s[12:13], s[8:9], vcc
	v_mov_b32_e32 v2, 0x47
	s_and_saveexec_b64 s[8:9], s[12:13]
	s_cbranch_execz .LBB24_113
; %bb.112:                              ;   in Loop: Header=BB24_12 Depth=1
	v_mad_u64_u32 v[2:3], s[12:13], v3, s37, v[102:103]
	v_add_u32_e32 v3, 0, v162
	v_add_u32_e32 v10, v143, v162
	ds_read2st64_b32 v[4:5], v3 offset0:1 offset1:18
	ds_read2st64_b32 v[6:7], v10 offset1:17
	ds_read2st64_b32 v[8:9], v3 offset0:35 offset1:52
	ds_read2st64_b32 v[10:11], v10 offset0:34 offset1:51
	v_lshl_add_u32 v2, v2, 6, v46
	v_ashrrev_i32_e32 v3, 31, v2
	s_waitcnt lgkmcnt(2)
	v_cvt_f32_f16_e32 v12, v6
	v_cvt_f32_f16_sdwa v13, v6 dst_sel:DWORD dst_unused:UNUSED_PAD src0_sel:WORD_1
	v_cvt_f32_f16_e32 v6, v7
	v_cvt_f32_f16_sdwa v7, v7 dst_sel:DWORD dst_unused:UNUSED_PAD src0_sel:WORD_1
	v_lshl_add_u64 v[2:3], v[2:3], 3, s[72:73]
	v_pk_fma_f32 v[12:13], v[4:5], v[12:13], 0 op_sel_hi:[0,1,0]
	v_mov_b32_e32 v4, v5
	v_pk_fma_f32 v[4:5], v[4:5], v[6:7], v[12:13] op_sel_hi:[0,1,1]
	s_waitcnt lgkmcnt(0)
	v_cvt_f32_f16_e32 v6, v10
	v_cvt_f32_f16_sdwa v7, v10 dst_sel:DWORD dst_unused:UNUSED_PAD src0_sel:WORD_1
	v_pk_fma_f32 v[4:5], v[8:9], v[6:7], v[4:5] op_sel_hi:[0,1,1]
	v_cvt_f32_f16_e32 v6, v11
	v_cvt_f32_f16_sdwa v7, v11 dst_sel:DWORD dst_unused:UNUSED_PAD src0_sel:WORD_1
	v_mov_b32_e32 v8, v9
	v_pk_fma_f32 v[4:5], v[8:9], v[6:7], v[4:5] op_sel_hi:[0,1,1]
	global_store_dwordx2 v[2:3], v[4:5], off
	v_mov_b32_e32 v2, 0
.LBB24_113:                             ;   in Loop: Header=BB24_12 Depth=1
	s_or_b64 exec, exec, s[8:9]
	s_movk_i32 s8, 0x47
	v_cmp_gt_i32_e32 vcc, s8, v2
	s_mov_b64 s[8:9], -1
	s_and_saveexec_b64 s[12:13], vcc
; %bb.114:                              ;   in Loop: Header=BB24_12 Depth=1
	v_cmp_eq_u32_e32 vcc, 0, v2
	s_orn2_b64 s[8:9], vcc, exec
; %bb.115:                              ;   in Loop: Header=BB24_12 Depth=1
	s_or_b64 exec, exec, s[12:13]
	s_and_b64 exec, exec, s[8:9]
	s_cbranch_execz .LBB24_128
; %bb.116:                              ;   in Loop: Header=BB24_12 Depth=1
	v_add_u32_e32 v3, s53, v184
	v_or_b32_e32 v2, s2, v92
	v_cmp_gt_i32_e32 vcc, s36, v3
	v_cmp_gt_i32_e64 s[8:9], s3, v2
	s_and_b64 s[12:13], vcc, s[8:9]
	v_mov_b32_e32 v2, 0x47
	s_and_saveexec_b64 s[8:9], s[12:13]
	s_cbranch_execz .LBB24_118
; %bb.117:                              ;   in Loop: Header=BB24_12 Depth=1
	v_mad_u64_u32 v[2:3], s[12:13], v3, s37, v[92:93]
	v_add_u32_e32 v3, 0, v163
	v_add_u32_e32 v10, v143, v163
	ds_read2st64_b32 v[4:5], v3 offset0:1 offset1:18
	ds_read2st64_b32 v[6:7], v10 offset1:17
	ds_read2st64_b32 v[8:9], v3 offset0:35 offset1:52
	ds_read2st64_b32 v[10:11], v10 offset0:34 offset1:51
	v_lshl_add_u32 v2, v2, 6, v46
	v_ashrrev_i32_e32 v3, 31, v2
	s_waitcnt lgkmcnt(2)
	v_cvt_f32_f16_e32 v12, v6
	v_cvt_f32_f16_sdwa v13, v6 dst_sel:DWORD dst_unused:UNUSED_PAD src0_sel:WORD_1
	v_cvt_f32_f16_e32 v6, v7
	v_cvt_f32_f16_sdwa v7, v7 dst_sel:DWORD dst_unused:UNUSED_PAD src0_sel:WORD_1
	v_lshl_add_u64 v[2:3], v[2:3], 3, s[72:73]
	v_pk_fma_f32 v[12:13], v[4:5], v[12:13], 0 op_sel_hi:[0,1,0]
	v_mov_b32_e32 v4, v5
	v_pk_fma_f32 v[4:5], v[4:5], v[6:7], v[12:13] op_sel_hi:[0,1,1]
	s_waitcnt lgkmcnt(0)
	v_cvt_f32_f16_e32 v6, v10
	v_cvt_f32_f16_sdwa v7, v10 dst_sel:DWORD dst_unused:UNUSED_PAD src0_sel:WORD_1
	v_pk_fma_f32 v[4:5], v[8:9], v[6:7], v[4:5] op_sel_hi:[0,1,1]
	v_cvt_f32_f16_e32 v6, v11
	v_cvt_f32_f16_sdwa v7, v11 dst_sel:DWORD dst_unused:UNUSED_PAD src0_sel:WORD_1
	v_mov_b32_e32 v8, v9
	v_pk_fma_f32 v[4:5], v[8:9], v[6:7], v[4:5] op_sel_hi:[0,1,1]
	global_store_dwordx2 v[2:3], v[4:5], off
	v_mov_b32_e32 v2, 0
.LBB24_118:                             ;   in Loop: Header=BB24_12 Depth=1
	s_or_b64 exec, exec, s[8:9]
	s_movk_i32 s8, 0x47
	v_cmp_gt_i32_e32 vcc, s8, v2
	s_mov_b64 s[8:9], -1
	s_and_saveexec_b64 s[12:13], vcc
; %bb.119:                              ;   in Loop: Header=BB24_12 Depth=1
	v_cmp_eq_u32_e32 vcc, 0, v2
	s_orn2_b64 s[8:9], vcc, exec
; %bb.120:                              ;   in Loop: Header=BB24_12 Depth=1
	s_or_b64 exec, exec, s[12:13]
	s_and_b64 exec, exec, s[8:9]
	s_cbranch_execz .LBB24_128
; %bb.121:                              ;   in Loop: Header=BB24_12 Depth=1
	v_add_u32_e32 v3, s53, v185
	v_or_b32_e32 v2, s2, v94
	v_cmp_gt_i32_e32 vcc, s36, v3
	v_cmp_gt_i32_e64 s[8:9], s3, v2
	s_and_b64 s[12:13], vcc, s[8:9]
	;; [unrolled: 51-line block ×3, first 2 shown]
	s_and_b64 exec, exec, s[8:9]
	s_cbranch_execz .LBB24_128
; %bb.127:                              ;   in Loop: Header=BB24_12 Depth=1
	v_mad_u64_u32 v[2:3], s[8:9], v2, s37, v[96:97]
	v_add_u32_e32 v3, 0, v165
	v_add_u32_e32 v10, v143, v165
	ds_read2st64_b32 v[4:5], v3 offset0:1 offset1:18
	ds_read2st64_b32 v[6:7], v10 offset1:17
	ds_read2st64_b32 v[8:9], v3 offset0:35 offset1:52
	ds_read2st64_b32 v[10:11], v10 offset0:34 offset1:51
	v_lshl_add_u32 v2, v2, 6, v46
	v_ashrrev_i32_e32 v3, 31, v2
	s_waitcnt lgkmcnt(2)
	v_cvt_f32_f16_e32 v12, v6
	v_cvt_f32_f16_sdwa v13, v6 dst_sel:DWORD dst_unused:UNUSED_PAD src0_sel:WORD_1
	v_cvt_f32_f16_e32 v6, v7
	v_cvt_f32_f16_sdwa v7, v7 dst_sel:DWORD dst_unused:UNUSED_PAD src0_sel:WORD_1
	v_lshl_add_u64 v[2:3], v[2:3], 3, s[72:73]
	v_pk_fma_f32 v[12:13], v[4:5], v[12:13], 0 op_sel_hi:[0,1,0]
	v_mov_b32_e32 v4, v5
	v_pk_fma_f32 v[4:5], v[4:5], v[6:7], v[12:13] op_sel_hi:[0,1,1]
	s_waitcnt lgkmcnt(0)
	v_cvt_f32_f16_e32 v6, v10
	v_cvt_f32_f16_sdwa v7, v10 dst_sel:DWORD dst_unused:UNUSED_PAD src0_sel:WORD_1
	v_pk_fma_f32 v[4:5], v[8:9], v[6:7], v[4:5] op_sel_hi:[0,1,1]
	v_cvt_f32_f16_e32 v6, v11
	v_cvt_f32_f16_sdwa v7, v11 dst_sel:DWORD dst_unused:UNUSED_PAD src0_sel:WORD_1
	v_mov_b32_e32 v8, v9
	v_pk_fma_f32 v[4:5], v[8:9], v[6:7], v[4:5] op_sel_hi:[0,1,1]
	global_store_dwordx2 v[2:3], v[4:5], off
.LBB24_128:                             ;   in Loop: Header=BB24_12 Depth=1
	s_or_b64 exec, exec, s[82:83]
	s_barrier
	s_branch .LBB24_11
.LBB24_129:                             ;   in Loop: Header=BB24_12 Depth=1
	s_lshl_b32 s82, s42, 2
	v_add_u32_e32 v2, s82, v142
	v_cmp_le_i32_e64 s[8:9], s36, v2
	v_cmp_le_i32_e64 s[12:13], s3, v101
	v_cmp_gt_i32_e32 vcc, s3, v101
	s_or_b64 s[8:9], s[8:9], s[12:13]
	s_and_saveexec_b64 s[12:13], s[8:9]
	s_xor_b64 s[8:9], exec, s[12:13]
; %bb.130:                              ;   in Loop: Header=BB24_12 Depth=1
	v_add_u32_e32 v2, v143, v170
	ds_write_b32 v2, v53
                                        ; implicit-def: $vgpr2
; %bb.131:                              ;   in Loop: Header=BB24_12 Depth=1
	s_andn2_saveexec_b64 s[8:9], s[8:9]
	s_cbranch_execz .LBB24_133
; %bb.132:                              ;   in Loop: Header=BB24_12 Depth=1
	v_mad_u64_u32 v[2:3], s[12:13], v2, s55, v[100:101]
	v_ashrrev_i32_e32 v3, 31, v2
	v_lshl_add_u64 v[2:3], v[2:3], 3, s[80:81]
	global_load_dwordx2 v[2:3], v[2:3], off
	s_waitcnt vmcnt(0)
	v_cvt_pk_f16_f32 v2, v2, v3
	v_pk_mul_f16 v2, v2, v166
	v_add_u32_e32 v3, v143, v170
	ds_write_b32 v3, v2
.LBB24_133:                             ;   in Loop: Header=BB24_12 Depth=1
	s_or_b64 exec, exec, s[8:9]
	v_add_u32_e32 v2, s82, v171
	v_cmp_le_i32_e64 s[8:9], s36, v2
	s_xor_b64 s[12:13], vcc, -1
	s_or_b64 s[8:9], s[8:9], s[12:13]
	s_and_saveexec_b64 s[84:85], s[8:9]
	s_xor_b64 s[8:9], exec, s[84:85]
; %bb.134:                              ;   in Loop: Header=BB24_12 Depth=1
	v_add_u32_e32 v2, v143, v170
	ds_write_b32 v2, v53 offset:1088
                                        ; implicit-def: $vgpr2
; %bb.135:                              ;   in Loop: Header=BB24_12 Depth=1
	s_andn2_saveexec_b64 s[8:9], s[8:9]
	s_cbranch_execz .LBB24_137
; %bb.136:                              ;   in Loop: Header=BB24_12 Depth=1
	v_mad_u64_u32 v[2:3], s[84:85], v2, s55, v[100:101]
	v_ashrrev_i32_e32 v3, 31, v2
	v_lshl_add_u64 v[2:3], v[2:3], 3, s[80:81]
	global_load_dwordx2 v[2:3], v[2:3], off
	s_waitcnt vmcnt(0)
	v_cvt_pk_f16_f32 v2, v2, v3
	v_pk_mul_f16 v2, v2, v166
	v_add_u32_e32 v3, v143, v170
	ds_write_b32 v3, v2 offset:1088
.LBB24_137:                             ;   in Loop: Header=BB24_12 Depth=1
	s_or_b64 exec, exec, s[8:9]
	v_add_u32_e32 v2, s82, v172
	v_cmp_le_i32_e32 vcc, s36, v2
	s_or_b64 s[8:9], vcc, s[12:13]
	s_and_saveexec_b64 s[84:85], s[8:9]
	s_xor_b64 s[8:9], exec, s[84:85]
; %bb.138:                              ;   in Loop: Header=BB24_12 Depth=1
	v_add_u32_e32 v2, v143, v170
	ds_write_b32 v2, v53 offset:2176
                                        ; implicit-def: $vgpr2
; %bb.139:                              ;   in Loop: Header=BB24_12 Depth=1
	s_andn2_saveexec_b64 s[8:9], s[8:9]
	s_cbranch_execz .LBB24_141
; %bb.140:                              ;   in Loop: Header=BB24_12 Depth=1
	v_mad_u64_u32 v[2:3], s[84:85], v2, s55, v[100:101]
	v_ashrrev_i32_e32 v3, 31, v2
	v_lshl_add_u64 v[2:3], v[2:3], 3, s[80:81]
	global_load_dwordx2 v[2:3], v[2:3], off
	s_waitcnt vmcnt(0)
	v_cvt_pk_f16_f32 v2, v2, v3
	v_pk_mul_f16 v2, v2, v166
	v_add_u32_e32 v3, v143, v170
	ds_write_b32 v3, v2 offset:2176
.LBB24_141:                             ;   in Loop: Header=BB24_12 Depth=1
	s_or_b64 exec, exec, s[8:9]
	v_add_u32_e32 v2, s82, v173
	v_cmp_le_i32_e32 vcc, s36, v2
	s_or_b64 s[8:9], vcc, s[12:13]
	s_and_saveexec_b64 s[12:13], s[8:9]
	s_xor_b64 s[8:9], exec, s[12:13]
; %bb.142:                              ;   in Loop: Header=BB24_12 Depth=1
	v_add_u32_e32 v2, v143, v170
	ds_write_b32 v2, v53 offset:3264
                                        ; implicit-def: $vgpr2
; %bb.143:                              ;   in Loop: Header=BB24_12 Depth=1
	s_andn2_saveexec_b64 s[8:9], s[8:9]
	s_cbranch_execz .LBB24_145
; %bb.144:                              ;   in Loop: Header=BB24_12 Depth=1
	v_mad_u64_u32 v[2:3], s[12:13], v2, s55, v[100:101]
	v_ashrrev_i32_e32 v3, 31, v2
	v_lshl_add_u64 v[2:3], v[2:3], 3, s[80:81]
	global_load_dwordx2 v[2:3], v[2:3], off
	s_waitcnt vmcnt(0)
	v_cvt_pk_f16_f32 v2, v2, v3
	v_pk_mul_f16 v2, v2, v166
	v_add_u32_e32 v3, v143, v170
	ds_write_b32 v3, v2 offset:3264
.LBB24_145:                             ;   in Loop: Header=BB24_12 Depth=1
	s_or_b64 exec, exec, s[8:9]
	s_waitcnt lgkmcnt(0)
	s_barrier
	ds_read2_b64 v[14:17], v87 offset1:4
	ds_read2_b64 v[10:13], v87 offset0:8 offset1:12
	ds_read2_b64 v[6:9], v87 offset0:16 offset1:20
	;; [unrolled: 1-line block ×3, first 2 shown]
	s_cmp_lt_i32 s65, 2
	s_waitcnt lgkmcnt(0)
	s_barrier
	s_cbranch_scc1 .LBB24_150
; %bb.146:                              ;   in Loop: Header=BB24_12 Depth=1
	v_add_u32_e32 v18, s82, v89
	v_mul_hi_u32 v19, s34, v18
	v_add_u32_e32 v19, v18, v19
	v_lshrrev_b32_e32 v19, s35, v19
	v_mul_lo_u32 v19, v19, s36
	v_sub_u32_e32 v20, v18, v19
	v_and_b32_e32 v18, 64, v187
	v_add_u32_e32 v18, 64, v18
	v_xor_b32_e32 v19, 32, v187
	v_cmp_lt_i32_e32 vcc, v19, v18
	v_readlane_b32 s8, v200, 21
	v_readlane_b32 s9, v200, 22
	v_cndmask_b32_e32 v19, v187, v19, vcc
	v_lshlrev_b32_e32 v52, 2, v19
	v_xor_b32_e32 v19, 16, v187
	v_cmp_lt_i32_e32 vcc, v19, v18
	s_add_i32 s12, s65, -1
	v_mov_b32_e32 v140, 0
	v_cndmask_b32_e32 v18, v187, v19, vcc
	v_lshlrev_b32_e32 v190, 2, v18
	v_mov_b64_e32 v[18:19], s[78:79]
	v_mad_i64_i32 v[18:19], s[8:9], s8, v20, v[18:19]
	s_add_u32 s8, s99, s59
	s_addc_u32 s9, s60, s56
	v_lshl_add_u64 v[124:125], v[106:107], 0, s[8:9]
	v_lshl_add_u64 v[126:127], v[108:109], 0, s[8:9]
	;; [unrolled: 1-line block ×4, first 2 shown]
	s_add_u32 s8, s96, s97
	s_addc_u32 s9, s95, s98
	v_lshl_add_u64 v[122:123], v[104:105], 0, v[18:19]
	v_lshl_add_u64 v[132:133], v[114:115], 0, s[8:9]
	v_lshl_add_u64 v[134:135], v[116:117], 0, s[8:9]
	v_lshl_add_u64 v[136:137], v[118:119], 0, s[8:9]
	v_lshl_add_u64 v[138:139], v[120:121], 0, s[8:9]
	v_mov_b32_e32 v19, 0xfeffffff
	v_mov_b32_e32 v18, 0
	s_mov_b32 s13, s12
	v_mov_b32_e32 v141, 0
	v_mov_b32_e32 v43, 0
	;; [unrolled: 1-line block ×15, first 2 shown]
	s_and_saveexec_b64 s[8:9], s[4:5]
	s_cbranch_execz .LBB24_148
.LBB24_147:                             ;   in Loop: Header=BB24_12 Depth=1
	global_load_dword v20, v[122:123], off
	s_waitcnt vmcnt(0)
	ds_write_b32 v91, v20 offset:17408
.LBB24_148:                             ;   Parent Loop BB24_12 Depth=1
                                        ; =>  This Inner Loop Header: Depth=2
	s_or_b64 exec, exec, s[8:9]
	v_lshl_add_u64 v[20:21], v[132:133], 0, v[72:73]
	global_load_dwordx4 v[20:23], v[20:21], off
	v_lshl_add_u64 v[28:29], v[134:135], 0, v[72:73]
	v_lshl_add_u64 v[40:41], v[136:137], 0, v[72:73]
	;; [unrolled: 1-line block ×3, first 2 shown]
	v_add_u32_e32 v26, 0x4400, v97
	s_add_i32 s13, s13, -1
	s_mov_b64 s[8:9], 0x80
	v_lshl_add_u64 v[122:123], v[122:123], 0, s[8:9]
	v_lshl_add_u64 v[132:133], v[132:133], 0, s[70:71]
	;; [unrolled: 1-line block ×5, first 2 shown]
	s_cmp_lg_u32 s13, 0
	s_waitcnt vmcnt(0)
	ds_write_b128 v93, v[20:23]
	global_load_dwordx4 v[20:23], v[28:29], off
	s_waitcnt vmcnt(0)
	ds_write_b128 v167, v[20:23]
	global_load_dwordx4 v[20:23], v[40:41], off
	v_lshl_add_u64 v[40:41], v[130:131], 0, v[72:73]
	v_lshl_add_u64 v[130:131], v[130:131], 0, s[68:69]
	s_waitcnt vmcnt(0)
	ds_write_b128 v168, v[20:23]
	global_load_dwordx4 v[20:23], v[44:45], off
	s_waitcnt vmcnt(0)
	ds_write_b128 v169, v[20:23]
	s_waitcnt lgkmcnt(0)
	s_barrier
	ds_read2_b64 v[20:23], v95 offset1:4
	s_waitcnt lgkmcnt(0)
	v_mfma_f32_16x16x16_f16 v[192:195], v[20:21], v[14:15], 0
	v_mfma_f32_16x16x16_f16 v[20:23], v[22:23], v[16:17], v[192:195]
	s_nop 6
	ds_read2_b64 v[192:195], v95 offset0:8 offset1:12
	s_waitcnt lgkmcnt(0)
	v_mfma_f32_16x16x16_f16 v[20:23], v[192:193], v[10:11], v[20:23]
	v_mfma_f32_16x16x16_f16 v[20:23], v[194:195], v[12:13], v[20:23]
	ds_read2_b64 v[192:195], v95 offset0:16 offset1:20
	s_waitcnt lgkmcnt(0)
	v_mfma_f32_16x16x16_f16 v[20:23], v[192:193], v[6:7], v[20:23]
	v_mfma_f32_16x16x16_f16 v[20:23], v[194:195], v[8:9], v[20:23]
	ds_read2_b64 v[192:195], v95 offset0:24 offset1:28
	s_waitcnt lgkmcnt(0)
	s_barrier
	ds_read2_b32 v[28:29], v26 offset1:1
	v_mfma_f32_16x16x16_f16 v[20:23], v[192:193], v[2:3], v[20:23]
	s_waitcnt lgkmcnt(0)
	v_cvt_f32_f16_e32 v26, v28
	v_cvt_f32_f16_sdwa v28, v28 dst_sel:DWORD dst_unused:UNUSED_PAD src0_sel:WORD_1
	v_mfma_f32_16x16x16_f16 v[20:23], v[194:195], v[4:5], v[20:23]
	s_nop 7
	v_add_f32_e32 v20, v20, v26
	v_add_f32_e32 v21, v21, v28
	v_cvt_f32_f16_e32 v26, v29
	v_cvt_f32_f16_sdwa v28, v29 dst_sel:DWORD dst_unused:UNUSED_PAD src0_sel:WORD_1
	v_add_f32_e32 v22, v22, v26
	v_add_f32_e32 v23, v23, v28
	;; [unrolled: 1-line block ×4, first 2 shown]
	v_max3_f32 v26, v19, v26, v28
	v_add_f32_e32 v28, 0x40051340, v22
	v_add_f32_e32 v29, 0x40051340, v23
	v_max3_f32 v26, v26, v28, v29
	ds_bpermute_b32 v28, v52, v26
	s_waitcnt lgkmcnt(0)
	v_max_f32_e32 v28, v28, v28
	v_max_f32_e32 v26, v26, v28
	ds_bpermute_b32 v28, v190, v26
	s_waitcnt lgkmcnt(0)
	v_max_f32_e32 v28, v28, v28
	v_max_f32_e32 v101, v26, v28
	v_sub_f32_e32 v20, v20, v101
	v_mul_f32_e32 v26, 0x3fb8aa3b, v20
	v_fma_f32 v28, v20, s45, -v26
	v_rndne_f32_e32 v29, v26
	v_fmac_f32_e32 v28, 0x32a5705f, v20
	v_sub_f32_e32 v26, v26, v29
	v_add_f32_e32 v26, v26, v28
	v_exp_f32_e32 v26, v26
	v_cvt_i32_f32_e32 v28, v29
	v_cmp_ngt_f32_e32 vcc, s67, v20
	v_sub_f32_e32 v21, v21, v101
	v_sub_f32_e32 v22, v22, v101
	v_ldexp_f32 v26, v26, v28
	v_cndmask_b32_e32 v26, 0, v26, vcc
	v_cmp_nlt_f32_e32 vcc, s66, v20
	v_sub_f32_e32 v23, v23, v101
	v_sub_f32_e32 v19, v19, v101
	v_cndmask_b32_e32 v20, v188, v26, vcc
	v_mul_f32_e32 v26, 0x3fb8aa3b, v21
	v_fma_f32 v28, v21, s45, -v26
	v_rndne_f32_e32 v29, v26
	v_fmac_f32_e32 v28, 0x32a5705f, v21
	v_sub_f32_e32 v26, v26, v29
	v_add_f32_e32 v26, v26, v28
	v_exp_f32_e32 v26, v26
	v_cvt_i32_f32_e32 v28, v29
	v_cmp_ngt_f32_e32 vcc, s67, v21
	v_ldexp_f32 v26, v26, v28
	v_mul_f32_e32 v28, 0x3fb8aa3b, v22
	v_fma_f32 v29, v22, s45, -v28
	v_rndne_f32_e32 v37, v28
	v_fmac_f32_e32 v29, 0x32a5705f, v22
	v_sub_f32_e32 v28, v28, v37
	v_add_f32_e32 v28, v28, v29
	v_exp_f32_e32 v28, v28
	v_cvt_i32_f32_e32 v29, v37
	v_cndmask_b32_e32 v26, 0, v26, vcc
	v_cmp_nlt_f32_e32 vcc, s66, v21
	v_ldexp_f32 v28, v28, v29
	s_nop 0
	v_cndmask_b32_e32 v21, v188, v26, vcc
	v_cmp_ngt_f32_e32 vcc, s67, v22
	v_add_f32_e32 v26, v20, v21
	s_nop 0
	v_cndmask_b32_e32 v28, 0, v28, vcc
	v_cmp_nlt_f32_e32 vcc, s66, v22
	s_nop 1
	v_cndmask_b32_e32 v28, v188, v28, vcc
	v_add_f32_e32 v22, v28, v26
	v_mul_f32_e32 v26, 0x3fb8aa3b, v23
	v_fma_f32 v29, v23, s45, -v26
	v_rndne_f32_e32 v37, v26
	v_fmac_f32_e32 v29, 0x32a5705f, v23
	v_sub_f32_e32 v26, v26, v37
	v_add_f32_e32 v26, v26, v29
	v_exp_f32_e32 v26, v26
	v_cvt_i32_f32_e32 v29, v37
	v_cmp_ngt_f32_e32 vcc, s67, v23
	v_ldexp_f32 v26, v26, v29
	s_nop 0
	v_cndmask_b32_e32 v26, 0, v26, vcc
	v_cmp_nlt_f32_e32 vcc, s66, v23
	s_nop 1
	v_cndmask_b32_e32 v29, v188, v26, vcc
	v_add_f32_e32 v189, v29, v22
	v_mul_f32_e32 v22, 0x3fb8aa3b, v19
	v_fma_f32 v23, v19, s45, -v22
	v_rndne_f32_e32 v26, v22
	v_fmac_f32_e32 v23, 0x32a5705f, v19
	v_sub_f32_e32 v22, v22, v26
	v_add_f32_e32 v22, v22, v23
	v_exp_f32_e32 v22, v22
	v_cvt_i32_f32_e32 v23, v26
	v_cmp_ngt_f32_e32 vcc, s67, v19
	v_ldexp_f32 v22, v22, v23
	s_nop 0
	v_cndmask_b32_e32 v22, 0, v22, vcc
	v_cmp_nlt_f32_e32 vcc, s66, v19
	s_nop 1
	v_cndmask_b32_e32 v22, v188, v22, vcc
	v_cmp_le_f32_e32 vcc, s33, v19
	s_nop 1
	v_cndmask_b32_e32 v19, 0, v22, vcc
	v_fmac_f32_e32 v189, v18, v19
	v_cvt_f16_f32_e32 v18, v19
	v_mul_u32_u24_e32 v37, 0x10001, v18
	v_pk_mul_f16 v18, v25, v37
	v_pk_mul_f16 v22, v24, v37
	v_lshl_add_u64 v[24:25], v[124:125], 0, v[72:73]
	global_load_dwordx4 v[194:197], v[24:25], off
	v_pk_mul_f16 v19, v27, v37
	v_pk_mul_f16 v27, v33, v37
	;; [unrolled: 1-line block ×3, first 2 shown]
	v_lshl_add_u64 v[32:33], v[126:127], 0, v[72:73]
	v_pk_mul_f16 v23, v36, v37
	v_pk_mul_f16 v31, v31, v37
	;; [unrolled: 1-line block ×11, first 2 shown]
	v_lshl_add_u64 v[36:37], v[128:129], 0, v[72:73]
	v_cvt_pk_f16_f32 v140, v20, v21
	v_cvt_pk_f16_f32 v141, v28, v29
	v_lshl_add_u64 v[124:125], v[124:125], 0, s[68:69]
	v_lshl_add_u64 v[126:127], v[126:127], 0, s[68:69]
	;; [unrolled: 1-line block ×3, first 2 shown]
	s_waitcnt vmcnt(0)
	ds_write_b128 v93, v[194:197]
	global_load_dwordx4 v[194:197], v[32:33], off
	s_waitcnt vmcnt(0)
	ds_write_b128 v167, v[194:197]
	global_load_dwordx4 v[194:197], v[36:37], off
	s_waitcnt vmcnt(0)
	ds_write_b128 v168, v[194:197]
	global_load_dwordx4 v[194:197], v[40:41], off
	s_waitcnt vmcnt(0)
	ds_write_b128 v169, v[194:197]
	s_waitcnt lgkmcnt(0)
	s_barrier
	ds_read_u16 v20, v99 offset:272
	ds_read_u16 v21, v99 offset:544
	ds_read_u16 v24, v103
	ds_read_u16 v25, v103 offset:32
	v_cvt_f32_f16_e32 v194, v19
	v_cvt_f32_f16_sdwa v195, v19 dst_sel:DWORD dst_unused:UNUSED_PAD src0_sel:WORD_1
	v_cvt_f32_f16_e32 v196, v18
	s_waitcnt lgkmcnt(1)
	v_perm_b32 v21, v24, v21, s86
	ds_read_u16 v24, v99
	ds_read_u16 v28, v99 offset:32
	v_cvt_f32_f16_sdwa v197, v18 dst_sel:DWORD dst_unused:UNUSED_PAD src0_sel:WORD_1
	s_waitcnt lgkmcnt(1)
	v_perm_b32 v20, v20, v24, s86
	ds_read_u16 v24, v99 offset:304
	ds_read_u16 v29, v99 offset:576
	v_mfma_f32_16x16x16_f16 v[18:21], v[20:21], v[140:141], v[194:197]
	s_waitcnt lgkmcnt(0)
	v_perm_b32 v25, v25, v29, s86
	v_perm_b32 v24, v24, v28, s86
	ds_read_u16 v28, v99 offset:64
	ds_read_u16 v32, v99 offset:336
	;; [unrolled: 1-line block ×4, first 2 shown]
	v_cvt_f32_f16_e32 v194, v23
	v_cvt_f32_f16_sdwa v195, v23 dst_sel:DWORD dst_unused:UNUSED_PAD src0_sel:WORD_1
	v_cvt_f32_f16_e32 v196, v22
	v_cvt_f32_f16_sdwa v197, v22 dst_sel:DWORD dst_unused:UNUSED_PAD src0_sel:WORD_1
	s_waitcnt lgkmcnt(0)
	v_perm_b32 v29, v33, v29, s86
	v_perm_b32 v28, v32, v28, s86
	ds_read_u16 v32, v99 offset:96
	ds_read_u16 v36, v99 offset:368
	;; [unrolled: 1-line block ×4, first 2 shown]
	v_mfma_f32_16x16x16_f16 v[22:25], v[24:25], v[140:141], v[194:197]
	s_waitcnt lgkmcnt(2)
	v_perm_b32 v32, v36, v32, s86
	s_waitcnt lgkmcnt(0)
	v_perm_b32 v33, v37, v33, s86
	v_cvt_f32_f16_e32 v194, v27
	v_cvt_f32_f16_sdwa v195, v27 dst_sel:DWORD dst_unused:UNUSED_PAD src0_sel:WORD_1
	v_cvt_f32_f16_e32 v196, v26
	v_cvt_f32_f16_sdwa v197, v26 dst_sel:DWORD dst_unused:UNUSED_PAD src0_sel:WORD_1
	ds_read_u16 v36, v99 offset:128
	ds_read_u16 v40, v99 offset:400
	;; [unrolled: 1-line block ×4, first 2 shown]
	v_mfma_f32_16x16x16_f16 v[26:29], v[28:29], v[140:141], v[194:197]
	s_waitcnt lgkmcnt(2)
	v_perm_b32 v36, v40, v36, s86
	s_nop 0
	v_cvt_f32_f16_e32 v194, v31
	v_cvt_f32_f16_sdwa v195, v31 dst_sel:DWORD dst_unused:UNUSED_PAD src0_sel:WORD_1
	v_cvt_f32_f16_e32 v196, v30
	v_cvt_f32_f16_sdwa v197, v30 dst_sel:DWORD dst_unused:UNUSED_PAD src0_sel:WORD_1
	s_waitcnt lgkmcnt(0)
	v_perm_b32 v37, v41, v37, s86
	ds_read_u16 v40, v99 offset:160
	ds_read_u16 v44, v99 offset:432
	;; [unrolled: 1-line block ×4, first 2 shown]
	v_mfma_f32_16x16x16_f16 v[30:33], v[32:33], v[140:141], v[194:197]
	s_waitcnt lgkmcnt(2)
	v_perm_b32 v40, v44, v40, s86
	v_cvt_pk_f16_f32 v24, v24, v25
	v_cvt_f32_f16_e32 v194, v35
	v_cvt_f32_f16_sdwa v195, v35 dst_sel:DWORD dst_unused:UNUSED_PAD src0_sel:WORD_1
	v_cvt_f32_f16_e32 v196, v34
	v_cvt_f32_f16_sdwa v197, v34 dst_sel:DWORD dst_unused:UNUSED_PAD src0_sel:WORD_1
	s_waitcnt lgkmcnt(0)
	v_perm_b32 v41, v45, v41, s86
	v_cvt_pk_f16_f32 v31, v30, v31
	v_mfma_f32_16x16x16_f16 v[34:37], v[36:37], v[140:141], v[194:197]
	v_cvt_pk_f16_f32 v30, v32, v33
	v_cvt_pk_f16_f32 v33, v26, v27
	s_nop 0
	v_cvt_f32_f16_e32 v194, v39
	v_cvt_f32_f16_sdwa v195, v39 dst_sel:DWORD dst_unused:UNUSED_PAD src0_sel:WORD_1
	v_cvt_f32_f16_e32 v196, v38
	v_cvt_f32_f16_sdwa v197, v38 dst_sel:DWORD dst_unused:UNUSED_PAD src0_sel:WORD_1
	s_nop 0
	v_cvt_pk_f16_f32 v35, v34, v35
	v_cvt_pk_f16_f32 v34, v36, v37
	v_mfma_f32_16x16x16_f16 v[38:41], v[40:41], v[140:141], v[194:197]
	ds_read_u16 v44, v99 offset:192
	ds_read_u16 v193, v99 offset:464
	;; [unrolled: 1-line block ×4, first 2 shown]
	v_cvt_f32_f16_sdwa v195, v43 dst_sel:DWORD dst_unused:UNUSED_PAD src0_sel:WORD_1
	v_cvt_f32_f16_e32 v196, v42
	s_waitcnt lgkmcnt(2)
	v_perm_b32 v44, v193, v44, s86
	v_cvt_f32_f16_sdwa v197, v42 dst_sel:DWORD dst_unused:UNUSED_PAD src0_sel:WORD_1
	s_waitcnt lgkmcnt(0)
	v_perm_b32 v45, v194, v45, s86
	v_cvt_f32_f16_e32 v194, v43
	v_cvt_pk_f16_f32 v39, v38, v39
	v_cvt_pk_f16_f32 v38, v40, v41
	v_mfma_f32_16x16x16_f16 v[42:45], v[44:45], v[140:141], v[194:197]
	ds_read_u16 v193, v99 offset:224
	s_nop 1
	ds_read_u16 v194, v99 offset:496
	ds_read_u16 v195, v99 offset:768
	;; [unrolled: 1-line block ×3, first 2 shown]
	v_cvt_f32_f16_sdwa v197, v191 dst_sel:DWORD dst_unused:UNUSED_PAD src0_sel:WORD_1
	v_cvt_pk_f16_f32 v32, v28, v29
	s_waitcnt lgkmcnt(2)
	v_perm_b32 v198, v194, v193, s86
	v_cvt_f32_f16_e32 v194, v192
	s_waitcnt lgkmcnt(0)
	v_perm_b32 v199, v196, v195, s86
	v_cvt_f32_f16_sdwa v195, v192 dst_sel:DWORD dst_unused:UNUSED_PAD src0_sel:WORD_1
	v_cvt_f32_f16_e32 v196, v191
	v_cvt_pk_f16_f32 v43, v42, v43
	v_cvt_pk_f16_f32 v42, v44, v45
	v_mfma_f32_16x16x16_f16 v[192:195], v[198:199], v[140:141], v[194:197]
	v_cvt_pk_f16_f32 v36, v22, v23
	v_cvt_pk_f16_f32 v27, v18, v19
	;; [unrolled: 1-line block ×3, first 2 shown]
	s_nop 4
	v_cvt_pk_f16_f32 v140, v192, v193
	v_cvt_pk_f16_f32 v141, v194, v195
	s_barrier
	s_cbranch_scc0 .LBB24_151
; %bb.149:                              ;   in Loop: Header=BB24_148 Depth=2
	v_mov_b32_e32 v18, v189
	v_mov_b32_e32 v19, v101
	s_and_saveexec_b64 s[8:9], s[4:5]
	s_cbranch_execnz .LBB24_147
	s_branch .LBB24_148
.LBB24_150:                             ;   in Loop: Header=BB24_12 Depth=1
	v_mov_b32_e32 v101, 0xfeffffff
	v_mov_b32_e32 v189, 0
	s_mov_b64 s[8:9], 0
	v_mov_b32_e32 v25, 0
	v_mov_b32_e32 v27, 0
	;; [unrolled: 1-line block ×16, first 2 shown]
	s_and_saveexec_b64 s[12:13], s[4:5]
	s_cbranch_execnz .LBB24_152
	s_branch .LBB24_153
.LBB24_151:                             ;   in Loop: Header=BB24_12 Depth=1
	s_lshl_b32 s60, s12, 6
	s_mov_b64 s[8:9], s[60:61]
	s_and_saveexec_b64 s[12:13], s[4:5]
	s_cbranch_execz .LBB24_153
.LBB24_152:                             ;   in Loop: Header=BB24_12 Depth=1
	v_or_b32_e32 v18, s82, v89
	v_mul_hi_u32 v19, s34, v18
	s_lshl_b64 s[78:79], s[8:9], 1
	v_add_u32_e32 v19, v18, v19
	s_add_u32 s76, s76, s78
	v_lshrrev_b32_e32 v19, s35, v19
	s_addc_u32 s77, s77, s79
	v_mul_lo_u32 v19, v19, s36
	v_readlane_b32 s78, v200, 19
	v_sub_u32_e32 v18, v18, v19
	v_readlane_b32 s79, v200, 20
	v_mad_i64_i32 v[18:19], s[78:79], v18, s78, 0
	v_lshl_add_u64 v[18:19], v[18:19], 1, s[76:77]
	v_lshlrev_b32_e32 v52, 1, v48
	v_lshl_add_u64 v[18:19], v[18:19], 0, v[52:53]
	global_load_dword v18, v[18:19], off
	s_waitcnt vmcnt(0)
	ds_write_b32 v91, v18 offset:17408
.LBB24_153:                             ;   in Loop: Header=BB24_12 Depth=1
	s_or_b64 exec, exec, s[12:13]
	s_mul_i32 s9, s8, s39
	s_mul_hi_u32 s12, s8, s38
	s_add_i32 s13, s12, s9
	s_mul_i32 s12, s8, s38
	s_lshl_b64 s[12:13], s[12:13], 2
	s_add_u32 s12, s63, s12
	s_addc_u32 s13, s64, s13
	v_lshlrev_b32_e32 v52, 2, v50
	v_lshl_add_u64 v[20:21], v[58:59], 2, s[12:13]
	v_lshl_add_u64 v[18:19], v[56:57], 2, s[12:13]
	v_lshl_add_u64 v[22:23], v[20:21], 0, v[52:53]
	v_lshl_add_u64 v[20:21], v[60:61], 2, s[12:13]
	v_lshl_add_u64 v[18:19], v[18:19], 0, v[52:53]
	v_lshl_add_u64 v[28:29], v[20:21], 0, v[52:53]
	v_lshl_add_u64 v[20:21], v[62:63], 2, s[12:13]
	v_lshl_add_u64 v[40:41], v[20:21], 0, v[52:53]
	global_load_dwordx4 v[18:21], v[18:19], off
	s_mul_i32 s9, s8, s15
	s_mul_hi_u32 s12, s8, s14
	s_add_i32 s9, s12, s9
	s_mul_i32 s8, s8, s14
	s_lshl_b64 s[8:9], s[8:9], 2
	s_add_u32 s8, s44, s8
	s_addc_u32 s9, s62, s9
	s_cmp_lg_u64 s[74:75], 0
	s_waitcnt vmcnt(0)
	ds_write_b128 v93, v[18:21]
	global_load_dwordx4 v[18:21], v[22:23], off
	s_waitcnt vmcnt(0)
	ds_write_b128 v167, v[18:21]
	global_load_dwordx4 v[18:21], v[28:29], off
	;; [unrolled: 3-line block ×3, first 2 shown]
	s_waitcnt vmcnt(0)
	ds_write_b128 v169, v[18:21]
	s_waitcnt lgkmcnt(0)
	s_barrier
	ds_read2_b64 v[18:21], v95 offset1:4
	s_waitcnt lgkmcnt(0)
	v_mfma_f32_16x16x16_f16 v[122:125], v[18:19], v[14:15], 0
	v_mfma_f32_16x16x16_f16 v[14:17], v[20:21], v[16:17], v[122:125]
	ds_read2_b64 v[18:21], v95 offset0:8 offset1:12
	s_waitcnt lgkmcnt(0)
	v_mfma_f32_16x16x16_f16 v[14:17], v[18:19], v[10:11], v[14:17]
	v_mfma_f32_16x16x16_f16 v[10:13], v[20:21], v[12:13], v[14:17]
	s_nop 6
	ds_read2_b64 v[14:17], v95 offset0:16 offset1:20
	s_waitcnt lgkmcnt(0)
	v_mfma_f32_16x16x16_f16 v[10:13], v[14:15], v[6:7], v[10:13]
	v_mfma_f32_16x16x16_f16 v[6:9], v[16:17], v[8:9], v[10:13]
	s_nop 6
	ds_read2_b64 v[10:13], v95 offset0:24 offset1:28
	s_waitcnt lgkmcnt(0)
	v_mfma_f32_16x16x16_f16 v[6:9], v[10:11], v[2:3], v[6:9]
	s_barrier
	v_mfma_f32_16x16x16_f16 v[2:5], v[12:13], v[4:5], v[6:9]
	s_nop 5
	v_add_u32_e32 v6, 0x4400, v97
	ds_read2_b32 v[6:7], v6 offset1:1
	s_waitcnt lgkmcnt(0)
	v_cvt_f32_f16_e32 v8, v6
	v_cvt_f32_f16_sdwa v6, v6 dst_sel:DWORD dst_unused:UNUSED_PAD src0_sel:WORD_1
	v_add_f32_e32 v2, v2, v8
	v_add_f32_e32 v3, v3, v6
	v_cvt_f32_f16_e32 v6, v7
	v_cvt_f32_f16_sdwa v7, v7 dst_sel:DWORD dst_unused:UNUSED_PAD src0_sel:WORD_1
	v_add_f32_e32 v4, v4, v6
	v_add_f32_e32 v5, v5, v7
	;; [unrolled: 1-line block ×4, first 2 shown]
	v_max3_f32 v6, v101, v6, v7
	v_add_f32_e32 v7, 0x40051340, v4
	v_add_f32_e32 v8, 0x40051340, v5
	v_max3_f32 v6, v6, v7, v8
	v_and_b32_e32 v7, 64, v187
	v_add_u32_e32 v7, 64, v7
	v_xor_b32_e32 v8, 32, v187
	v_cmp_lt_i32_e32 vcc, v8, v7
	s_nop 1
	v_cndmask_b32_e32 v8, v187, v8, vcc
	v_lshlrev_b32_e32 v22, 2, v8
	ds_bpermute_b32 v8, v22, v6
	s_waitcnt lgkmcnt(0)
	v_max_f32_e32 v8, v8, v8
	v_max_f32_e32 v6, v6, v8
	v_xor_b32_e32 v8, 16, v187
	v_cmp_lt_i32_e32 vcc, v8, v7
	s_nop 1
	v_cndmask_b32_e32 v7, v187, v8, vcc
	v_lshlrev_b32_e32 v23, 2, v7
	ds_bpermute_b32 v7, v23, v6
	s_waitcnt lgkmcnt(0)
	v_max_f32_e32 v7, v7, v7
	v_max_f32_e32 v20, v6, v7
	v_sub_f32_e32 v2, v2, v20
	v_mul_f32_e32 v6, 0x3fb8aa3b, v2
	v_fma_f32 v7, v2, s45, -v6
	v_rndne_f32_e32 v8, v6
	v_fmac_f32_e32 v7, 0x32a5705f, v2
	v_sub_f32_e32 v6, v6, v8
	v_add_f32_e32 v6, v6, v7
	v_exp_f32_e32 v6, v6
	v_cvt_i32_f32_e32 v7, v8
	v_cmp_ngt_f32_e32 vcc, s67, v2
	v_ldexp_f32 v6, v6, v7
	s_nop 0
	v_cndmask_b32_e32 v6, 0, v6, vcc
	v_cmp_nlt_f32_e32 vcc, s66, v2
	v_sub_f32_e32 v2, v3, v20
	v_mul_f32_e32 v3, 0x3fb8aa3b, v2
	v_cndmask_b32_e32 v18, v188, v6, vcc
	v_fma_f32 v6, v2, s45, -v3
	v_rndne_f32_e32 v7, v3
	v_fmac_f32_e32 v6, 0x32a5705f, v2
	v_sub_f32_e32 v3, v3, v7
	v_add_f32_e32 v3, v3, v6
	v_exp_f32_e32 v3, v3
	v_cvt_i32_f32_e32 v6, v7
	v_cmp_ngt_f32_e32 vcc, s67, v2
	v_ldexp_f32 v3, v3, v6
	s_nop 0
	v_cndmask_b32_e32 v3, 0, v3, vcc
	v_cmp_nlt_f32_e32 vcc, s66, v2
	s_nop 1
	v_cndmask_b32_e32 v26, v188, v3, vcc
	v_sub_f32_e32 v3, v4, v20
	v_mul_f32_e32 v4, 0x3fb8aa3b, v3
	v_fma_f32 v6, v3, s45, -v4
	v_rndne_f32_e32 v7, v4
	v_fmac_f32_e32 v6, 0x32a5705f, v3
	v_sub_f32_e32 v4, v4, v7
	v_add_f32_e32 v4, v4, v6
	v_exp_f32_e32 v4, v4
	v_cvt_i32_f32_e32 v6, v7
	v_cmp_ngt_f32_e32 vcc, s67, v3
	v_add_f32_e32 v2, v18, v26
	v_cvt_pk_f16_f32 v18, v18, v26
	v_ldexp_f32 v4, v4, v6
	v_cndmask_b32_e32 v4, 0, v4, vcc
	v_cmp_nlt_f32_e32 vcc, s66, v3
	v_sub_f32_e32 v3, v5, v20
	s_nop 0
	v_cndmask_b32_e32 v19, v188, v4, vcc
	v_mul_f32_e32 v4, 0x3fb8aa3b, v3
	v_fma_f32 v5, v3, s45, -v4
	v_rndne_f32_e32 v6, v4
	v_fmac_f32_e32 v5, 0x32a5705f, v3
	v_sub_f32_e32 v4, v4, v6
	v_add_f32_e32 v4, v4, v5
	v_exp_f32_e32 v4, v4
	v_cvt_i32_f32_e32 v5, v6
	v_cmp_ngt_f32_e32 vcc, s67, v3
	v_add_f32_e32 v2, v19, v2
	v_ldexp_f32 v4, v4, v5
	v_cndmask_b32_e32 v4, 0, v4, vcc
	v_cmp_nlt_f32_e32 vcc, s66, v3
	s_nop 1
	v_cndmask_b32_e32 v29, v188, v4, vcc
	v_add_f32_e32 v21, v29, v2
	v_sub_f32_e32 v2, v101, v20
	v_mul_f32_e32 v3, 0x3fb8aa3b, v2
	v_fma_f32 v4, v2, s45, -v3
	v_rndne_f32_e32 v5, v3
	v_fmac_f32_e32 v4, 0x32a5705f, v2
	v_sub_f32_e32 v3, v3, v5
	v_add_f32_e32 v3, v3, v4
	v_exp_f32_e32 v3, v3
	v_cvt_i32_f32_e32 v4, v5
	v_cmp_ngt_f32_e32 vcc, s67, v2
	v_cvt_pk_f16_f32 v19, v19, v29
	v_ldexp_f32 v3, v3, v4
	v_cndmask_b32_e32 v3, 0, v3, vcc
	v_cmp_nlt_f32_e32 vcc, s66, v2
	v_lshl_add_u64 v[4:5], v[66:67], 2, s[8:9]
	s_nop 0
	v_cndmask_b32_e32 v3, v188, v3, vcc
	v_cmp_le_f32_e32 vcc, s33, v2
	s_nop 1
	v_cndmask_b32_e32 v2, 0, v3, vcc
	v_fmac_f32_e32 v21, v189, v2
	v_cvt_f16_f32_e32 v2, v2
	v_mul_u32_u24_e32 v2, 0x10001, v2
	v_pk_mul_f16 v28, v27, v2
	v_pk_mul_f16 v27, v25, v2
	;; [unrolled: 1-line block ×16, first 2 shown]
	v_lshl_add_u64 v[2:3], v[64:65], 2, s[8:9]
	v_lshl_add_u64 v[30:31], v[4:5], 0, v[52:53]
	;; [unrolled: 1-line block ×7, first 2 shown]
	global_load_dwordx4 v[2:5], v[2:3], off
	v_cvt_f32_f16_e32 v36, v9
	v_cvt_f32_f16_sdwa v37, v9 dst_sel:DWORD dst_unused:UNUSED_PAD src0_sel:WORD_1
	v_cvt_f32_f16_e32 v38, v8
	v_cvt_f32_f16_sdwa v39, v8 dst_sel:DWORD dst_unused:UNUSED_PAD src0_sel:WORD_1
	;; [unrolled: 2-line block ×7, first 2 shown]
	s_cselect_b64 s[8:9], -1, 0
	s_and_b64 s[12:13], s[0:1], s[8:9]
	s_waitcnt vmcnt(0)
	ds_write_b128 v93, v[2:5]
	global_load_dwordx4 v[2:5], v[30:31], off
	s_waitcnt vmcnt(0)
	ds_write_b128 v167, v[2:5]
	global_load_dwordx4 v[2:5], v[32:33], off
	v_cvt_f32_f16_sdwa v33, v7 dst_sel:DWORD dst_unused:UNUSED_PAD src0_sel:WORD_1
	s_waitcnt vmcnt(0)
	ds_write_b128 v168, v[2:5]
	global_load_dwordx4 v[2:5], v[34:35], off
	v_cvt_f32_f16_e32 v34, v6
	v_cvt_f32_f16_sdwa v35, v6 dst_sel:DWORD dst_unused:UNUSED_PAD src0_sel:WORD_1
	s_waitcnt vmcnt(0)
	ds_write_b128 v169, v[2:5]
	s_waitcnt lgkmcnt(0)
	s_barrier
	ds_read_u16 v2, v99 offset:272
	ds_read_u16 v3, v99 offset:544
	ds_read_u16 v4, v103
	ds_read_u16 v29, v103 offset:32
	v_cvt_f32_f16_sdwa v5, v27 dst_sel:DWORD dst_unused:UNUSED_PAD src0_sel:WORD_1
	s_waitcnt lgkmcnt(1)
	v_perm_b32 v31, v4, v3, s86
	ds_read_u16 v3, v99
	ds_read_u16 v32, v99 offset:32
	v_cvt_f32_f16_e32 v4, v27
	s_waitcnt lgkmcnt(1)
	v_perm_b32 v30, v2, v3, s86
	v_cvt_f32_f16_e32 v2, v28
	v_cvt_f32_f16_sdwa v3, v28 dst_sel:DWORD dst_unused:UNUSED_PAD src0_sel:WORD_1
	s_nop 1
	v_mfma_f32_16x16x16_f16 v[2:5], v[30:31], v[18:19], v[2:5]
	s_nop 7
	v_cvt_f16_f32_e32 v4, v4
	v_cvt_f16_f32_e32 v5, v5
	;; [unrolled: 1-line block ×4, first 2 shown]
	v_perm_b32 v26, v5, v4, s86
	ds_read_u16 v4, v99 offset:304
	ds_read_u16 v5, v99 offset:576
	v_perm_b32 v30, v31, v30, s86
	s_waitcnt lgkmcnt(1)
	v_perm_b32 v4, v4, v32, s86
	s_waitcnt lgkmcnt(0)
	v_perm_b32 v5, v29, v5, s86
	v_cvt_f32_f16_e32 v32, v7
	s_nop 1
	v_mfma_f32_16x16x16_f16 v[4:7], v[4:5], v[18:19], v[32:35]
	s_nop 7
	v_cvt_f16_f32_e32 v6, v6
	v_cvt_f16_f32_e32 v7, v7
	;; [unrolled: 1-line block ×4, first 2 shown]
	v_perm_b32 v27, v7, v6, s86
	ds_read_u16 v6, v99 offset:64
	ds_read_u16 v28, v99 offset:336
	;; [unrolled: 1-line block ×4, first 2 shown]
	v_perm_b32 v33, v34, v33, s86
	s_waitcnt lgkmcnt(2)
	v_perm_b32 v6, v28, v6, s86
	s_waitcnt lgkmcnt(0)
	v_perm_b32 v7, v29, v7, s86
	s_nop 1
	v_mfma_f32_16x16x16_f16 v[6:9], v[6:7], v[18:19], v[36:39]
	s_nop 2
	v_cvt_f32_f16_e32 v38, v11
	v_cvt_f32_f16_sdwa v39, v11 dst_sel:DWORD dst_unused:UNUSED_PAD src0_sel:WORD_1
	s_nop 2
	v_cvt_f16_f32_e32 v8, v8
	v_cvt_f16_f32_e32 v9, v9
	v_cvt_f16_f32_e32 v36, v6
	v_cvt_f16_f32_e32 v37, v7
	v_perm_b32 v28, v9, v8, s86
	ds_read_u16 v8, v99 offset:96
	ds_read_u16 v29, v99 offset:368
	ds_read_u16 v9, v99 offset:640
	ds_read_u16 v32, v103 offset:96
	v_perm_b32 v36, v37, v36, s86
	s_waitcnt lgkmcnt(2)
	v_perm_b32 v8, v29, v8, s86
	s_waitcnt lgkmcnt(0)
	v_perm_b32 v9, v32, v9, s86
	s_nop 1
	v_mfma_f32_16x16x16_f16 v[8:11], v[8:9], v[18:19], v[38:41]
	s_nop 7
	v_cvt_f16_f32_e32 v10, v10
	v_cvt_f16_f32_e32 v11, v11
	v_cvt_f16_f32_e32 v39, v8
	v_cvt_f16_f32_e32 v40, v9
	v_perm_b32 v29, v11, v10, s86
	ds_read_u16 v10, v99 offset:128
	ds_read_u16 v32, v99 offset:400
	ds_read_u16 v11, v99 offset:672
	ds_read_u16 v35, v103 offset:128
	v_perm_b32 v39, v40, v39, s86
	s_waitcnt lgkmcnt(2)
	v_perm_b32 v10, v32, v10, s86
	s_waitcnt lgkmcnt(0)
	v_perm_b32 v11, v35, v11, s86
	s_nop 1
	v_mfma_f32_16x16x16_f16 v[10:13], v[10:11], v[18:19], v[42:45]
	s_nop 7
	v_cvt_f16_f32_e32 v12, v12
	v_cvt_f16_f32_e32 v13, v13
	v_cvt_f16_f32_e32 v41, v10
	v_cvt_f16_f32_e32 v42, v11
	v_perm_b32 v32, v13, v12, s86
	ds_read_u16 v12, v99 offset:160
	ds_read_u16 v35, v99 offset:432
	ds_read_u16 v13, v99 offset:704
	ds_read_u16 v38, v103 offset:160
	v_perm_b32 v41, v42, v41, s86
	s_waitcnt lgkmcnt(2)
	v_perm_b32 v12, v35, v12, s86
	s_waitcnt lgkmcnt(0)
	v_perm_b32 v13, v38, v13, s86
	s_nop 1
	v_mfma_f32_16x16x16_f16 v[12:15], v[12:13], v[18:19], v[122:125]
	s_nop 2
	v_cvt_f32_f16_e32 v122, v17
	v_cvt_f32_f16_sdwa v123, v17 dst_sel:DWORD dst_unused:UNUSED_PAD src0_sel:WORD_1
	v_cvt_f32_f16_e32 v124, v16
	s_nop 1
	v_cvt_f16_f32_e32 v14, v14
	v_cvt_f16_f32_e32 v15, v15
	v_cvt_f32_f16_sdwa v125, v16 dst_sel:DWORD dst_unused:UNUSED_PAD src0_sel:WORD_1
	v_cvt_f16_f32_e32 v43, v12
	v_cvt_f16_f32_e32 v44, v13
	v_perm_b32 v35, v15, v14, s86
	ds_read_u16 v14, v99 offset:192
	ds_read_u16 v38, v99 offset:464
	;; [unrolled: 1-line block ×4, first 2 shown]
	s_waitcnt lgkmcnt(2)
	v_perm_b32 v14, v38, v14, s86
	s_waitcnt lgkmcnt(0)
	v_perm_b32 v15, v45, v15, s86
	s_nop 1
	v_mfma_f32_16x16x16_f16 v[14:17], v[14:15], v[18:19], v[122:125]
	s_nop 2
	v_cvt_f32_f16_sdwa v123, v25 dst_sel:DWORD dst_unused:UNUSED_PAD src0_sel:WORD_1
	v_cvt_f32_f16_e32 v124, v24
	v_cvt_f32_f16_sdwa v125, v24 dst_sel:DWORD dst_unused:UNUSED_PAD src0_sel:WORD_1
	s_nop 1
	v_cvt_f16_f32_e32 v16, v16
	v_cvt_f16_f32_e32 v17, v17
	v_cvt_f16_f32_e32 v45, v14
	v_cvt_f16_f32_e32 v52, v15
	v_perm_b32 v38, v17, v16, s86
	ds_read_u16 v16, v99 offset:224
	ds_read_u16 v101, v99 offset:496
	;; [unrolled: 1-line block ×4, first 2 shown]
	s_waitcnt lgkmcnt(0)
	s_barrier
	v_perm_b32 v16, v101, v16, s86
	v_perm_b32 v17, v122, v17, s86
	v_cvt_f32_f16_e32 v122, v25
	s_nop 1
	v_mfma_f32_16x16x16_f16 v[16:19], v[16:17], v[18:19], v[122:125]
	s_nop 7
	v_cvt_f16_f32_e32 v18, v18
	v_cvt_f16_f32_e32 v19, v19
	;; [unrolled: 1-line block ×4, first 2 shown]
	v_perm_b32 v18, v19, v18, s86
	ds_bpermute_b32 v19, v22, v21
	s_waitcnt lgkmcnt(0)
	v_add_f32_e32 v19, v21, v19
	ds_bpermute_b32 v21, v23, v19
	s_waitcnt lgkmcnt(0)
	v_add_f32_e32 v21, v19, v21
	v_perm_b32 v19, v25, v24, s86
	v_perm_b32 v24, v52, v45, s86
	;; [unrolled: 1-line block ×3, first 2 shown]
	s_and_saveexec_b64 s[8:9], s[12:13]
	s_cbranch_execz .LBB24_155
; %bb.154:                              ;   in Loop: Header=BB24_12 Depth=1
	v_lshlrev_b32_e32 v19, 2, v98
	global_load_dword v19, v19, s[74:75]
	v_cvt_pk_f16_f32 v24, v2, v3
	v_max_f32_e32 v2, v20, v20
	v_cvt_pk_f16_f32 v4, v4, v5
	v_cvt_pk_f16_f32 v5, v6, v7
	;; [unrolled: 1-line block ×5, first 2 shown]
	s_waitcnt vmcnt(0)
	v_max_f32_e32 v3, v19, v19
	v_max_f32_e32 v2, v2, v3
	v_sub_f32_e32 v3, v20, v2
	v_sub_f32_e32 v9, v19, v2
	v_mul_f32_e32 v10, 0x3fb8aa3b, v3
	v_mul_f32_e32 v11, 0x3fb8aa3b, v9
	v_fma_f32 v12, v3, s45, -v10
	v_rndne_f32_e32 v13, v10
	v_fma_f32 v19, v9, s45, -v11
	v_rndne_f32_e32 v20, v11
	v_fmac_f32_e32 v12, 0x32a5705f, v3
	v_sub_f32_e32 v10, v10, v13
	v_fmac_f32_e32 v19, 0x32a5705f, v9
	v_sub_f32_e32 v11, v11, v20
	v_add_f32_e32 v10, v10, v12
	v_cvt_i32_f32_e32 v13, v13
	v_add_f32_e32 v11, v11, v19
	v_exp_f32_e32 v10, v10
	v_cvt_i32_f32_e32 v20, v20
	v_exp_f32_e32 v11, v11
	v_cmp_ngt_f32_e32 vcc, s67, v3
	v_ldexp_f32 v10, v10, v13
	v_cvt_pk_f16_f32 v12, v14, v15
	v_ldexp_f32 v11, v11, v20
	v_cndmask_b32_e32 v10, 0, v10, vcc
	v_cmp_ngt_f32_e32 vcc, s67, v9
	v_cvt_pk_f16_f32 v14, v16, v17
	s_nop 0
	v_cndmask_b32_e32 v11, 0, v11, vcc
	v_cmp_nlt_f32_e32 vcc, s66, v3
	s_nop 1
	v_cndmask_b32_e32 v10, v188, v10, vcc
	v_cmp_le_f32_e32 vcc, s33, v3
	s_nop 1
	v_cndmask_b32_e32 v10, 0, v10, vcc
	v_cvt_f16_f32_e32 v13, v10
	v_cmp_nlt_f32_e32 vcc, s66, v9
	v_mul_u32_u24_e32 v9, 0x10001, v13
	s_nop 0
	v_cndmask_b32_e32 v3, v188, v11, vcc
	v_fmac_f32_e32 v3, v21, v10
	v_pk_mul_f16 v30, v24, v9
	v_pk_mul_f16 v26, v26, v9
	;; [unrolled: 1-line block ×16, first 2 shown]
	v_mov_b64_e32 v[20:21], v[2:3]
.LBB24_155:                             ;   in Loop: Header=BB24_12 Depth=1
	s_or_b64 exec, exec, s[8:9]
	s_and_saveexec_b64 s[8:9], s[6:7]
; %bb.156:                              ;   in Loop: Header=BB24_12 Depth=1
	v_add_u32_e32 v2, 0, v144
	ds_write2_b32 v2, v20, v21 offset0:64 offset1:65
; %bb.157:                              ;   in Loop: Header=BB24_12 Depth=1
	s_or_b64 exec, exec, s[8:9]
	s_waitcnt lgkmcnt(0)
	s_barrier
	s_and_saveexec_b64 s[8:9], s[10:11]
	s_xor_b64 s[8:9], exec, s[8:9]
	s_cbranch_execz .LBB24_159
; %bb.158:                              ;   in Loop: Header=BB24_12 Depth=1
	s_barrier
                                        ; implicit-def: $vgpr22
                                        ; implicit-def: $vgpr23
.LBB24_159:                             ;   in Loop: Header=BB24_12 Depth=1
	s_andn2_saveexec_b64 s[8:9], s[8:9]
	s_cbranch_execz .LBB24_161
; %bb.160:                              ;   in Loop: Header=BB24_12 Depth=1
	v_add_u32_e32 v4, 0, v144
	ds_read_b64 v[2:3], v4 offset:256
	s_waitcnt lgkmcnt(0)
	s_barrier
	ds_bpermute_b32 v5, v22, v2
	v_max_f32_e32 v6, v2, v2
	s_waitcnt lgkmcnt(0)
	v_max_f32_e32 v5, v5, v5
	v_max_f32_e32 v5, v6, v5
	ds_bpermute_b32 v6, v23, v5
	s_waitcnt lgkmcnt(0)
	v_max_f32_e32 v6, v6, v6
	v_max_f32_e32 v5, v5, v6
	v_sub_f32_e32 v2, v2, v5
	v_mul_f32_e32 v5, 0x3fb8aa3b, v2
	v_fma_f32 v6, v2, s45, -v5
	v_rndne_f32_e32 v7, v5
	v_fmac_f32_e32 v6, 0x32a5705f, v2
	v_sub_f32_e32 v5, v5, v7
	v_add_f32_e32 v5, v5, v6
	v_cvt_i32_f32_e32 v7, v7
	v_exp_f32_e32 v5, v5
	v_cmp_ngt_f32_e32 vcc, s67, v2
	v_ldexp_f32 v5, v5, v7
	s_nop 0
	v_cndmask_b32_e32 v5, 0, v5, vcc
	v_cmp_nlt_f32_e32 vcc, s66, v2
	s_nop 1
	v_cndmask_b32_e32 v2, v188, v5, vcc
	v_mul_f32_e32 v5, v3, v2
	ds_bpermute_b32 v5, v22, v5
	s_waitcnt lgkmcnt(0)
	v_fmac_f32_e32 v5, v3, v2
	ds_bpermute_b32 v3, v23, v5
	s_waitcnt lgkmcnt(0)
	v_add_f32_e32 v3, v5, v3
	ds_write_b64 v4, v[2:3] offset:256
.LBB24_161:                             ;   in Loop: Header=BB24_12 Depth=1
	s_or_b64 exec, exec, s[8:9]
	v_add_u32_e32 v2, v145, v146
	ds_write2_b32 v2, v30, v26 offset1:1
	ds_write2_b32 v2, v33, v27 offset0:8 offset1:9
	ds_write2_b32 v2, v36, v28 offset0:16 offset1:17
	;; [unrolled: 1-line block ×7, first 2 shown]
	s_waitcnt lgkmcnt(0)
	s_barrier
	s_and_saveexec_b64 s[74:75], s[0:1]
	s_cbranch_execz .LBB24_10
; %bb.162:                              ;   in Loop: Header=BB24_12 Depth=1
	v_add_u32_e32 v3, s82, v174
	v_or_b32_e32 v2, s2, v102
	v_cmp_gt_i32_e32 vcc, s36, v3
	v_cmp_gt_i32_e64 s[8:9], s3, v2
	s_and_b64 s[62:63], vcc, s[8:9]
	v_mov_b32_e32 v2, 0x47
	s_and_saveexec_b64 s[12:13], s[62:63]
	s_cbranch_execz .LBB24_164
; %bb.163:                              ;   in Loop: Header=BB24_12 Depth=1
	v_mad_u64_u32 v[2:3], s[62:63], v3, s37, v[102:103]
	v_add_u32_e32 v12, 0, v147
	v_add_u32_e32 v3, v143, v147
	ds_read2_b32 v[4:5], v12 offset0:64 offset1:65
	ds_read2st64_b32 v[6:7], v3 offset1:17
	ds_read2st64_b32 v[8:9], v12 offset0:18 offset1:35
	ds_read2st64_b32 v[10:11], v3 offset0:34 offset1:51
	ds_read_b32 v12, v12 offset:13312
	v_lshl_add_u32 v2, v2, 6, v46
	s_waitcnt lgkmcnt(3)
	v_cvt_f32_f16_e32 v14, v6
	v_cvt_f32_f16_sdwa v15, v6 dst_sel:DWORD dst_unused:UNUSED_PAD src0_sel:WORD_1
	v_cvt_f32_f16_e32 v6, v7
	v_cvt_f32_f16_sdwa v7, v7 dst_sel:DWORD dst_unused:UNUSED_PAD src0_sel:WORD_1
	v_ashrrev_i32_e32 v3, 31, v2
	v_pk_fma_f32 v[14:15], v[4:5], v[14:15], 0 op_sel_hi:[0,1,0]
	s_waitcnt lgkmcnt(2)
	v_mov_b32_e32 v4, v9
	v_pk_fma_f32 v[6:7], v[8:9], v[6:7], v[14:15] op_sel_hi:[0,1,1]
	s_waitcnt lgkmcnt(1)
	v_cvt_f32_f16_e32 v14, v10
	v_cvt_f32_f16_sdwa v15, v10 dst_sel:DWORD dst_unused:UNUSED_PAD src0_sel:WORD_1
	v_cvt_f32_f16_e32 v8, v11
	v_cvt_f32_f16_sdwa v9, v11 dst_sel:DWORD dst_unused:UNUSED_PAD src0_sel:WORD_1
	v_lshl_add_u64 v[2:3], v[2:3], 3, s[72:73]
	v_pk_fma_f32 v[6:7], v[4:5], v[14:15], v[6:7] op_sel_hi:[0,1,1]
	s_waitcnt lgkmcnt(0)
	v_pk_fma_f32 v[6:7], v[12:13], v[8:9], v[6:7] op_sel_hi:[0,1,1]
	v_div_scale_f32 v4, s[62:63], v5, v5, v7
	v_rcp_f32_e32 v8, v4
	s_nop 0
	v_fma_f32 v9, -v4, v8, 1.0
	v_fmac_f32_e32 v8, v9, v8
	v_div_scale_f32 v9, vcc, v7, v5, v7
	v_mul_f32_e32 v10, v9, v8
	v_fma_f32 v11, -v4, v10, v9
	v_fmac_f32_e32 v10, v11, v8
	v_fma_f32 v4, -v4, v10, v9
	v_div_fmas_f32 v4, v4, v8, v10
	v_div_fixup_f32 v7, v4, v5, v7
	v_div_scale_f32 v4, s[62:63], v5, v5, v6
	v_rcp_f32_e32 v8, v4
	s_nop 0
	v_fma_f32 v9, -v4, v8, 1.0
	v_fmac_f32_e32 v8, v9, v8
	v_div_scale_f32 v9, vcc, v6, v5, v6
	v_mul_f32_e32 v10, v9, v8
	v_fma_f32 v11, -v4, v10, v9
	v_fmac_f32_e32 v10, v11, v8
	v_fma_f32 v4, -v4, v10, v9
	v_div_fmas_f32 v4, v4, v8, v10
	v_div_fixup_f32 v6, v4, v5, v6
	global_store_dwordx2 v[2:3], v[6:7], off
	v_mov_b32_e32 v2, 0
.LBB24_164:                             ;   in Loop: Header=BB24_12 Depth=1
	s_or_b64 exec, exec, s[12:13]
	s_movk_i32 s12, 0x47
	v_cmp_gt_i32_e32 vcc, s12, v2
	s_mov_b64 s[12:13], -1
	s_and_saveexec_b64 s[76:77], vcc
; %bb.165:                              ;   in Loop: Header=BB24_12 Depth=1
	v_cmp_eq_u32_e32 vcc, 0, v2
	s_orn2_b64 s[12:13], vcc, exec
; %bb.166:                              ;   in Loop: Header=BB24_12 Depth=1
	s_or_b64 exec, exec, s[76:77]
	s_and_b64 exec, exec, s[12:13]
	s_cbranch_execz .LBB24_10
; %bb.167:                              ;   in Loop: Header=BB24_12 Depth=1
	v_add_u32_e32 v3, s82, v175
	v_or_b32_e32 v2, s2, v74
	v_cmp_gt_i32_e32 vcc, s36, v3
	v_cmp_gt_i32_e64 s[12:13], s3, v2
	s_and_b64 s[62:63], vcc, s[12:13]
	v_mov_b32_e32 v2, 0x47
	s_and_saveexec_b64 s[12:13], s[62:63]
	s_cbranch_execz .LBB24_169
; %bb.168:                              ;   in Loop: Header=BB24_12 Depth=1
	v_mad_u64_u32 v[2:3], s[62:63], v3, s37, v[74:75]
	v_add_u32_e32 v12, 0, v148
	v_add_u32_e32 v3, v143, v148
	ds_read2_b32 v[4:5], v12 offset0:64 offset1:65
	ds_read2st64_b32 v[6:7], v3 offset1:17
	ds_read2st64_b32 v[8:9], v12 offset0:18 offset1:35
	ds_read2st64_b32 v[10:11], v3 offset0:34 offset1:51
	ds_read_b32 v12, v12 offset:13312
	v_lshl_add_u32 v2, v2, 6, v46
	s_waitcnt lgkmcnt(3)
	v_cvt_f32_f16_e32 v14, v6
	v_cvt_f32_f16_sdwa v15, v6 dst_sel:DWORD dst_unused:UNUSED_PAD src0_sel:WORD_1
	v_cvt_f32_f16_e32 v6, v7
	v_cvt_f32_f16_sdwa v7, v7 dst_sel:DWORD dst_unused:UNUSED_PAD src0_sel:WORD_1
	v_ashrrev_i32_e32 v3, 31, v2
	v_pk_fma_f32 v[14:15], v[4:5], v[14:15], 0 op_sel_hi:[0,1,0]
	s_waitcnt lgkmcnt(2)
	v_mov_b32_e32 v4, v9
	v_pk_fma_f32 v[6:7], v[8:9], v[6:7], v[14:15] op_sel_hi:[0,1,1]
	s_waitcnt lgkmcnt(1)
	v_cvt_f32_f16_e32 v14, v10
	v_cvt_f32_f16_sdwa v15, v10 dst_sel:DWORD dst_unused:UNUSED_PAD src0_sel:WORD_1
	v_cvt_f32_f16_e32 v8, v11
	v_cvt_f32_f16_sdwa v9, v11 dst_sel:DWORD dst_unused:UNUSED_PAD src0_sel:WORD_1
	v_lshl_add_u64 v[2:3], v[2:3], 3, s[72:73]
	v_pk_fma_f32 v[6:7], v[4:5], v[14:15], v[6:7] op_sel_hi:[0,1,1]
	s_waitcnt lgkmcnt(0)
	v_pk_fma_f32 v[6:7], v[12:13], v[8:9], v[6:7] op_sel_hi:[0,1,1]
	v_div_scale_f32 v4, s[62:63], v5, v5, v7
	v_rcp_f32_e32 v8, v4
	s_nop 0
	v_fma_f32 v9, -v4, v8, 1.0
	v_fmac_f32_e32 v8, v9, v8
	v_div_scale_f32 v9, vcc, v7, v5, v7
	v_mul_f32_e32 v10, v9, v8
	v_fma_f32 v11, -v4, v10, v9
	v_fmac_f32_e32 v10, v11, v8
	v_fma_f32 v4, -v4, v10, v9
	v_div_fmas_f32 v4, v4, v8, v10
	v_div_fixup_f32 v7, v4, v5, v7
	v_div_scale_f32 v4, s[62:63], v5, v5, v6
	v_rcp_f32_e32 v8, v4
	s_nop 0
	v_fma_f32 v9, -v4, v8, 1.0
	v_fmac_f32_e32 v8, v9, v8
	v_div_scale_f32 v9, vcc, v6, v5, v6
	v_mul_f32_e32 v10, v9, v8
	v_fma_f32 v11, -v4, v10, v9
	v_fmac_f32_e32 v10, v11, v8
	v_fma_f32 v4, -v4, v10, v9
	v_div_fmas_f32 v4, v4, v8, v10
	v_div_fixup_f32 v6, v4, v5, v6
	global_store_dwordx2 v[2:3], v[6:7], off
	v_mov_b32_e32 v2, 0
.LBB24_169:                             ;   in Loop: Header=BB24_12 Depth=1
	s_or_b64 exec, exec, s[12:13]
	s_movk_i32 s12, 0x47
	v_cmp_gt_i32_e32 vcc, s12, v2
	s_mov_b64 s[12:13], -1
	s_and_saveexec_b64 s[76:77], vcc
; %bb.170:                              ;   in Loop: Header=BB24_12 Depth=1
	v_cmp_eq_u32_e32 vcc, 0, v2
	s_orn2_b64 s[12:13], vcc, exec
; %bb.171:                              ;   in Loop: Header=BB24_12 Depth=1
	s_or_b64 exec, exec, s[76:77]
	s_and_b64 exec, exec, s[12:13]
	s_cbranch_execz .LBB24_10
; %bb.172:                              ;   in Loop: Header=BB24_12 Depth=1
	v_add_u32_e32 v3, s82, v176
	v_or_b32_e32 v2, s2, v76
	v_cmp_gt_i32_e32 vcc, s36, v3
	v_cmp_gt_i32_e64 s[12:13], s3, v2
	s_and_b64 s[62:63], vcc, s[12:13]
	v_mov_b32_e32 v2, 0x47
	s_and_saveexec_b64 s[12:13], s[62:63]
	s_cbranch_execz .LBB24_174
; %bb.173:                              ;   in Loop: Header=BB24_12 Depth=1
	v_mad_u64_u32 v[2:3], s[62:63], v3, s37, v[76:77]
	v_add_u32_e32 v12, 0, v149
	v_add_u32_e32 v3, v143, v149
	ds_read2_b32 v[4:5], v12 offset0:64 offset1:65
	ds_read2st64_b32 v[6:7], v3 offset1:17
	ds_read2st64_b32 v[8:9], v12 offset0:18 offset1:35
	ds_read2st64_b32 v[10:11], v3 offset0:34 offset1:51
	ds_read_b32 v12, v12 offset:13312
	v_lshl_add_u32 v2, v2, 6, v46
	s_waitcnt lgkmcnt(3)
	v_cvt_f32_f16_e32 v14, v6
	v_cvt_f32_f16_sdwa v15, v6 dst_sel:DWORD dst_unused:UNUSED_PAD src0_sel:WORD_1
	v_cvt_f32_f16_e32 v6, v7
	v_cvt_f32_f16_sdwa v7, v7 dst_sel:DWORD dst_unused:UNUSED_PAD src0_sel:WORD_1
	v_ashrrev_i32_e32 v3, 31, v2
	v_pk_fma_f32 v[14:15], v[4:5], v[14:15], 0 op_sel_hi:[0,1,0]
	s_waitcnt lgkmcnt(2)
	v_mov_b32_e32 v4, v9
	v_pk_fma_f32 v[6:7], v[8:9], v[6:7], v[14:15] op_sel_hi:[0,1,1]
	s_waitcnt lgkmcnt(1)
	v_cvt_f32_f16_e32 v14, v10
	v_cvt_f32_f16_sdwa v15, v10 dst_sel:DWORD dst_unused:UNUSED_PAD src0_sel:WORD_1
	v_cvt_f32_f16_e32 v8, v11
	v_cvt_f32_f16_sdwa v9, v11 dst_sel:DWORD dst_unused:UNUSED_PAD src0_sel:WORD_1
	v_lshl_add_u64 v[2:3], v[2:3], 3, s[72:73]
	v_pk_fma_f32 v[6:7], v[4:5], v[14:15], v[6:7] op_sel_hi:[0,1,1]
	s_waitcnt lgkmcnt(0)
	v_pk_fma_f32 v[6:7], v[12:13], v[8:9], v[6:7] op_sel_hi:[0,1,1]
	v_div_scale_f32 v4, s[62:63], v5, v5, v7
	v_rcp_f32_e32 v8, v4
	s_nop 0
	v_fma_f32 v9, -v4, v8, 1.0
	v_fmac_f32_e32 v8, v9, v8
	v_div_scale_f32 v9, vcc, v7, v5, v7
	v_mul_f32_e32 v10, v9, v8
	v_fma_f32 v11, -v4, v10, v9
	v_fmac_f32_e32 v10, v11, v8
	v_fma_f32 v4, -v4, v10, v9
	v_div_fmas_f32 v4, v4, v8, v10
	v_div_fixup_f32 v7, v4, v5, v7
	v_div_scale_f32 v4, s[62:63], v5, v5, v6
	v_rcp_f32_e32 v8, v4
	s_nop 0
	v_fma_f32 v9, -v4, v8, 1.0
	v_fmac_f32_e32 v8, v9, v8
	v_div_scale_f32 v9, vcc, v6, v5, v6
	v_mul_f32_e32 v10, v9, v8
	v_fma_f32 v11, -v4, v10, v9
	v_fmac_f32_e32 v10, v11, v8
	v_fma_f32 v4, -v4, v10, v9
	v_div_fmas_f32 v4, v4, v8, v10
	v_div_fixup_f32 v6, v4, v5, v6
	global_store_dwordx2 v[2:3], v[6:7], off
	v_mov_b32_e32 v2, 0
.LBB24_174:                             ;   in Loop: Header=BB24_12 Depth=1
	s_or_b64 exec, exec, s[12:13]
	s_movk_i32 s12, 0x47
	v_cmp_gt_i32_e32 vcc, s12, v2
	s_mov_b64 s[12:13], -1
	s_and_saveexec_b64 s[76:77], vcc
; %bb.175:                              ;   in Loop: Header=BB24_12 Depth=1
	v_cmp_eq_u32_e32 vcc, 0, v2
	s_orn2_b64 s[12:13], vcc, exec
; %bb.176:                              ;   in Loop: Header=BB24_12 Depth=1
	s_or_b64 exec, exec, s[76:77]
	s_and_b64 exec, exec, s[12:13]
	s_cbranch_execz .LBB24_10
; %bb.177:                              ;   in Loop: Header=BB24_12 Depth=1
	v_add_u32_e32 v3, s82, v177
	v_or_b32_e32 v2, s2, v78
	v_cmp_gt_i32_e32 vcc, s36, v3
	v_cmp_gt_i32_e64 s[12:13], s3, v2
	s_and_b64 s[62:63], vcc, s[12:13]
	v_mov_b32_e32 v2, 0x47
	s_and_saveexec_b64 s[12:13], s[62:63]
	s_cbranch_execz .LBB24_179
; %bb.178:                              ;   in Loop: Header=BB24_12 Depth=1
	v_mad_u64_u32 v[2:3], s[62:63], v3, s37, v[78:79]
	v_add_u32_e32 v12, 0, v150
	v_add_u32_e32 v3, v143, v150
	ds_read2_b32 v[4:5], v12 offset0:64 offset1:65
	ds_read2st64_b32 v[6:7], v3 offset1:17
	ds_read2st64_b32 v[8:9], v12 offset0:18 offset1:35
	ds_read2st64_b32 v[10:11], v3 offset0:34 offset1:51
	ds_read_b32 v12, v12 offset:13312
	v_lshl_add_u32 v2, v2, 6, v46
	s_waitcnt lgkmcnt(3)
	v_cvt_f32_f16_e32 v14, v6
	v_cvt_f32_f16_sdwa v15, v6 dst_sel:DWORD dst_unused:UNUSED_PAD src0_sel:WORD_1
	v_cvt_f32_f16_e32 v6, v7
	v_cvt_f32_f16_sdwa v7, v7 dst_sel:DWORD dst_unused:UNUSED_PAD src0_sel:WORD_1
	v_ashrrev_i32_e32 v3, 31, v2
	v_pk_fma_f32 v[14:15], v[4:5], v[14:15], 0 op_sel_hi:[0,1,0]
	s_waitcnt lgkmcnt(2)
	v_mov_b32_e32 v4, v9
	v_pk_fma_f32 v[6:7], v[8:9], v[6:7], v[14:15] op_sel_hi:[0,1,1]
	s_waitcnt lgkmcnt(1)
	v_cvt_f32_f16_e32 v14, v10
	v_cvt_f32_f16_sdwa v15, v10 dst_sel:DWORD dst_unused:UNUSED_PAD src0_sel:WORD_1
	v_cvt_f32_f16_e32 v8, v11
	v_cvt_f32_f16_sdwa v9, v11 dst_sel:DWORD dst_unused:UNUSED_PAD src0_sel:WORD_1
	v_lshl_add_u64 v[2:3], v[2:3], 3, s[72:73]
	v_pk_fma_f32 v[6:7], v[4:5], v[14:15], v[6:7] op_sel_hi:[0,1,1]
	s_waitcnt lgkmcnt(0)
	v_pk_fma_f32 v[6:7], v[12:13], v[8:9], v[6:7] op_sel_hi:[0,1,1]
	v_div_scale_f32 v4, s[62:63], v5, v5, v7
	v_rcp_f32_e32 v8, v4
	s_nop 0
	v_fma_f32 v9, -v4, v8, 1.0
	v_fmac_f32_e32 v8, v9, v8
	v_div_scale_f32 v9, vcc, v7, v5, v7
	v_mul_f32_e32 v10, v9, v8
	v_fma_f32 v11, -v4, v10, v9
	v_fmac_f32_e32 v10, v11, v8
	v_fma_f32 v4, -v4, v10, v9
	v_div_fmas_f32 v4, v4, v8, v10
	v_div_fixup_f32 v7, v4, v5, v7
	v_div_scale_f32 v4, s[62:63], v5, v5, v6
	v_rcp_f32_e32 v8, v4
	s_nop 0
	v_fma_f32 v9, -v4, v8, 1.0
	v_fmac_f32_e32 v8, v9, v8
	v_div_scale_f32 v9, vcc, v6, v5, v6
	v_mul_f32_e32 v10, v9, v8
	v_fma_f32 v11, -v4, v10, v9
	v_fmac_f32_e32 v10, v11, v8
	v_fma_f32 v4, -v4, v10, v9
	v_div_fmas_f32 v4, v4, v8, v10
	v_div_fixup_f32 v6, v4, v5, v6
	global_store_dwordx2 v[2:3], v[6:7], off
	v_mov_b32_e32 v2, 0
.LBB24_179:                             ;   in Loop: Header=BB24_12 Depth=1
	s_or_b64 exec, exec, s[12:13]
	s_movk_i32 s12, 0x47
	v_cmp_gt_i32_e32 vcc, s12, v2
	s_mov_b64 s[12:13], -1
	s_and_saveexec_b64 s[76:77], vcc
; %bb.180:                              ;   in Loop: Header=BB24_12 Depth=1
	v_cmp_eq_u32_e32 vcc, 0, v2
	s_orn2_b64 s[12:13], vcc, exec
; %bb.181:                              ;   in Loop: Header=BB24_12 Depth=1
	s_or_b64 exec, exec, s[76:77]
	s_and_b64 exec, exec, s[12:13]
	s_cbranch_execz .LBB24_10
; %bb.182:                              ;   in Loop: Header=BB24_12 Depth=1
	v_add_u32_e32 v3, s82, v151
	v_cmp_gt_i32_e32 vcc, s36, v3
	s_and_b64 s[62:63], vcc, s[8:9]
	v_mov_b32_e32 v2, 0x47
	s_and_saveexec_b64 s[12:13], s[62:63]
	s_cbranch_execz .LBB24_184
; %bb.183:                              ;   in Loop: Header=BB24_12 Depth=1
	v_mad_u64_u32 v[2:3], s[62:63], v3, s37, v[102:103]
	v_add_u32_e32 v12, 0, v152
	v_add_u32_e32 v3, v143, v152
	ds_read2_b32 v[4:5], v12 offset0:64 offset1:65
	ds_read2st64_b32 v[6:7], v3 offset1:17
	ds_read2st64_b32 v[8:9], v12 offset0:18 offset1:35
	ds_read2st64_b32 v[10:11], v3 offset0:34 offset1:51
	ds_read_b32 v12, v12 offset:13312
	v_lshl_add_u32 v2, v2, 6, v46
	s_waitcnt lgkmcnt(3)
	v_cvt_f32_f16_e32 v14, v6
	v_cvt_f32_f16_sdwa v15, v6 dst_sel:DWORD dst_unused:UNUSED_PAD src0_sel:WORD_1
	v_cvt_f32_f16_e32 v6, v7
	v_cvt_f32_f16_sdwa v7, v7 dst_sel:DWORD dst_unused:UNUSED_PAD src0_sel:WORD_1
	v_ashrrev_i32_e32 v3, 31, v2
	v_pk_fma_f32 v[14:15], v[4:5], v[14:15], 0 op_sel_hi:[0,1,0]
	s_waitcnt lgkmcnt(2)
	v_mov_b32_e32 v4, v9
	v_pk_fma_f32 v[6:7], v[8:9], v[6:7], v[14:15] op_sel_hi:[0,1,1]
	s_waitcnt lgkmcnt(1)
	v_cvt_f32_f16_e32 v14, v10
	v_cvt_f32_f16_sdwa v15, v10 dst_sel:DWORD dst_unused:UNUSED_PAD src0_sel:WORD_1
	v_cvt_f32_f16_e32 v8, v11
	v_cvt_f32_f16_sdwa v9, v11 dst_sel:DWORD dst_unused:UNUSED_PAD src0_sel:WORD_1
	v_lshl_add_u64 v[2:3], v[2:3], 3, s[72:73]
	v_pk_fma_f32 v[6:7], v[4:5], v[14:15], v[6:7] op_sel_hi:[0,1,1]
	s_waitcnt lgkmcnt(0)
	v_pk_fma_f32 v[6:7], v[12:13], v[8:9], v[6:7] op_sel_hi:[0,1,1]
	v_div_scale_f32 v4, s[62:63], v5, v5, v7
	v_rcp_f32_e32 v8, v4
	s_nop 0
	v_fma_f32 v9, -v4, v8, 1.0
	v_fmac_f32_e32 v8, v9, v8
	v_div_scale_f32 v9, vcc, v7, v5, v7
	v_mul_f32_e32 v10, v9, v8
	v_fma_f32 v11, -v4, v10, v9
	v_fmac_f32_e32 v10, v11, v8
	v_fma_f32 v4, -v4, v10, v9
	v_div_fmas_f32 v4, v4, v8, v10
	v_div_fixup_f32 v7, v4, v5, v7
	v_div_scale_f32 v4, s[62:63], v5, v5, v6
	v_rcp_f32_e32 v8, v4
	s_nop 0
	v_fma_f32 v9, -v4, v8, 1.0
	v_fmac_f32_e32 v8, v9, v8
	v_div_scale_f32 v9, vcc, v6, v5, v6
	v_mul_f32_e32 v10, v9, v8
	v_fma_f32 v11, -v4, v10, v9
	v_fmac_f32_e32 v10, v11, v8
	v_fma_f32 v4, -v4, v10, v9
	v_div_fmas_f32 v4, v4, v8, v10
	v_div_fixup_f32 v6, v4, v5, v6
	global_store_dwordx2 v[2:3], v[6:7], off
	v_mov_b32_e32 v2, 0
.LBB24_184:                             ;   in Loop: Header=BB24_12 Depth=1
	s_or_b64 exec, exec, s[12:13]
	s_movk_i32 s12, 0x47
	v_cmp_gt_i32_e32 vcc, s12, v2
	s_mov_b64 s[12:13], -1
	s_and_saveexec_b64 s[76:77], vcc
; %bb.185:                              ;   in Loop: Header=BB24_12 Depth=1
	v_cmp_eq_u32_e32 vcc, 0, v2
	s_orn2_b64 s[12:13], vcc, exec
; %bb.186:                              ;   in Loop: Header=BB24_12 Depth=1
	s_or_b64 exec, exec, s[76:77]
	s_and_b64 exec, exec, s[12:13]
	s_cbranch_execz .LBB24_10
; %bb.187:                              ;   in Loop: Header=BB24_12 Depth=1
	v_add_u32_e32 v3, s82, v178
	v_or_b32_e32 v2, s2, v80
	v_cmp_gt_i32_e32 vcc, s36, v3
	v_cmp_gt_i32_e64 s[12:13], s3, v2
	s_and_b64 s[62:63], vcc, s[12:13]
	v_mov_b32_e32 v2, 0x47
	s_and_saveexec_b64 s[12:13], s[62:63]
	s_cbranch_execz .LBB24_189
; %bb.188:                              ;   in Loop: Header=BB24_12 Depth=1
	v_mad_u64_u32 v[2:3], s[62:63], v3, s37, v[80:81]
	v_add_u32_e32 v12, 0, v153
	v_add_u32_e32 v3, v143, v153
	ds_read2_b32 v[4:5], v12 offset0:64 offset1:65
	ds_read2st64_b32 v[6:7], v3 offset1:17
	ds_read2st64_b32 v[8:9], v12 offset0:18 offset1:35
	ds_read2st64_b32 v[10:11], v3 offset0:34 offset1:51
	ds_read_b32 v12, v12 offset:13312
	v_lshl_add_u32 v2, v2, 6, v46
	s_waitcnt lgkmcnt(3)
	v_cvt_f32_f16_e32 v14, v6
	v_cvt_f32_f16_sdwa v15, v6 dst_sel:DWORD dst_unused:UNUSED_PAD src0_sel:WORD_1
	v_cvt_f32_f16_e32 v6, v7
	v_cvt_f32_f16_sdwa v7, v7 dst_sel:DWORD dst_unused:UNUSED_PAD src0_sel:WORD_1
	v_ashrrev_i32_e32 v3, 31, v2
	v_pk_fma_f32 v[14:15], v[4:5], v[14:15], 0 op_sel_hi:[0,1,0]
	s_waitcnt lgkmcnt(2)
	v_mov_b32_e32 v4, v9
	v_pk_fma_f32 v[6:7], v[8:9], v[6:7], v[14:15] op_sel_hi:[0,1,1]
	s_waitcnt lgkmcnt(1)
	v_cvt_f32_f16_e32 v14, v10
	v_cvt_f32_f16_sdwa v15, v10 dst_sel:DWORD dst_unused:UNUSED_PAD src0_sel:WORD_1
	v_cvt_f32_f16_e32 v8, v11
	v_cvt_f32_f16_sdwa v9, v11 dst_sel:DWORD dst_unused:UNUSED_PAD src0_sel:WORD_1
	v_lshl_add_u64 v[2:3], v[2:3], 3, s[72:73]
	v_pk_fma_f32 v[6:7], v[4:5], v[14:15], v[6:7] op_sel_hi:[0,1,1]
	s_waitcnt lgkmcnt(0)
	v_pk_fma_f32 v[6:7], v[12:13], v[8:9], v[6:7] op_sel_hi:[0,1,1]
	v_div_scale_f32 v4, s[62:63], v5, v5, v7
	v_rcp_f32_e32 v8, v4
	s_nop 0
	v_fma_f32 v9, -v4, v8, 1.0
	v_fmac_f32_e32 v8, v9, v8
	v_div_scale_f32 v9, vcc, v7, v5, v7
	v_mul_f32_e32 v10, v9, v8
	v_fma_f32 v11, -v4, v10, v9
	v_fmac_f32_e32 v10, v11, v8
	v_fma_f32 v4, -v4, v10, v9
	v_div_fmas_f32 v4, v4, v8, v10
	v_div_fixup_f32 v7, v4, v5, v7
	v_div_scale_f32 v4, s[62:63], v5, v5, v6
	v_rcp_f32_e32 v8, v4
	s_nop 0
	v_fma_f32 v9, -v4, v8, 1.0
	v_fmac_f32_e32 v8, v9, v8
	v_div_scale_f32 v9, vcc, v6, v5, v6
	v_mul_f32_e32 v10, v9, v8
	v_fma_f32 v11, -v4, v10, v9
	v_fmac_f32_e32 v10, v11, v8
	v_fma_f32 v4, -v4, v10, v9
	v_div_fmas_f32 v4, v4, v8, v10
	v_div_fixup_f32 v6, v4, v5, v6
	global_store_dwordx2 v[2:3], v[6:7], off
	v_mov_b32_e32 v2, 0
.LBB24_189:                             ;   in Loop: Header=BB24_12 Depth=1
	s_or_b64 exec, exec, s[12:13]
	s_movk_i32 s12, 0x47
	v_cmp_gt_i32_e32 vcc, s12, v2
	s_mov_b64 s[12:13], -1
	s_and_saveexec_b64 s[76:77], vcc
; %bb.190:                              ;   in Loop: Header=BB24_12 Depth=1
	v_cmp_eq_u32_e32 vcc, 0, v2
	s_orn2_b64 s[12:13], vcc, exec
; %bb.191:                              ;   in Loop: Header=BB24_12 Depth=1
	s_or_b64 exec, exec, s[76:77]
	s_and_b64 exec, exec, s[12:13]
	s_cbranch_execz .LBB24_10
; %bb.192:                              ;   in Loop: Header=BB24_12 Depth=1
	v_add_u32_e32 v3, s82, v179
	v_or_b32_e32 v2, s2, v82
	v_cmp_gt_i32_e32 vcc, s36, v3
	v_cmp_gt_i32_e64 s[12:13], s3, v2
	s_and_b64 s[62:63], vcc, s[12:13]
	v_mov_b32_e32 v2, 0x47
	s_and_saveexec_b64 s[12:13], s[62:63]
	s_cbranch_execz .LBB24_194
; %bb.193:                              ;   in Loop: Header=BB24_12 Depth=1
	v_mad_u64_u32 v[2:3], s[62:63], v3, s37, v[82:83]
	v_add_u32_e32 v12, 0, v154
	v_add_u32_e32 v3, v143, v154
	ds_read2_b32 v[4:5], v12 offset0:64 offset1:65
	ds_read2st64_b32 v[6:7], v3 offset1:17
	ds_read2st64_b32 v[8:9], v12 offset0:18 offset1:35
	ds_read2st64_b32 v[10:11], v3 offset0:34 offset1:51
	ds_read_b32 v12, v12 offset:13312
	v_lshl_add_u32 v2, v2, 6, v46
	s_waitcnt lgkmcnt(3)
	v_cvt_f32_f16_e32 v14, v6
	v_cvt_f32_f16_sdwa v15, v6 dst_sel:DWORD dst_unused:UNUSED_PAD src0_sel:WORD_1
	v_cvt_f32_f16_e32 v6, v7
	v_cvt_f32_f16_sdwa v7, v7 dst_sel:DWORD dst_unused:UNUSED_PAD src0_sel:WORD_1
	v_ashrrev_i32_e32 v3, 31, v2
	v_pk_fma_f32 v[14:15], v[4:5], v[14:15], 0 op_sel_hi:[0,1,0]
	s_waitcnt lgkmcnt(2)
	v_mov_b32_e32 v4, v9
	v_pk_fma_f32 v[6:7], v[8:9], v[6:7], v[14:15] op_sel_hi:[0,1,1]
	s_waitcnt lgkmcnt(1)
	v_cvt_f32_f16_e32 v14, v10
	v_cvt_f32_f16_sdwa v15, v10 dst_sel:DWORD dst_unused:UNUSED_PAD src0_sel:WORD_1
	v_cvt_f32_f16_e32 v8, v11
	v_cvt_f32_f16_sdwa v9, v11 dst_sel:DWORD dst_unused:UNUSED_PAD src0_sel:WORD_1
	v_lshl_add_u64 v[2:3], v[2:3], 3, s[72:73]
	v_pk_fma_f32 v[6:7], v[4:5], v[14:15], v[6:7] op_sel_hi:[0,1,1]
	s_waitcnt lgkmcnt(0)
	v_pk_fma_f32 v[6:7], v[12:13], v[8:9], v[6:7] op_sel_hi:[0,1,1]
	v_div_scale_f32 v4, s[62:63], v5, v5, v7
	v_rcp_f32_e32 v8, v4
	s_nop 0
	v_fma_f32 v9, -v4, v8, 1.0
	v_fmac_f32_e32 v8, v9, v8
	v_div_scale_f32 v9, vcc, v7, v5, v7
	v_mul_f32_e32 v10, v9, v8
	v_fma_f32 v11, -v4, v10, v9
	v_fmac_f32_e32 v10, v11, v8
	v_fma_f32 v4, -v4, v10, v9
	v_div_fmas_f32 v4, v4, v8, v10
	v_div_fixup_f32 v7, v4, v5, v7
	v_div_scale_f32 v4, s[62:63], v5, v5, v6
	v_rcp_f32_e32 v8, v4
	s_nop 0
	v_fma_f32 v9, -v4, v8, 1.0
	v_fmac_f32_e32 v8, v9, v8
	v_div_scale_f32 v9, vcc, v6, v5, v6
	v_mul_f32_e32 v10, v9, v8
	v_fma_f32 v11, -v4, v10, v9
	v_fmac_f32_e32 v10, v11, v8
	v_fma_f32 v4, -v4, v10, v9
	v_div_fmas_f32 v4, v4, v8, v10
	v_div_fixup_f32 v6, v4, v5, v6
	global_store_dwordx2 v[2:3], v[6:7], off
	v_mov_b32_e32 v2, 0
.LBB24_194:                             ;   in Loop: Header=BB24_12 Depth=1
	s_or_b64 exec, exec, s[12:13]
	s_movk_i32 s12, 0x47
	v_cmp_gt_i32_e32 vcc, s12, v2
	s_mov_b64 s[12:13], -1
	s_and_saveexec_b64 s[76:77], vcc
; %bb.195:                              ;   in Loop: Header=BB24_12 Depth=1
	v_cmp_eq_u32_e32 vcc, 0, v2
	s_orn2_b64 s[12:13], vcc, exec
; %bb.196:                              ;   in Loop: Header=BB24_12 Depth=1
	s_or_b64 exec, exec, s[76:77]
	s_and_b64 exec, exec, s[12:13]
	s_cbranch_execz .LBB24_10
; %bb.197:                              ;   in Loop: Header=BB24_12 Depth=1
	v_add_u32_e32 v3, s82, v180
	v_or_b32_e32 v2, s2, v84
	v_cmp_gt_i32_e32 vcc, s36, v3
	v_cmp_gt_i32_e64 s[12:13], s3, v2
	s_and_b64 s[62:63], vcc, s[12:13]
	v_mov_b32_e32 v2, 0x47
	s_and_saveexec_b64 s[12:13], s[62:63]
	s_cbranch_execz .LBB24_199
; %bb.198:                              ;   in Loop: Header=BB24_12 Depth=1
	v_mad_u64_u32 v[2:3], s[62:63], v3, s37, v[84:85]
	v_add_u32_e32 v12, 0, v155
	v_add_u32_e32 v3, v143, v155
	ds_read2_b32 v[4:5], v12 offset0:64 offset1:65
	ds_read2st64_b32 v[6:7], v3 offset1:17
	ds_read2st64_b32 v[8:9], v12 offset0:18 offset1:35
	ds_read2st64_b32 v[10:11], v3 offset0:34 offset1:51
	ds_read_b32 v12, v12 offset:13312
	v_lshl_add_u32 v2, v2, 6, v46
	s_waitcnt lgkmcnt(3)
	v_cvt_f32_f16_e32 v14, v6
	v_cvt_f32_f16_sdwa v15, v6 dst_sel:DWORD dst_unused:UNUSED_PAD src0_sel:WORD_1
	v_cvt_f32_f16_e32 v6, v7
	v_cvt_f32_f16_sdwa v7, v7 dst_sel:DWORD dst_unused:UNUSED_PAD src0_sel:WORD_1
	v_ashrrev_i32_e32 v3, 31, v2
	v_pk_fma_f32 v[14:15], v[4:5], v[14:15], 0 op_sel_hi:[0,1,0]
	s_waitcnt lgkmcnt(2)
	v_mov_b32_e32 v4, v9
	v_pk_fma_f32 v[6:7], v[8:9], v[6:7], v[14:15] op_sel_hi:[0,1,1]
	s_waitcnt lgkmcnt(1)
	v_cvt_f32_f16_e32 v14, v10
	v_cvt_f32_f16_sdwa v15, v10 dst_sel:DWORD dst_unused:UNUSED_PAD src0_sel:WORD_1
	v_cvt_f32_f16_e32 v8, v11
	v_cvt_f32_f16_sdwa v9, v11 dst_sel:DWORD dst_unused:UNUSED_PAD src0_sel:WORD_1
	v_lshl_add_u64 v[2:3], v[2:3], 3, s[72:73]
	v_pk_fma_f32 v[6:7], v[4:5], v[14:15], v[6:7] op_sel_hi:[0,1,1]
	s_waitcnt lgkmcnt(0)
	v_pk_fma_f32 v[6:7], v[12:13], v[8:9], v[6:7] op_sel_hi:[0,1,1]
	v_div_scale_f32 v4, s[62:63], v5, v5, v7
	v_rcp_f32_e32 v8, v4
	s_nop 0
	v_fma_f32 v9, -v4, v8, 1.0
	v_fmac_f32_e32 v8, v9, v8
	v_div_scale_f32 v9, vcc, v7, v5, v7
	v_mul_f32_e32 v10, v9, v8
	v_fma_f32 v11, -v4, v10, v9
	v_fmac_f32_e32 v10, v11, v8
	v_fma_f32 v4, -v4, v10, v9
	v_div_fmas_f32 v4, v4, v8, v10
	v_div_fixup_f32 v7, v4, v5, v7
	v_div_scale_f32 v4, s[62:63], v5, v5, v6
	v_rcp_f32_e32 v8, v4
	s_nop 0
	v_fma_f32 v9, -v4, v8, 1.0
	v_fmac_f32_e32 v8, v9, v8
	v_div_scale_f32 v9, vcc, v6, v5, v6
	v_mul_f32_e32 v10, v9, v8
	v_fma_f32 v11, -v4, v10, v9
	v_fmac_f32_e32 v10, v11, v8
	v_fma_f32 v4, -v4, v10, v9
	v_div_fmas_f32 v4, v4, v8, v10
	v_div_fixup_f32 v6, v4, v5, v6
	global_store_dwordx2 v[2:3], v[6:7], off
	v_mov_b32_e32 v2, 0
.LBB24_199:                             ;   in Loop: Header=BB24_12 Depth=1
	s_or_b64 exec, exec, s[12:13]
	s_movk_i32 s12, 0x47
	v_cmp_gt_i32_e32 vcc, s12, v2
	s_mov_b64 s[12:13], -1
	s_and_saveexec_b64 s[76:77], vcc
; %bb.200:                              ;   in Loop: Header=BB24_12 Depth=1
	v_cmp_eq_u32_e32 vcc, 0, v2
	s_orn2_b64 s[12:13], vcc, exec
; %bb.201:                              ;   in Loop: Header=BB24_12 Depth=1
	s_or_b64 exec, exec, s[76:77]
	s_and_b64 exec, exec, s[12:13]
	s_cbranch_execz .LBB24_10
; %bb.202:                              ;   in Loop: Header=BB24_12 Depth=1
	v_add_u32_e32 v3, s82, v156
	v_cmp_gt_i32_e32 vcc, s36, v3
	s_and_b64 s[62:63], vcc, s[8:9]
	v_mov_b32_e32 v2, 0x47
	s_and_saveexec_b64 s[12:13], s[62:63]
	s_cbranch_execz .LBB24_204
; %bb.203:                              ;   in Loop: Header=BB24_12 Depth=1
	v_mad_u64_u32 v[2:3], s[62:63], v3, s37, v[102:103]
	v_add_u32_e32 v12, 0, v157
	v_add_u32_e32 v3, v143, v157
	ds_read2_b32 v[4:5], v12 offset0:64 offset1:65
	ds_read2st64_b32 v[6:7], v3 offset1:17
	ds_read2st64_b32 v[8:9], v12 offset0:18 offset1:35
	ds_read2st64_b32 v[10:11], v3 offset0:34 offset1:51
	ds_read_b32 v12, v12 offset:13312
	v_lshl_add_u32 v2, v2, 6, v46
	s_waitcnt lgkmcnt(3)
	v_cvt_f32_f16_e32 v14, v6
	v_cvt_f32_f16_sdwa v15, v6 dst_sel:DWORD dst_unused:UNUSED_PAD src0_sel:WORD_1
	v_cvt_f32_f16_e32 v6, v7
	v_cvt_f32_f16_sdwa v7, v7 dst_sel:DWORD dst_unused:UNUSED_PAD src0_sel:WORD_1
	v_ashrrev_i32_e32 v3, 31, v2
	v_pk_fma_f32 v[14:15], v[4:5], v[14:15], 0 op_sel_hi:[0,1,0]
	s_waitcnt lgkmcnt(2)
	v_mov_b32_e32 v4, v9
	v_pk_fma_f32 v[6:7], v[8:9], v[6:7], v[14:15] op_sel_hi:[0,1,1]
	s_waitcnt lgkmcnt(1)
	v_cvt_f32_f16_e32 v14, v10
	v_cvt_f32_f16_sdwa v15, v10 dst_sel:DWORD dst_unused:UNUSED_PAD src0_sel:WORD_1
	v_cvt_f32_f16_e32 v8, v11
	v_cvt_f32_f16_sdwa v9, v11 dst_sel:DWORD dst_unused:UNUSED_PAD src0_sel:WORD_1
	v_lshl_add_u64 v[2:3], v[2:3], 3, s[72:73]
	v_pk_fma_f32 v[6:7], v[4:5], v[14:15], v[6:7] op_sel_hi:[0,1,1]
	s_waitcnt lgkmcnt(0)
	v_pk_fma_f32 v[6:7], v[12:13], v[8:9], v[6:7] op_sel_hi:[0,1,1]
	v_div_scale_f32 v4, s[62:63], v5, v5, v7
	v_rcp_f32_e32 v8, v4
	s_nop 0
	v_fma_f32 v9, -v4, v8, 1.0
	v_fmac_f32_e32 v8, v9, v8
	v_div_scale_f32 v9, vcc, v7, v5, v7
	v_mul_f32_e32 v10, v9, v8
	v_fma_f32 v11, -v4, v10, v9
	v_fmac_f32_e32 v10, v11, v8
	v_fma_f32 v4, -v4, v10, v9
	v_div_fmas_f32 v4, v4, v8, v10
	v_div_fixup_f32 v7, v4, v5, v7
	v_div_scale_f32 v4, s[62:63], v5, v5, v6
	v_rcp_f32_e32 v8, v4
	s_nop 0
	v_fma_f32 v9, -v4, v8, 1.0
	v_fmac_f32_e32 v8, v9, v8
	v_div_scale_f32 v9, vcc, v6, v5, v6
	v_mul_f32_e32 v10, v9, v8
	v_fma_f32 v11, -v4, v10, v9
	v_fmac_f32_e32 v10, v11, v8
	v_fma_f32 v4, -v4, v10, v9
	v_div_fmas_f32 v4, v4, v8, v10
	v_div_fixup_f32 v6, v4, v5, v6
	global_store_dwordx2 v[2:3], v[6:7], off
	v_mov_b32_e32 v2, 0
.LBB24_204:                             ;   in Loop: Header=BB24_12 Depth=1
	s_or_b64 exec, exec, s[12:13]
	s_movk_i32 s12, 0x47
	v_cmp_gt_i32_e32 vcc, s12, v2
	s_mov_b64 s[12:13], -1
	s_and_saveexec_b64 s[76:77], vcc
; %bb.205:                              ;   in Loop: Header=BB24_12 Depth=1
	v_cmp_eq_u32_e32 vcc, 0, v2
	s_orn2_b64 s[12:13], vcc, exec
; %bb.206:                              ;   in Loop: Header=BB24_12 Depth=1
	s_or_b64 exec, exec, s[76:77]
	s_and_b64 exec, exec, s[12:13]
	s_cbranch_execz .LBB24_10
; %bb.207:                              ;   in Loop: Header=BB24_12 Depth=1
	v_add_u32_e32 v3, s82, v181
	v_or_b32_e32 v2, s2, v86
	v_cmp_gt_i32_e32 vcc, s36, v3
	v_cmp_gt_i32_e64 s[12:13], s3, v2
	s_and_b64 s[62:63], vcc, s[12:13]
	v_mov_b32_e32 v2, 0x47
	s_and_saveexec_b64 s[12:13], s[62:63]
	s_cbranch_execz .LBB24_209
; %bb.208:                              ;   in Loop: Header=BB24_12 Depth=1
	v_mad_u64_u32 v[2:3], s[62:63], v3, s37, v[86:87]
	v_add_u32_e32 v12, 0, v158
	v_add_u32_e32 v3, v143, v158
	ds_read2_b32 v[4:5], v12 offset0:64 offset1:65
	ds_read2st64_b32 v[6:7], v3 offset1:17
	ds_read2st64_b32 v[8:9], v12 offset0:18 offset1:35
	ds_read2st64_b32 v[10:11], v3 offset0:34 offset1:51
	ds_read_b32 v12, v12 offset:13312
	v_lshl_add_u32 v2, v2, 6, v46
	s_waitcnt lgkmcnt(3)
	v_cvt_f32_f16_e32 v14, v6
	v_cvt_f32_f16_sdwa v15, v6 dst_sel:DWORD dst_unused:UNUSED_PAD src0_sel:WORD_1
	v_cvt_f32_f16_e32 v6, v7
	v_cvt_f32_f16_sdwa v7, v7 dst_sel:DWORD dst_unused:UNUSED_PAD src0_sel:WORD_1
	v_ashrrev_i32_e32 v3, 31, v2
	v_pk_fma_f32 v[14:15], v[4:5], v[14:15], 0 op_sel_hi:[0,1,0]
	s_waitcnt lgkmcnt(2)
	v_mov_b32_e32 v4, v9
	v_pk_fma_f32 v[6:7], v[8:9], v[6:7], v[14:15] op_sel_hi:[0,1,1]
	s_waitcnt lgkmcnt(1)
	v_cvt_f32_f16_e32 v14, v10
	v_cvt_f32_f16_sdwa v15, v10 dst_sel:DWORD dst_unused:UNUSED_PAD src0_sel:WORD_1
	v_cvt_f32_f16_e32 v8, v11
	v_cvt_f32_f16_sdwa v9, v11 dst_sel:DWORD dst_unused:UNUSED_PAD src0_sel:WORD_1
	v_lshl_add_u64 v[2:3], v[2:3], 3, s[72:73]
	v_pk_fma_f32 v[6:7], v[4:5], v[14:15], v[6:7] op_sel_hi:[0,1,1]
	s_waitcnt lgkmcnt(0)
	v_pk_fma_f32 v[6:7], v[12:13], v[8:9], v[6:7] op_sel_hi:[0,1,1]
	v_div_scale_f32 v4, s[62:63], v5, v5, v7
	v_rcp_f32_e32 v8, v4
	s_nop 0
	v_fma_f32 v9, -v4, v8, 1.0
	v_fmac_f32_e32 v8, v9, v8
	v_div_scale_f32 v9, vcc, v7, v5, v7
	v_mul_f32_e32 v10, v9, v8
	v_fma_f32 v11, -v4, v10, v9
	v_fmac_f32_e32 v10, v11, v8
	v_fma_f32 v4, -v4, v10, v9
	v_div_fmas_f32 v4, v4, v8, v10
	v_div_fixup_f32 v7, v4, v5, v7
	v_div_scale_f32 v4, s[62:63], v5, v5, v6
	v_rcp_f32_e32 v8, v4
	s_nop 0
	v_fma_f32 v9, -v4, v8, 1.0
	v_fmac_f32_e32 v8, v9, v8
	v_div_scale_f32 v9, vcc, v6, v5, v6
	v_mul_f32_e32 v10, v9, v8
	v_fma_f32 v11, -v4, v10, v9
	v_fmac_f32_e32 v10, v11, v8
	v_fma_f32 v4, -v4, v10, v9
	v_div_fmas_f32 v4, v4, v8, v10
	v_div_fixup_f32 v6, v4, v5, v6
	global_store_dwordx2 v[2:3], v[6:7], off
	v_mov_b32_e32 v2, 0
.LBB24_209:                             ;   in Loop: Header=BB24_12 Depth=1
	s_or_b64 exec, exec, s[12:13]
	s_movk_i32 s12, 0x47
	v_cmp_gt_i32_e32 vcc, s12, v2
	s_mov_b64 s[12:13], -1
	s_and_saveexec_b64 s[76:77], vcc
; %bb.210:                              ;   in Loop: Header=BB24_12 Depth=1
	v_cmp_eq_u32_e32 vcc, 0, v2
	s_orn2_b64 s[12:13], vcc, exec
; %bb.211:                              ;   in Loop: Header=BB24_12 Depth=1
	s_or_b64 exec, exec, s[76:77]
	s_and_b64 exec, exec, s[12:13]
	s_cbranch_execz .LBB24_10
; %bb.212:                              ;   in Loop: Header=BB24_12 Depth=1
	v_add_u32_e32 v3, s82, v182
	v_or_b32_e32 v2, s2, v88
	v_cmp_gt_i32_e32 vcc, s36, v3
	v_cmp_gt_i32_e64 s[12:13], s3, v2
	s_and_b64 s[62:63], vcc, s[12:13]
	v_mov_b32_e32 v2, 0x47
	s_and_saveexec_b64 s[12:13], s[62:63]
	s_cbranch_execz .LBB24_214
; %bb.213:                              ;   in Loop: Header=BB24_12 Depth=1
	v_mad_u64_u32 v[2:3], s[62:63], v3, s37, v[88:89]
	v_add_u32_e32 v12, 0, v159
	v_add_u32_e32 v3, v143, v159
	ds_read2_b32 v[4:5], v12 offset0:64 offset1:65
	ds_read2st64_b32 v[6:7], v3 offset1:17
	ds_read2st64_b32 v[8:9], v12 offset0:18 offset1:35
	ds_read2st64_b32 v[10:11], v3 offset0:34 offset1:51
	ds_read_b32 v12, v12 offset:13312
	v_lshl_add_u32 v2, v2, 6, v46
	s_waitcnt lgkmcnt(3)
	v_cvt_f32_f16_e32 v14, v6
	v_cvt_f32_f16_sdwa v15, v6 dst_sel:DWORD dst_unused:UNUSED_PAD src0_sel:WORD_1
	v_cvt_f32_f16_e32 v6, v7
	v_cvt_f32_f16_sdwa v7, v7 dst_sel:DWORD dst_unused:UNUSED_PAD src0_sel:WORD_1
	v_ashrrev_i32_e32 v3, 31, v2
	v_pk_fma_f32 v[14:15], v[4:5], v[14:15], 0 op_sel_hi:[0,1,0]
	s_waitcnt lgkmcnt(2)
	v_mov_b32_e32 v4, v9
	v_pk_fma_f32 v[6:7], v[8:9], v[6:7], v[14:15] op_sel_hi:[0,1,1]
	s_waitcnt lgkmcnt(1)
	v_cvt_f32_f16_e32 v14, v10
	v_cvt_f32_f16_sdwa v15, v10 dst_sel:DWORD dst_unused:UNUSED_PAD src0_sel:WORD_1
	v_cvt_f32_f16_e32 v8, v11
	v_cvt_f32_f16_sdwa v9, v11 dst_sel:DWORD dst_unused:UNUSED_PAD src0_sel:WORD_1
	v_lshl_add_u64 v[2:3], v[2:3], 3, s[72:73]
	v_pk_fma_f32 v[6:7], v[4:5], v[14:15], v[6:7] op_sel_hi:[0,1,1]
	s_waitcnt lgkmcnt(0)
	v_pk_fma_f32 v[6:7], v[12:13], v[8:9], v[6:7] op_sel_hi:[0,1,1]
	v_div_scale_f32 v4, s[62:63], v5, v5, v7
	v_rcp_f32_e32 v8, v4
	s_nop 0
	v_fma_f32 v9, -v4, v8, 1.0
	v_fmac_f32_e32 v8, v9, v8
	v_div_scale_f32 v9, vcc, v7, v5, v7
	v_mul_f32_e32 v10, v9, v8
	v_fma_f32 v11, -v4, v10, v9
	v_fmac_f32_e32 v10, v11, v8
	v_fma_f32 v4, -v4, v10, v9
	v_div_fmas_f32 v4, v4, v8, v10
	v_div_fixup_f32 v7, v4, v5, v7
	v_div_scale_f32 v4, s[62:63], v5, v5, v6
	v_rcp_f32_e32 v8, v4
	s_nop 0
	v_fma_f32 v9, -v4, v8, 1.0
	v_fmac_f32_e32 v8, v9, v8
	v_div_scale_f32 v9, vcc, v6, v5, v6
	v_mul_f32_e32 v10, v9, v8
	v_fma_f32 v11, -v4, v10, v9
	v_fmac_f32_e32 v10, v11, v8
	v_fma_f32 v4, -v4, v10, v9
	v_div_fmas_f32 v4, v4, v8, v10
	v_div_fixup_f32 v6, v4, v5, v6
	global_store_dwordx2 v[2:3], v[6:7], off
	v_mov_b32_e32 v2, 0
.LBB24_214:                             ;   in Loop: Header=BB24_12 Depth=1
	s_or_b64 exec, exec, s[12:13]
	s_movk_i32 s12, 0x47
	v_cmp_gt_i32_e32 vcc, s12, v2
	s_mov_b64 s[12:13], -1
	s_and_saveexec_b64 s[76:77], vcc
; %bb.215:                              ;   in Loop: Header=BB24_12 Depth=1
	v_cmp_eq_u32_e32 vcc, 0, v2
	s_orn2_b64 s[12:13], vcc, exec
; %bb.216:                              ;   in Loop: Header=BB24_12 Depth=1
	s_or_b64 exec, exec, s[76:77]
	s_and_b64 exec, exec, s[12:13]
	s_cbranch_execz .LBB24_10
; %bb.217:                              ;   in Loop: Header=BB24_12 Depth=1
	v_add_u32_e32 v3, s82, v183
	v_or_b32_e32 v2, s2, v90
	v_cmp_gt_i32_e32 vcc, s36, v3
	v_cmp_gt_i32_e64 s[12:13], s3, v2
	s_and_b64 s[62:63], vcc, s[12:13]
	v_mov_b32_e32 v2, 0x47
	s_and_saveexec_b64 s[12:13], s[62:63]
	s_cbranch_execz .LBB24_219
; %bb.218:                              ;   in Loop: Header=BB24_12 Depth=1
	v_mad_u64_u32 v[2:3], s[62:63], v3, s37, v[90:91]
	v_add_u32_e32 v12, 0, v160
	v_add_u32_e32 v3, v143, v160
	ds_read2_b32 v[4:5], v12 offset0:64 offset1:65
	ds_read2st64_b32 v[6:7], v3 offset1:17
	ds_read2st64_b32 v[8:9], v12 offset0:18 offset1:35
	ds_read2st64_b32 v[10:11], v3 offset0:34 offset1:51
	ds_read_b32 v12, v12 offset:13312
	v_lshl_add_u32 v2, v2, 6, v46
	s_waitcnt lgkmcnt(3)
	v_cvt_f32_f16_e32 v14, v6
	v_cvt_f32_f16_sdwa v15, v6 dst_sel:DWORD dst_unused:UNUSED_PAD src0_sel:WORD_1
	v_cvt_f32_f16_e32 v6, v7
	v_cvt_f32_f16_sdwa v7, v7 dst_sel:DWORD dst_unused:UNUSED_PAD src0_sel:WORD_1
	v_ashrrev_i32_e32 v3, 31, v2
	v_pk_fma_f32 v[14:15], v[4:5], v[14:15], 0 op_sel_hi:[0,1,0]
	s_waitcnt lgkmcnt(2)
	v_mov_b32_e32 v4, v9
	v_pk_fma_f32 v[6:7], v[8:9], v[6:7], v[14:15] op_sel_hi:[0,1,1]
	s_waitcnt lgkmcnt(1)
	v_cvt_f32_f16_e32 v14, v10
	v_cvt_f32_f16_sdwa v15, v10 dst_sel:DWORD dst_unused:UNUSED_PAD src0_sel:WORD_1
	v_cvt_f32_f16_e32 v8, v11
	v_cvt_f32_f16_sdwa v9, v11 dst_sel:DWORD dst_unused:UNUSED_PAD src0_sel:WORD_1
	v_lshl_add_u64 v[2:3], v[2:3], 3, s[72:73]
	v_pk_fma_f32 v[6:7], v[4:5], v[14:15], v[6:7] op_sel_hi:[0,1,1]
	s_waitcnt lgkmcnt(0)
	v_pk_fma_f32 v[6:7], v[12:13], v[8:9], v[6:7] op_sel_hi:[0,1,1]
	v_div_scale_f32 v4, s[62:63], v5, v5, v7
	v_rcp_f32_e32 v8, v4
	s_nop 0
	v_fma_f32 v9, -v4, v8, 1.0
	v_fmac_f32_e32 v8, v9, v8
	v_div_scale_f32 v9, vcc, v7, v5, v7
	v_mul_f32_e32 v10, v9, v8
	v_fma_f32 v11, -v4, v10, v9
	v_fmac_f32_e32 v10, v11, v8
	v_fma_f32 v4, -v4, v10, v9
	v_div_fmas_f32 v4, v4, v8, v10
	v_div_fixup_f32 v7, v4, v5, v7
	v_div_scale_f32 v4, s[62:63], v5, v5, v6
	v_rcp_f32_e32 v8, v4
	s_nop 0
	v_fma_f32 v9, -v4, v8, 1.0
	v_fmac_f32_e32 v8, v9, v8
	v_div_scale_f32 v9, vcc, v6, v5, v6
	v_mul_f32_e32 v10, v9, v8
	v_fma_f32 v11, -v4, v10, v9
	v_fmac_f32_e32 v10, v11, v8
	v_fma_f32 v4, -v4, v10, v9
	v_div_fmas_f32 v4, v4, v8, v10
	v_div_fixup_f32 v6, v4, v5, v6
	global_store_dwordx2 v[2:3], v[6:7], off
	v_mov_b32_e32 v2, 0
.LBB24_219:                             ;   in Loop: Header=BB24_12 Depth=1
	s_or_b64 exec, exec, s[12:13]
	s_movk_i32 s12, 0x47
	v_cmp_gt_i32_e32 vcc, s12, v2
	s_mov_b64 s[12:13], -1
	s_and_saveexec_b64 s[76:77], vcc
; %bb.220:                              ;   in Loop: Header=BB24_12 Depth=1
	v_cmp_eq_u32_e32 vcc, 0, v2
	s_orn2_b64 s[12:13], vcc, exec
; %bb.221:                              ;   in Loop: Header=BB24_12 Depth=1
	s_or_b64 exec, exec, s[76:77]
	s_and_b64 exec, exec, s[12:13]
	s_cbranch_execz .LBB24_10
; %bb.222:                              ;   in Loop: Header=BB24_12 Depth=1
	v_add_u32_e32 v3, s82, v161
	v_cmp_gt_i32_e32 vcc, s36, v3
	s_and_b64 s[12:13], vcc, s[8:9]
	v_mov_b32_e32 v2, 0x47
	s_and_saveexec_b64 s[8:9], s[12:13]
	s_cbranch_execz .LBB24_224
; %bb.223:                              ;   in Loop: Header=BB24_12 Depth=1
	v_add_u32_e32 v12, v143, v162
	ds_read2st64_b32 v[4:5], v12 offset1:17
	v_add_u32_e32 v14, 0, v162
	ds_read2_b32 v[6:7], v14 offset0:64 offset1:65
	v_mad_u64_u32 v[2:3], s[12:13], v3, s37, v[102:103]
	s_waitcnt lgkmcnt(1)
	v_cvt_f32_f16_e32 v8, v4
	v_cvt_f32_f16_sdwa v9, v4 dst_sel:DWORD dst_unused:UNUSED_PAD src0_sel:WORD_1
	ds_read2st64_b32 v[10:11], v14 offset0:18 offset1:35
	ds_read2st64_b32 v[12:13], v12 offset0:34 offset1:51
	ds_read_b32 v4, v14 offset:13312
	v_cvt_f32_f16_e32 v14, v5
	v_cvt_f32_f16_sdwa v15, v5 dst_sel:DWORD dst_unused:UNUSED_PAD src0_sel:WORD_1
	s_waitcnt lgkmcnt(3)
	v_pk_fma_f32 v[8:9], v[6:7], v[8:9], 0 op_sel_hi:[0,1,0]
	s_waitcnt lgkmcnt(1)
	v_cvt_f32_f16_e32 v16, v12
	v_cvt_f32_f16_sdwa v17, v12 dst_sel:DWORD dst_unused:UNUSED_PAD src0_sel:WORD_1
	v_cvt_f32_f16_e32 v12, v13
	v_cvt_f32_f16_sdwa v13, v13 dst_sel:DWORD dst_unused:UNUSED_PAD src0_sel:WORD_1
	v_pk_fma_f32 v[8:9], v[10:11], v[14:15], v[8:9] op_sel_hi:[0,1,1]
	v_mov_b32_e32 v6, v11
	v_pk_fma_f32 v[8:9], v[6:7], v[16:17], v[8:9] op_sel_hi:[0,1,1]
	s_waitcnt lgkmcnt(0)
	v_pk_fma_f32 v[4:5], v[4:5], v[12:13], v[8:9] op_sel_hi:[0,1,1]
	v_div_scale_f32 v6, s[12:13], v7, v7, v5
	v_rcp_f32_e32 v8, v6
	v_lshl_add_u32 v2, v2, 6, v46
	v_ashrrev_i32_e32 v3, 31, v2
	v_lshl_add_u64 v[2:3], v[2:3], 3, s[72:73]
	v_fma_f32 v9, -v6, v8, 1.0
	v_fmac_f32_e32 v8, v9, v8
	v_div_scale_f32 v9, vcc, v5, v7, v5
	v_mul_f32_e32 v10, v9, v8
	v_fma_f32 v11, -v6, v10, v9
	v_fmac_f32_e32 v10, v11, v8
	v_fma_f32 v6, -v6, v10, v9
	v_div_scale_f32 v9, s[12:13], v7, v7, v4
	v_rcp_f32_e32 v11, v9
	v_div_fmas_f32 v6, v6, v8, v10
	v_div_fixup_f32 v5, v6, v7, v5
	v_fma_f32 v6, -v9, v11, 1.0
	v_fmac_f32_e32 v11, v6, v11
	v_div_scale_f32 v6, vcc, v4, v7, v4
	v_mul_f32_e32 v8, v6, v11
	v_fma_f32 v10, -v9, v8, v6
	v_fmac_f32_e32 v8, v10, v11
	v_fma_f32 v6, -v9, v8, v6
	v_div_fmas_f32 v6, v6, v11, v8
	v_div_fixup_f32 v4, v6, v7, v4
	global_store_dwordx2 v[2:3], v[4:5], off
	v_mov_b32_e32 v2, 0
.LBB24_224:                             ;   in Loop: Header=BB24_12 Depth=1
	s_or_b64 exec, exec, s[8:9]
	s_movk_i32 s8, 0x47
	v_cmp_gt_i32_e32 vcc, s8, v2
	s_mov_b64 s[8:9], -1
	s_and_saveexec_b64 s[12:13], vcc
; %bb.225:                              ;   in Loop: Header=BB24_12 Depth=1
	v_cmp_eq_u32_e32 vcc, 0, v2
	s_orn2_b64 s[8:9], vcc, exec
; %bb.226:                              ;   in Loop: Header=BB24_12 Depth=1
	s_or_b64 exec, exec, s[12:13]
	s_and_b64 exec, exec, s[8:9]
	s_cbranch_execz .LBB24_10
; %bb.227:                              ;   in Loop: Header=BB24_12 Depth=1
	v_add_u32_e32 v3, s82, v184
	v_or_b32_e32 v2, s2, v92
	v_cmp_gt_i32_e32 vcc, s36, v3
	v_cmp_gt_i32_e64 s[8:9], s3, v2
	s_and_b64 s[12:13], vcc, s[8:9]
	v_mov_b32_e32 v2, 0x47
	s_and_saveexec_b64 s[8:9], s[12:13]
	s_cbranch_execz .LBB24_229
; %bb.228:                              ;   in Loop: Header=BB24_12 Depth=1
	v_add_u32_e32 v12, v143, v163
	ds_read2st64_b32 v[4:5], v12 offset1:17
	v_add_u32_e32 v14, 0, v163
	ds_read2_b32 v[6:7], v14 offset0:64 offset1:65
	v_mad_u64_u32 v[2:3], s[12:13], v3, s37, v[92:93]
	s_waitcnt lgkmcnt(1)
	v_cvt_f32_f16_e32 v8, v4
	v_cvt_f32_f16_sdwa v9, v4 dst_sel:DWORD dst_unused:UNUSED_PAD src0_sel:WORD_1
	ds_read2st64_b32 v[10:11], v14 offset0:18 offset1:35
	ds_read2st64_b32 v[12:13], v12 offset0:34 offset1:51
	ds_read_b32 v4, v14 offset:13312
	v_cvt_f32_f16_e32 v14, v5
	v_cvt_f32_f16_sdwa v15, v5 dst_sel:DWORD dst_unused:UNUSED_PAD src0_sel:WORD_1
	s_waitcnt lgkmcnt(3)
	v_pk_fma_f32 v[8:9], v[6:7], v[8:9], 0 op_sel_hi:[0,1,0]
	s_waitcnt lgkmcnt(1)
	v_cvt_f32_f16_e32 v16, v12
	v_cvt_f32_f16_sdwa v17, v12 dst_sel:DWORD dst_unused:UNUSED_PAD src0_sel:WORD_1
	v_cvt_f32_f16_e32 v12, v13
	v_cvt_f32_f16_sdwa v13, v13 dst_sel:DWORD dst_unused:UNUSED_PAD src0_sel:WORD_1
	v_pk_fma_f32 v[8:9], v[10:11], v[14:15], v[8:9] op_sel_hi:[0,1,1]
	v_mov_b32_e32 v6, v11
	v_pk_fma_f32 v[8:9], v[6:7], v[16:17], v[8:9] op_sel_hi:[0,1,1]
	s_waitcnt lgkmcnt(0)
	v_pk_fma_f32 v[4:5], v[4:5], v[12:13], v[8:9] op_sel_hi:[0,1,1]
	v_div_scale_f32 v6, s[12:13], v7, v7, v5
	v_rcp_f32_e32 v8, v6
	v_lshl_add_u32 v2, v2, 6, v46
	v_ashrrev_i32_e32 v3, 31, v2
	v_lshl_add_u64 v[2:3], v[2:3], 3, s[72:73]
	v_fma_f32 v9, -v6, v8, 1.0
	v_fmac_f32_e32 v8, v9, v8
	v_div_scale_f32 v9, vcc, v5, v7, v5
	v_mul_f32_e32 v10, v9, v8
	v_fma_f32 v11, -v6, v10, v9
	v_fmac_f32_e32 v10, v11, v8
	v_fma_f32 v6, -v6, v10, v9
	v_div_scale_f32 v9, s[12:13], v7, v7, v4
	v_rcp_f32_e32 v11, v9
	v_div_fmas_f32 v6, v6, v8, v10
	v_div_fixup_f32 v5, v6, v7, v5
	v_fma_f32 v6, -v9, v11, 1.0
	v_fmac_f32_e32 v11, v6, v11
	v_div_scale_f32 v6, vcc, v4, v7, v4
	v_mul_f32_e32 v8, v6, v11
	v_fma_f32 v10, -v9, v8, v6
	v_fmac_f32_e32 v8, v10, v11
	v_fma_f32 v6, -v9, v8, v6
	v_div_fmas_f32 v6, v6, v11, v8
	v_div_fixup_f32 v4, v6, v7, v4
	global_store_dwordx2 v[2:3], v[4:5], off
	v_mov_b32_e32 v2, 0
.LBB24_229:                             ;   in Loop: Header=BB24_12 Depth=1
	s_or_b64 exec, exec, s[8:9]
	s_movk_i32 s8, 0x47
	v_cmp_gt_i32_e32 vcc, s8, v2
	s_mov_b64 s[8:9], -1
	s_and_saveexec_b64 s[12:13], vcc
; %bb.230:                              ;   in Loop: Header=BB24_12 Depth=1
	v_cmp_eq_u32_e32 vcc, 0, v2
	s_orn2_b64 s[8:9], vcc, exec
; %bb.231:                              ;   in Loop: Header=BB24_12 Depth=1
	s_or_b64 exec, exec, s[12:13]
	s_and_b64 exec, exec, s[8:9]
	s_cbranch_execz .LBB24_10
; %bb.232:                              ;   in Loop: Header=BB24_12 Depth=1
	v_add_u32_e32 v3, s82, v185
	v_or_b32_e32 v2, s2, v94
	v_cmp_gt_i32_e32 vcc, s36, v3
	v_cmp_gt_i32_e64 s[8:9], s3, v2
	s_and_b64 s[12:13], vcc, s[8:9]
	v_mov_b32_e32 v2, 0x47
	s_and_saveexec_b64 s[8:9], s[12:13]
	s_cbranch_execz .LBB24_234
; %bb.233:                              ;   in Loop: Header=BB24_12 Depth=1
	v_add_u32_e32 v12, v143, v164
	ds_read2st64_b32 v[4:5], v12 offset1:17
	v_add_u32_e32 v14, 0, v164
	ds_read2_b32 v[6:7], v14 offset0:64 offset1:65
	v_mad_u64_u32 v[2:3], s[12:13], v3, s37, v[94:95]
	s_waitcnt lgkmcnt(1)
	v_cvt_f32_f16_e32 v8, v4
	v_cvt_f32_f16_sdwa v9, v4 dst_sel:DWORD dst_unused:UNUSED_PAD src0_sel:WORD_1
	ds_read2st64_b32 v[10:11], v14 offset0:18 offset1:35
	ds_read2st64_b32 v[12:13], v12 offset0:34 offset1:51
	ds_read_b32 v4, v14 offset:13312
	v_cvt_f32_f16_e32 v14, v5
	v_cvt_f32_f16_sdwa v15, v5 dst_sel:DWORD dst_unused:UNUSED_PAD src0_sel:WORD_1
	s_waitcnt lgkmcnt(3)
	v_pk_fma_f32 v[8:9], v[6:7], v[8:9], 0 op_sel_hi:[0,1,0]
	s_waitcnt lgkmcnt(1)
	v_cvt_f32_f16_e32 v16, v12
	v_cvt_f32_f16_sdwa v17, v12 dst_sel:DWORD dst_unused:UNUSED_PAD src0_sel:WORD_1
	v_cvt_f32_f16_e32 v12, v13
	v_cvt_f32_f16_sdwa v13, v13 dst_sel:DWORD dst_unused:UNUSED_PAD src0_sel:WORD_1
	v_pk_fma_f32 v[8:9], v[10:11], v[14:15], v[8:9] op_sel_hi:[0,1,1]
	v_mov_b32_e32 v6, v11
	v_pk_fma_f32 v[8:9], v[6:7], v[16:17], v[8:9] op_sel_hi:[0,1,1]
	s_waitcnt lgkmcnt(0)
	v_pk_fma_f32 v[4:5], v[4:5], v[12:13], v[8:9] op_sel_hi:[0,1,1]
	v_div_scale_f32 v6, s[12:13], v7, v7, v5
	v_rcp_f32_e32 v8, v6
	v_lshl_add_u32 v2, v2, 6, v46
	v_ashrrev_i32_e32 v3, 31, v2
	v_lshl_add_u64 v[2:3], v[2:3], 3, s[72:73]
	v_fma_f32 v9, -v6, v8, 1.0
	v_fmac_f32_e32 v8, v9, v8
	v_div_scale_f32 v9, vcc, v5, v7, v5
	v_mul_f32_e32 v10, v9, v8
	v_fma_f32 v11, -v6, v10, v9
	v_fmac_f32_e32 v10, v11, v8
	v_fma_f32 v6, -v6, v10, v9
	v_div_scale_f32 v9, s[12:13], v7, v7, v4
	v_rcp_f32_e32 v11, v9
	v_div_fmas_f32 v6, v6, v8, v10
	v_div_fixup_f32 v5, v6, v7, v5
	v_fma_f32 v6, -v9, v11, 1.0
	v_fmac_f32_e32 v11, v6, v11
	v_div_scale_f32 v6, vcc, v4, v7, v4
	v_mul_f32_e32 v8, v6, v11
	v_fma_f32 v10, -v9, v8, v6
	v_fmac_f32_e32 v8, v10, v11
	v_fma_f32 v6, -v9, v8, v6
	v_div_fmas_f32 v6, v6, v11, v8
	v_div_fixup_f32 v4, v6, v7, v4
	global_store_dwordx2 v[2:3], v[4:5], off
	v_mov_b32_e32 v2, 0
.LBB24_234:                             ;   in Loop: Header=BB24_12 Depth=1
	s_or_b64 exec, exec, s[8:9]
	s_movk_i32 s8, 0x47
	v_cmp_gt_i32_e32 vcc, s8, v2
	s_mov_b64 s[8:9], -1
	s_and_saveexec_b64 s[12:13], vcc
; %bb.235:                              ;   in Loop: Header=BB24_12 Depth=1
	v_cmp_eq_u32_e32 vcc, 0, v2
	s_orn2_b64 s[8:9], vcc, exec
; %bb.236:                              ;   in Loop: Header=BB24_12 Depth=1
	s_or_b64 exec, exec, s[12:13]
	s_and_b64 exec, exec, s[8:9]
	s_cbranch_execz .LBB24_10
; %bb.237:                              ;   in Loop: Header=BB24_12 Depth=1
	v_add_u32_e32 v2, s82, v186
	v_or_b32_e32 v3, s2, v96
	v_cmp_gt_i32_e32 vcc, s36, v2
	v_cmp_gt_i32_e64 s[8:9], s3, v3
	s_and_b64 s[8:9], vcc, s[8:9]
	s_and_b64 exec, exec, s[8:9]
	s_cbranch_execz .LBB24_10
; %bb.238:                              ;   in Loop: Header=BB24_12 Depth=1
	v_add_u32_e32 v12, v143, v165
	ds_read2st64_b32 v[4:5], v12 offset1:17
	v_add_u32_e32 v14, 0, v165
	ds_read2_b32 v[6:7], v14 offset0:64 offset1:65
	v_mad_u64_u32 v[2:3], s[8:9], v2, s37, v[96:97]
	s_waitcnt lgkmcnt(1)
	v_cvt_f32_f16_e32 v8, v4
	v_cvt_f32_f16_sdwa v9, v4 dst_sel:DWORD dst_unused:UNUSED_PAD src0_sel:WORD_1
	ds_read2st64_b32 v[10:11], v14 offset0:18 offset1:35
	ds_read2st64_b32 v[12:13], v12 offset0:34 offset1:51
	ds_read_b32 v4, v14 offset:13312
	v_cvt_f32_f16_e32 v14, v5
	v_cvt_f32_f16_sdwa v15, v5 dst_sel:DWORD dst_unused:UNUSED_PAD src0_sel:WORD_1
	s_waitcnt lgkmcnt(3)
	v_pk_fma_f32 v[8:9], v[6:7], v[8:9], 0 op_sel_hi:[0,1,0]
	s_waitcnt lgkmcnt(1)
	v_cvt_f32_f16_e32 v16, v12
	v_cvt_f32_f16_sdwa v17, v12 dst_sel:DWORD dst_unused:UNUSED_PAD src0_sel:WORD_1
	v_cvt_f32_f16_e32 v12, v13
	v_cvt_f32_f16_sdwa v13, v13 dst_sel:DWORD dst_unused:UNUSED_PAD src0_sel:WORD_1
	v_pk_fma_f32 v[8:9], v[10:11], v[14:15], v[8:9] op_sel_hi:[0,1,1]
	v_mov_b32_e32 v6, v11
	v_pk_fma_f32 v[8:9], v[6:7], v[16:17], v[8:9] op_sel_hi:[0,1,1]
	s_waitcnt lgkmcnt(0)
	v_pk_fma_f32 v[4:5], v[4:5], v[12:13], v[8:9] op_sel_hi:[0,1,1]
	v_div_scale_f32 v6, s[8:9], v7, v7, v5
	v_rcp_f32_e32 v8, v6
	v_lshl_add_u32 v2, v2, 6, v46
	v_ashrrev_i32_e32 v3, 31, v2
	v_lshl_add_u64 v[2:3], v[2:3], 3, s[72:73]
	v_fma_f32 v9, -v6, v8, 1.0
	v_fmac_f32_e32 v8, v9, v8
	v_div_scale_f32 v9, vcc, v5, v7, v5
	v_mul_f32_e32 v10, v9, v8
	v_fma_f32 v11, -v6, v10, v9
	v_fmac_f32_e32 v10, v11, v8
	v_fma_f32 v6, -v6, v10, v9
	v_div_scale_f32 v9, s[8:9], v7, v7, v4
	v_rcp_f32_e32 v11, v9
	v_div_fmas_f32 v6, v6, v8, v10
	v_div_fixup_f32 v5, v6, v7, v5
	v_fma_f32 v6, -v9, v11, 1.0
	v_fmac_f32_e32 v11, v6, v11
	v_div_scale_f32 v6, vcc, v4, v7, v4
	v_mul_f32_e32 v8, v6, v11
	v_fma_f32 v10, -v9, v8, v6
	v_fmac_f32_e32 v8, v10, v11
	v_fma_f32 v6, -v9, v8, v6
	v_div_fmas_f32 v6, v6, v11, v8
	v_div_fixup_f32 v4, v6, v7, v4
	global_store_dwordx2 v[2:3], v[4:5], off
	s_branch .LBB24_10
.LBB24_239:
	v_readlane_b32 s33, v200, 9
	v_readlane_b32 s44, v200, 4
	;; [unrolled: 1-line block ×7, first 2 shown]
	s_andn2_b64 vcc, exec, s[8:9]
	s_cbranch_vccnz .LBB24_8
.LBB24_240:
	s_abs_i32 s0, s89
	v_cvt_f32_u32_e32 v2, s0
	s_sub_i32 s4, 0, s0
	s_abs_i32 s2, s54
	s_xor_b32 s1, s54, s89
	v_rcp_iflag_f32_e32 v2, v2
	s_ashr_i32 s1, s1, 31
	v_mov_b32_e32 v16, s65
	v_mul_f32_e32 v2, 0x4f7ffffe, v2
	v_cvt_u32_f32_e32 v2, v2
	s_nop 0
	v_readfirstlane_b32 s5, v2
	s_mul_i32 s4, s4, s5
	s_mul_hi_u32 s4, s5, s4
	s_add_i32 s5, s5, s4
	s_mul_hi_u32 s4, s2, s5
	s_mul_i32 s5, s4, s0
	s_sub_i32 s2, s2, s5
	s_add_i32 s6, s4, 1
	s_sub_i32 s5, s2, s0
	s_cmp_ge_u32 s2, s0
	s_cselect_b32 s4, s6, s4
	s_cselect_b32 s2, s5, s2
	s_add_i32 s5, s4, 1
	s_cmp_ge_u32 s2, s0
	s_cselect_b32 s0, s5, s4
	s_abs_i32 s4, s88
	v_cvt_f32_u32_e32 v2, s4
	s_xor_b32 s0, s0, s1
	s_sub_i32 s5, 0, s4
	s_sub_i32 s2, s0, s1
	v_rcp_iflag_f32_e32 v2, v2
	s_mul_i32 s0, s2, s89
	s_sub_i32 s0, s54, s0
	s_abs_i32 s6, s0
	v_mul_f32_e32 v2, 0x4f7ffffe, v2
	v_cvt_u32_f32_e32 v2, v2
	s_xor_b32 s1, s0, s88
	s_ashr_i32 s1, s1, 31
	v_readfirstlane_b32 s7, v2
	s_mul_i32 s5, s5, s7
	s_mul_hi_u32 s5, s7, s5
	s_add_i32 s7, s7, s5
	s_mul_hi_u32 s5, s6, s7
	s_mul_i32 s7, s5, s4
	s_sub_i32 s6, s6, s7
	s_add_i32 s8, s5, 1
	s_sub_i32 s7, s6, s4
	s_cmp_ge_u32 s6, s4
	s_cselect_b32 s5, s8, s5
	s_cselect_b32 s6, s7, s6
	s_add_i32 s7, s5, 1
	s_cmp_ge_u32 s6, s4
	s_cselect_b32 s4, s7, s5
	s_abs_i32 s5, s87
	v_cvt_f32_u32_e32 v2, s5
	s_xor_b32 s4, s4, s1
	s_sub_i32 s6, 0, s5
	s_sub_i32 s8, s4, s1
	v_rcp_iflag_f32_e32 v2, v2
	s_mul_i32 s1, s8, s88
	s_sub_i32 s1, s0, s1
	s_abs_i32 s4, s1
	v_mul_f32_e32 v2, 0x4f7ffffe, v2
	v_cvt_u32_f32_e32 v2, v2
	s_xor_b32 s0, s1, s87
	s_ashr_i32 s0, s0, 31
	v_readfirstlane_b32 s7, v2
	s_mul_i32 s6, s6, s7
	s_mul_hi_u32 s6, s7, s6
	s_add_i32 s7, s7, s6
	s_mul_hi_u32 s6, s4, s7
	s_mul_i32 s7, s6, s5
	s_sub_i32 s4, s4, s7
	s_add_i32 s9, s6, 1
	s_sub_i32 s7, s4, s5
	s_cmp_ge_u32 s4, s5
	s_cselect_b32 s6, s9, s6
	s_cselect_b32 s4, s7, s4
	s_add_i32 s7, s6, 1
	s_cmp_ge_u32 s4, s5
	s_cselect_b32 s4, s7, s6
	s_xor_b32 s4, s4, s0
	s_sub_i32 s0, s4, s0
	s_mul_i32 s4, s0, s87
	s_sub_i32 s1, s1, s4
	s_ashr_i32 s4, s1, 31
	v_readlane_b32 s5, v200, 3
	s_abs_i32 s1, s1
	s_xor_b32 s4, s4, s5
	s_mul_hi_u32 s5, s1, s52
	s_mul_i32 s6, s5, s91
	s_sub_i32 s1, s1, s6
	s_add_i32 s6, s5, 1
	s_sub_i32 s7, s1, s91
	s_cmp_ge_u32 s1, s91
	s_cselect_b32 s5, s6, s5
	s_cselect_b32 s1, s7, s1
	s_add_i32 s6, s5, 1
	s_cmp_ge_u32 s1, s91
	s_cselect_b32 s1, s6, s5
	s_abs_i32 s9, s12
	v_cvt_f32_u32_e32 v2, s9
	s_xor_b32 s1, s1, s4
	s_sub_i32 s1, s1, s4
	s_cmp_eq_u64 s[26:27], 0
	v_rcp_iflag_f32_e32 v2, v2
	s_nop 0
	v_mul_f32_e32 v2, 0x4f7ffffe, v2
	v_cvt_u32_f32_e32 v2, v2
	s_nop 0
	v_readfirstlane_b32 s11, v2
	s_cbranch_scc1 .LBB24_242
; %bb.241:
	v_readlane_b32 s4, v200, 0
	s_mul_i32 s4, s2, s4
	s_add_i32 s4, s1, s4
	s_ashr_i32 s5, s4, 31
	s_lshl_b64 s[4:5], s[4:5], 2
	s_add_u32 s4, s26, s4
	s_addc_u32 s5, s27, s5
	v_mov_b32_e32 v2, 0
	global_load_dword v2, v2, s[4:5]
	s_waitcnt vmcnt(0)
	v_ashrrev_i32_e32 v3, 31, v2
	v_lshrrev_b32_e32 v3, 26, v3
	v_add_u32_e32 v2, v2, v3
	v_ashrrev_i32_e32 v2, 6, v2
	v_min_i32_e32 v16, s65, v2
.LBB24_242:
	s_mul_i32 s4, s8, s3
	s_lshl_b32 s5, s0, 2
	s_add_i32 s0, s5, s4
	s_mul_i32 s4, s2, s47
	s_ashr_i32 s6, s4, 31
	s_add_u32 s4, s16, s4
	s_mul_i32 s0, s0, s46
	s_addc_u32 s7, s17, s6
	s_ashr_i32 s10, s0, 31
	s_add_u32 s6, s4, s0
	s_addc_u32 s7, s7, s10
	s_lshl_b32 s10, s1, 2
	v_bfe_u32 v38, v85, 2, 8
	v_and_b32_e32 v36, 0x3ff, v0
	v_add_u32_e32 v2, s10, v38
	v_or_b32_e32 v0, s5, v75
	v_cmp_le_i32_e64 s[0:1], s36, v2
	v_cmp_le_i32_e64 s[4:5], s3, v0
	s_mov_b32 s12, 0x10001
	v_lshl_add_u32 v37, v36, 2, 0
	v_cmp_gt_i32_e32 vcc, s3, v0
	s_or_b64 s[0:1], s[0:1], s[4:5]
	s_and_saveexec_b64 s[4:5], s[0:1]
	s_xor_b64 s[0:1], exec, s[4:5]
; %bb.243:
	s_movk_i32 s3, 0x110
	v_mad_u32_u24 v0, v49, s3, v37
	v_mov_b32_e32 v2, 0
	ds_write_b32 v0, v2
                                        ; implicit-def: $vgpr2
; %bb.244:
	s_or_saveexec_b64 s[0:1], s[0:1]
	v_mul_lo_u32 v0, v83, s12
	s_xor_b64 exec, exec, s[0:1]
	s_cbranch_execz .LBB24_246
; %bb.245:
	v_mul_lo_u32 v2, v2, s55
	v_mul_lo_u32 v3, v75, s39
	v_add3_u32 v2, v3, v36, v2
	v_ashrrev_i32_e32 v3, 31, v2
	v_lshl_add_u64 v[2:3], v[2:3], 3, s[6:7]
	global_load_dwordx2 v[2:3], v[2:3], off
	s_movk_i32 s3, 0x110
	s_waitcnt vmcnt(0)
	v_cvt_pk_f16_f32 v2, v2, v3
	v_pk_mul_f16 v2, v2, v0
	v_mad_u32_u24 v3, v49, s3, v37
	ds_write_b32 v3, v2
.LBB24_246:
	s_or_b64 exec, exec, s[0:1]
	v_lshrrev_b32_e32 v2, 2, v81
	v_add_u32_e32 v2, s10, v2
	v_cmp_le_i32_e64 s[0:1], s36, v2
	s_xor_b64 s[4:5], vcc, -1
	s_sub_i32 s3, 0, s9
	s_or_b64 s[0:1], s[0:1], s[4:5]
	s_and_saveexec_b64 s[12:13], s[0:1]
	s_xor_b64 s[0:1], exec, s[12:13]
; %bb.247:
	s_movk_i32 s12, 0x110
	v_mad_u32_u24 v2, v81, s12, v37
	v_mov_b32_e32 v3, 0
	ds_write_b32 v2, v3
                                        ; implicit-def: $vgpr2
                                        ; implicit-def: $vgpr81
; %bb.248:
	s_or_saveexec_b64 s[0:1], s[0:1]
	s_mul_i32 s3, s3, s11
	s_xor_b64 exec, exec, s[0:1]
	s_cbranch_execz .LBB24_250
; %bb.249:
	v_mul_lo_u32 v2, v2, s55
	v_mul_lo_u32 v3, v75, s39
	v_add3_u32 v2, v3, v36, v2
	v_ashrrev_i32_e32 v3, 31, v2
	v_lshl_add_u64 v[2:3], v[2:3], 3, s[6:7]
	global_load_dwordx2 v[2:3], v[2:3], off
	s_movk_i32 s12, 0x110
	s_waitcnt vmcnt(0)
	v_cvt_pk_f16_f32 v2, v2, v3
	v_pk_mul_f16 v2, v2, v0
	v_mad_u32_u24 v3, v81, s12, v37
	ds_write_b32 v3, v2
.LBB24_250:
	s_or_b64 exec, exec, s[0:1]
	v_lshrrev_b32_e32 v2, 2, v79
	v_add_u32_e32 v2, s10, v2
	v_cmp_le_i32_e32 vcc, s36, v2
	s_mul_hi_u32 s12, s11, s3
	s_or_b64 s[0:1], vcc, s[4:5]
	s_and_saveexec_b64 s[16:17], s[0:1]
	s_xor_b64 s[0:1], exec, s[16:17]
; %bb.251:
	s_movk_i32 s3, 0x110
	v_mad_u32_u24 v2, v79, s3, v37
	v_mov_b32_e32 v3, 0
	ds_write_b32 v2, v3
                                        ; implicit-def: $vgpr2
                                        ; implicit-def: $vgpr79
; %bb.252:
	s_or_saveexec_b64 s[0:1], s[0:1]
	s_abs_i32 s3, s2
	s_add_i32 s11, s11, s12
	s_xor_b64 exec, exec, s[0:1]
	s_cbranch_execz .LBB24_254
; %bb.253:
	v_mul_lo_u32 v2, v2, s55
	v_mul_lo_u32 v3, v75, s39
	v_add3_u32 v2, v3, v36, v2
	v_ashrrev_i32_e32 v3, 31, v2
	v_lshl_add_u64 v[2:3], v[2:3], 3, s[6:7]
	global_load_dwordx2 v[2:3], v[2:3], off
	s_movk_i32 s12, 0x110
	s_waitcnt vmcnt(0)
	v_cvt_pk_f16_f32 v2, v2, v3
	v_pk_mul_f16 v2, v2, v0
	v_mad_u32_u24 v3, v79, s12, v37
	ds_write_b32 v3, v2
.LBB24_254:
	s_or_b64 exec, exec, s[0:1]
	v_lshrrev_b32_e32 v2, 2, v1
	v_add_u32_e32 v2, s10, v2
	v_cmp_le_i32_e32 vcc, s36, v2
	s_mul_hi_u32 s13, s3, s11
	s_or_b64 s[0:1], vcc, s[4:5]
	s_and_saveexec_b64 s[4:5], s[0:1]
	s_xor_b64 s[0:1], exec, s[4:5]
; %bb.255:
	s_movk_i32 s4, 0x110
	v_mad_u32_u24 v0, v1, s4, v37
	v_mov_b32_e32 v1, 0
	ds_write_b32 v0, v1
                                        ; implicit-def: $vgpr2
                                        ; implicit-def: $vgpr0
                                        ; implicit-def: $vgpr1
; %bb.256:
	s_or_saveexec_b64 s[0:1], s[0:1]
	s_ashr_i32 s15, s2, 31
	s_xor_b64 exec, exec, s[0:1]
	s_cbranch_execz .LBB24_258
; %bb.257:
	v_mul_lo_u32 v2, v2, s55
	v_mul_lo_u32 v3, v75, s39
	v_add3_u32 v2, v3, v36, v2
	v_ashrrev_i32_e32 v3, 31, v2
	v_lshl_add_u64 v[2:3], v[2:3], 3, s[6:7]
	global_load_dwordx2 v[2:3], v[2:3], off
	s_movk_i32 s4, 0x110
	v_mad_u32_u24 v1, v1, s4, v37
	s_waitcnt vmcnt(0)
	v_cvt_pk_f16_f32 v2, v2, v3
	v_pk_mul_f16 v0, v2, v0
	ds_write_b32 v1, v0
.LBB24_258:
	s_or_b64 exec, exec, s[0:1]
	s_mul_hi_u32 s0, s40, s2
	s_mul_i32 s1, s40, s15
	s_add_i32 s0, s0, s1
	s_mul_i32 s1, s41, s2
	v_readlane_b32 s4, v200, 1
	s_add_i32 s0, s0, s1
	s_mul_i32 s1, s40, s2
	v_readlane_b32 s5, v200, 2
	s_add_u32 s1, s18, s1
	s_mul_i32 s4, s8, s5
	s_addc_u32 s0, s19, s0
	s_ashr_i32 s5, s4, 31
	s_add_u32 s11, s1, s4
	s_mul_i32 s13, s13, s9
	s_addc_u32 s12, s0, s5
	s_sub_i32 s0, s3, s13
	s_sub_i32 s1, s0, s9
	s_cmp_ge_u32 s0, s9
	s_cselect_b32 s0, s1, s0
	s_sub_i32 s1, s0, s9
	s_cmp_ge_u32 s0, s9
	s_cselect_b32 s0, s1, s0
	s_xor_b32 s0, s0, s15
	s_sub_i32 s0, s0, s15
	s_ashr_i32 s1, s0, 31
	s_mul_i32 s1, s50, s1
	s_mul_hi_u32 s3, s50, s0
	v_lshrrev_b32_e32 v1, 3, v36
	s_add_i32 s1, s3, s1
	s_mul_i32 s3, s51, s0
	v_and_b32_e32 v17, 0xff0, v51
	s_movk_i32 s6, 0x110
	v_and_b32_e32 v39, 15, v36
	v_and_b32_e32 v1, 0x7e, v1
	s_add_i32 s1, s1, s3
	s_mul_i32 s0, s50, s0
	v_mad_u32_u24 v0, v17, s6, 0
	v_mul_u32_u24_e32 v59, 0x110, v39
	v_lshlrev_b32_e32 v40, 2, v1
	s_add_u32 s4, s22, s0
	v_add3_u32 v0, v0, v59, v40
	s_addc_u32 s5, s23, s1
	s_mul_hi_u32 s0, s48, s2
	s_mul_i32 s1, s48, s15
	s_waitcnt lgkmcnt(0)
	s_barrier
	ds_read2_b64 v[12:15], v0 offset1:4
	ds_read2_b64 v[8:11], v0 offset0:8 offset1:12
	ds_read2_b64 v[4:7], v0 offset0:16 offset1:20
	;; [unrolled: 1-line block ×3, first 2 shown]
	s_add_i32 s0, s0, s1
	s_mul_i32 s1, s49, s2
	s_add_i32 s0, s0, s1
	s_mul_i32 s1, s48, s2
	s_add_u32 s1, s20, s1
	s_mul_i32 s8, s8, s43
	s_addc_u32 s0, s21, s0
	s_ashr_i32 s3, s8, 31
	v_add_u32_e32 v68, -1, v16
	v_lshrrev_b32_e32 v16, 5, v36
	s_add_u32 s2, s1, s8
	v_cmp_ge_i32_e32 vcc, s82, v68
	v_lshl_add_u32 v65, v49, 1, v16
	s_addc_u32 s3, s0, s3
	s_and_b64 vcc, exec, vcc
	v_cmp_gt_u32_e64 s[0:1], 4, v65
	v_lshrrev_b32_e32 v64, 4, v36
	v_lshrrev_b32_e32 v53, 2, v36
	v_and_or_b32 v60, v36, 12, v17
	v_lshlrev_b32_e32 v50, 1, v39
	s_waitcnt lgkmcnt(0)
	s_barrier
	s_cbranch_vccnz .LBB24_265
; %bb.259:
	v_add_u32_e32 v16, s10, v65
	v_mul_hi_u32 v17, s34, v16
	v_and_b32_e32 v29, 48, v47
	v_and_b32_e32 v42, 0xfc, v53
	v_add_u32_e32 v17, v16, v17
	v_mad_u32_u24 v41, v29, s6, 0
	v_add_u16_e32 v29, v29, v42
	v_lshrrev_b32_e32 v17, s35, v17
	v_lshrrev_b32_e32 v30, 2, v60
	v_lshrrev_b16_e32 v29, 1, v29
	v_mul_lo_u32 v17, v17, s36
	v_lshlrev_b32_e32 v20, 2, v36
	v_mul_u32_u24_e32 v30, 0x90, v30
	v_lshlrev_b32_e32 v29, 2, v29
	v_sub_u32_e32 v17, v16, v17
	v_mul_u32_u24_e32 v18, 0x90, v65
	v_and_b32_e32 v16, 0x7c, v20
	v_add3_u32 v43, 0, v30, v29
	v_mbcnt_hi_u32_b32 v29, -1, v77
	v_add3_u32 v69, 0, v18, v16
	v_mad_i64_i32 v[18:19], s[8:9], v17, s62, 0
	v_and_b32_e32 v30, 64, v29
	v_lshl_add_u64 v[18:19], v[18:19], 1, s[4:5]
	v_mov_b32_e32 v17, 0
	v_add_u32_e32 v30, 64, v30
	v_xor_b32_e32 v31, 32, v29
	v_lshl_add_u64 v[18:19], v[18:19], 0, v[16:17]
	v_add_u32_e32 v28, v51, v64
	v_and_b32_e32 v16, 60, v20
	v_cmp_lt_i32_e32 vcc, v31, v30
	v_mul_u32_u24_e32 v21, 0x110, v28
	v_lshlrev_b32_e32 v20, 2, v16
	v_cndmask_b32_e32 v31, v29, v31, vcc
	v_add3_u32 v70, 0, v21, v20
	v_mul_lo_u32 v20, s38, v28
	s_lshl_b32 s7, s38, 4
	v_lshlrev_b32_e32 v76, 2, v31
	v_xor_b32_e32 v31, 16, v29
	v_mul_lo_u32 v28, s14, v28
	s_lshl_b32 s6, s14, 4
	v_add_u32_e32 v22, s7, v20
	v_cmp_lt_i32_e32 vcc, v31, v30
	v_add_u32_e32 v30, s6, v28
	v_add_u32_e32 v24, s7, v22
	;; [unrolled: 1-line block ×3, first 2 shown]
	v_or_b32_e32 v44, 3, v53
	v_add_u32_e32 v26, s7, v24
	v_cndmask_b32_e32 v29, v29, v31, vcc
	v_add_u32_e32 v34, s6, v32
	v_mul_u32_u24_e32 v42, 0x110, v42
	v_mul_u32_u24_e32 v44, 0x110, v44
	v_ashrrev_i32_e32 v21, 31, v20
	v_add_u32_e32 v71, 0x1100, v70
	v_ashrrev_i32_e32 v23, 31, v22
	v_add_u32_e32 v72, 0x2200, v70
	;; [unrolled: 2-line block ×3, first 2 shown]
	v_ashrrev_i32_e32 v27, 31, v26
	v_add3_u32 v74, v41, v59, v40
	v_lshlrev_b32_e32 v78, 2, v29
	v_ashrrev_i32_e32 v29, 31, v28
	v_ashrrev_i32_e32 v31, 31, v30
	;; [unrolled: 1-line block ×4, first 2 shown]
	v_add3_u32 v79, v41, v42, v50
	v_add3_u32 v80, v41, v44, v50
	s_lshl_b32 s6, s82, 6
	v_mov_b32_e32 v67, 0xfeffffff
	v_lshlrev_b32_e32 v16, 2, v16
	v_add_u32_e32 v81, 0x4400, v43
	s_mov_b32 s13, 0x3fb8aa3b
	s_mov_b32 s15, 0xc2ce8ed0
	;; [unrolled: 1-line block ×5, first 2 shown]
	v_mov_b32_e32 v82, 0x7f800000
	v_mov_b32_e32 v83, v17
	;; [unrolled: 1-line block ×18, first 2 shown]
	s_ashr_i32 s7, s6, 31
	s_and_saveexec_b64 s[8:9], s[0:1]
	s_cbranch_execz .LBB24_261
.LBB24_260:
	v_lshl_add_u64 v[84:85], s[6:7], 1, v[18:19]
	global_load_dword v66, v[84:85], off
	s_waitcnt vmcnt(0)
	ds_write_b32 v69, v66 offset:17408
.LBB24_261:                             ; =>This Inner Loop Header: Depth=1
	s_or_b64 exec, exec, s[8:9]
	s_mul_hi_i32 s9, s6, s38
	s_mul_i32 s8, s6, s38
	s_lshl_b64 s[8:9], s[8:9], 2
	s_add_u32 s8, s11, s8
	s_addc_u32 s9, s12, s9
	v_lshl_add_u64 v[84:85], v[20:21], 2, s[8:9]
	v_lshl_add_u64 v[100:101], v[84:85], 0, v[16:17]
	v_lshl_add_u64 v[84:85], v[22:23], 2, s[8:9]
	v_lshl_add_u64 v[102:103], v[84:85], 0, v[16:17]
	v_lshl_add_u64 v[84:85], v[24:25], 2, s[8:9]
	v_lshl_add_u64 v[104:105], v[84:85], 0, v[16:17]
	v_lshl_add_u64 v[84:85], v[26:27], 2, s[8:9]
	v_lshl_add_u64 v[106:107], v[84:85], 0, v[16:17]
	global_load_dwordx4 v[84:87], v[100:101], off
	global_load_dwordx4 v[88:91], v[102:103], off
	;; [unrolled: 1-line block ×4, first 2 shown]
	s_mul_hi_i32 s9, s6, s14
	s_mul_i32 s8, s6, s14
	s_lshl_b64 s[8:9], s[8:9], 2
	s_add_u32 s8, s2, s8
	s_addc_u32 s9, s3, s9
	v_lshl_add_u64 v[100:101], v[34:35], 2, s[8:9]
	v_lshl_add_u64 v[100:101], v[100:101], 0, v[16:17]
	s_add_i32 s82, s82, 1
	s_add_i32 s6, s6, 64
	s_waitcnt vmcnt(3)
	ds_write_b128 v70, v[84:87]
	s_waitcnt vmcnt(2)
	ds_write_b128 v71, v[88:91]
	;; [unrolled: 2-line block ×4, first 2 shown]
	s_waitcnt lgkmcnt(0)
	s_barrier
	ds_read2_b64 v[84:87], v74 offset1:4
	ds_read2_b64 v[92:95], v74 offset0:8 offset1:12
	s_waitcnt lgkmcnt(1)
	v_mfma_f32_16x16x16_f16 v[88:91], v[84:85], v[12:13], 0
	v_lshl_add_u64 v[96:97], v[28:29], 2, s[8:9]
	v_lshl_add_u64 v[98:99], v[30:31], 2, s[8:9]
	;; [unrolled: 1-line block ×3, first 2 shown]
	v_mfma_f32_16x16x16_f16 v[84:87], v[86:87], v[14:15], v[88:91]
	v_lshl_add_u64 v[104:105], v[98:99], 0, v[16:17]
	s_nop 2
	ds_read2_b64 v[88:91], v74 offset0:16 offset1:20
	s_waitcnt lgkmcnt(1)
	v_mfma_f32_16x16x16_f16 v[84:87], v[92:93], v[8:9], v[84:87]
	v_mfma_f32_16x16x16_f16 v[84:87], v[94:95], v[10:11], v[84:87]
	ds_read2_b64 v[92:95], v74 offset0:24 offset1:28
	s_waitcnt lgkmcnt(0)
	s_barrier
	v_mfma_f32_16x16x16_f16 v[84:87], v[88:89], v[4:5], v[84:87]
	ds_read2_b32 v[88:89], v81 offset1:1
	s_waitcnt lgkmcnt(0)
	v_cvt_f32_f16_e32 v66, v88
	v_mfma_f32_16x16x16_f16 v[84:87], v[90:91], v[6:7], v[84:87]
	v_cvt_f32_f16_sdwa v88, v88 dst_sel:DWORD dst_unused:UNUSED_PAD src0_sel:WORD_1
	v_lshl_add_u64 v[90:91], v[32:33], 2, s[8:9]
	v_lshl_add_u64 v[106:107], v[90:91], 0, v[16:17]
	v_mfma_f32_16x16x16_f16 v[84:87], v[92:93], v[0:1], v[84:87]
	v_cvt_f32_f16_e32 v92, v89
	v_cvt_f32_f16_sdwa v89, v89 dst_sel:DWORD dst_unused:UNUSED_PAD src0_sel:WORD_1
	v_mfma_f32_16x16x16_f16 v[84:87], v[94:95], v[2:3], v[84:87]
	s_nop 7
	v_add_f32_e32 v108, v84, v66
	v_add_f32_e32 v109, v85, v88
	;; [unrolled: 1-line block ×8, first 2 shown]
	v_max3_f32 v66, v67, v66, v84
	v_max3_f32 v66, v66, v85, v86
	ds_bpermute_b32 v84, v76, v66
	s_waitcnt lgkmcnt(0)
	v_max_f32_e32 v84, v84, v84
	v_max_f32_e32 v66, v66, v84
	global_load_dwordx4 v[84:87], v[102:103], off
	global_load_dwordx4 v[88:91], v[104:105], off
	;; [unrolled: 1-line block ×4, first 2 shown]
	ds_bpermute_b32 v112, v78, v66
	s_waitcnt vmcnt(3)
	ds_write_b128 v70, v[84:87]
	s_waitcnt vmcnt(2)
	ds_write_b128 v71, v[88:91]
	;; [unrolled: 2-line block ×4, first 2 shown]
	s_waitcnt lgkmcnt(4)
	v_max_f32_e32 v100, v112, v112
	v_max_f32_e32 v66, v66, v100
	v_sub_f32_e32 v100, v108, v66
	v_sub_f32_e32 v101, v109, v66
	v_mul_f32_e32 v104, 0x3fb8aa3b, v100
	v_sub_f32_e32 v102, v110, v66
	v_mul_f32_e32 v105, 0x3fb8aa3b, v101
	v_fma_f32 v109, v100, s13, -v104
	v_rndne_f32_e32 v110, v104
	v_sub_f32_e32 v103, v111, v66
	v_mul_f32_e32 v106, 0x3fb8aa3b, v102
	v_fma_f32 v111, v101, s13, -v105
	v_rndne_f32_e32 v112, v105
	v_fmac_f32_e32 v109, 0x32a5705f, v100
	v_sub_f32_e32 v104, v104, v110
	v_sub_f32_e32 v67, v67, v66
	v_mul_f32_e32 v107, 0x3fb8aa3b, v103
	v_fma_f32 v113, v102, s13, -v106
	v_rndne_f32_e32 v114, v106
	v_fmac_f32_e32 v111, 0x32a5705f, v101
	v_sub_f32_e32 v105, v105, v112
	v_add_f32_e32 v104, v104, v109
	v_mul_f32_e32 v108, 0x3fb8aa3b, v67
	v_fma_f32 v115, v103, s13, -v107
	v_rndne_f32_e32 v116, v107
	v_cvt_i32_f32_e32 v110, v110
	v_fmac_f32_e32 v113, 0x32a5705f, v102
	v_sub_f32_e32 v106, v106, v114
	v_add_f32_e32 v105, v105, v111
	v_exp_f32_e32 v104, v104
	v_fma_f32 v117, v67, s13, -v108
	v_rndne_f32_e32 v118, v108
	v_cvt_i32_f32_e32 v112, v112
	v_fmac_f32_e32 v115, 0x32a5705f, v103
	v_sub_f32_e32 v107, v107, v116
	v_add_f32_e32 v106, v106, v113
	v_exp_f32_e32 v105, v105
	v_cvt_i32_f32_e32 v114, v114
	v_fmac_f32_e32 v117, 0x32a5705f, v67
	v_sub_f32_e32 v108, v108, v118
	v_add_f32_e32 v107, v107, v115
	v_exp_f32_e32 v106, v106
	v_cvt_i32_f32_e32 v116, v116
	v_add_f32_e32 v108, v108, v117
	v_exp_f32_e32 v107, v107
	v_cvt_i32_f32_e32 v118, v118
	v_exp_f32_e32 v108, v108
	v_ldexp_f32 v104, v104, v110
	v_cmp_ngt_f32_e32 vcc, s15, v100
	v_ldexp_f32 v105, v105, v112
	v_ldexp_f32 v106, v106, v114
	v_cndmask_b32_e32 v104, 0, v104, vcc
	v_cmp_ngt_f32_e32 vcc, s15, v101
	v_ldexp_f32 v107, v107, v116
	v_ldexp_f32 v108, v108, v118
	v_cndmask_b32_e32 v105, 0, v105, vcc
	v_cmp_ngt_f32_e32 vcc, s15, v102
	s_waitcnt lgkmcnt(0)
	s_barrier
	v_cndmask_b32_e32 v106, 0, v106, vcc
	v_cmp_ngt_f32_e32 vcc, s15, v103
	s_nop 1
	v_cndmask_b32_e32 v107, 0, v107, vcc
	v_cmp_ngt_f32_e32 vcc, s15, v67
	s_nop 1
	v_cndmask_b32_e32 v108, 0, v108, vcc
	v_cmp_nlt_f32_e32 vcc, s16, v100
	s_nop 1
	v_cndmask_b32_e32 v110, v82, v104, vcc
	v_cmp_nlt_f32_e32 vcc, s16, v101
	;; [unrolled: 3-line block ×3, first 2 shown]
	s_nop 1
	v_cndmask_b32_e32 v100, v82, v108, vcc
	v_cmp_le_f32_e32 vcc, s17, v67
	v_cvt_pk_f16_f32 v108, v110, v111
	s_nop 0
	v_cndmask_b32_e32 v112, 0, v100, vcc
	v_cvt_f16_f32_e32 v67, v112
	v_cmp_nlt_f32_e32 vcc, s16, v102
	v_mul_u32_u24_e32 v67, 0x10001, v67
	s_nop 0
	v_cndmask_b32_e32 v113, v82, v106, vcc
	v_cmp_nlt_f32_e32 vcc, s16, v103
	v_pk_mul_f16 v100, v63, v67
	v_pk_mul_f16 v101, v62, v67
	ds_read_u16 v62, v79 offset:544
	ds_read_u16 v88, v79 offset:576
	;; [unrolled: 1-line block ×8, first 2 shown]
	ds_read_u16 v63, v80
	ds_read_u16 v89, v80 offset:32
	ds_read_u16 v93, v80 offset:64
	;; [unrolled: 1-line block ×7, first 2 shown]
	v_cndmask_b32_e32 v114, v82, v107, vcc
	s_waitcnt lgkmcnt(7)
	v_perm_b32 v63, v63, v62, s18
	ds_read_u16 v62, v79
	ds_read_u16 v90, v79 offset:32
	ds_read_u16 v94, v79 offset:64
	;; [unrolled: 1-line block ×15, first 2 shown]
	s_waitcnt lgkmcnt(7)
	v_perm_b32 v62, v84, v62, s18
	v_cvt_f32_f16_e32 v84, v100
	v_cvt_f32_f16_sdwa v85, v100 dst_sel:DWORD dst_unused:UNUSED_PAD src0_sel:WORD_1
	v_cvt_f32_f16_e32 v86, v101
	v_cvt_f32_f16_sdwa v87, v101 dst_sel:DWORD dst_unused:UNUSED_PAD src0_sel:WORD_1
	v_cvt_pk_f16_f32 v109, v113, v114
	v_pk_mul_f16 v61, v61, v67
	v_pk_mul_f16 v58, v58, v67
	v_mfma_f32_16x16x16_f16 v[84:87], v[62:63], v[108:109], v[84:87]
	v_perm_b32 v63, v89, v88, s18
	s_waitcnt lgkmcnt(6)
	v_perm_b32 v62, v91, v90, s18
	v_cvt_f32_f16_e32 v88, v61
	v_cvt_f32_f16_sdwa v89, v61 dst_sel:DWORD dst_unused:UNUSED_PAD src0_sel:WORD_1
	v_cvt_f32_f16_e32 v90, v58
	v_cvt_f32_f16_sdwa v91, v58 dst_sel:DWORD dst_unused:UNUSED_PAD src0_sel:WORD_1
	v_pk_mul_f16 v58, v57, v67
	v_pk_mul_f16 v61, v56, v67
	v_perm_b32 v57, v93, v92, s18
	s_waitcnt lgkmcnt(5)
	v_perm_b32 v56, v95, v94, s18
	v_cvt_f32_f16_e32 v92, v58
	v_cvt_f32_f16_sdwa v93, v58 dst_sel:DWORD dst_unused:UNUSED_PAD src0_sel:WORD_1
	v_cvt_f32_f16_e32 v94, v61
	v_cvt_f32_f16_sdwa v95, v61 dst_sel:DWORD dst_unused:UNUSED_PAD src0_sel:WORD_1
	v_mfma_f32_16x16x16_f16 v[88:91], v[62:63], v[108:109], v[88:91]
	v_pk_mul_f16 v55, v55, v67
	v_pk_mul_f16 v58, v54, v67
	v_perm_b32 v63, v98, v96, s18
	s_waitcnt lgkmcnt(4)
	v_perm_b32 v62, v120, v106, s18
	v_mfma_f32_16x16x16_f16 v[92:95], v[56:57], v[108:109], v[92:95]
	v_cvt_f32_f16_e32 v54, v55
	v_cvt_f32_f16_sdwa v55, v55 dst_sel:DWORD dst_unused:UNUSED_PAD src0_sel:WORD_1
	v_cvt_f32_f16_e32 v56, v58
	v_cvt_f32_f16_sdwa v57, v58 dst_sel:DWORD dst_unused:UNUSED_PAD src0_sel:WORD_1
	v_pk_mul_f16 v52, v52, v67
	v_pk_mul_f16 v48, v48, v67
	v_mfma_f32_16x16x16_f16 v[54:57], v[62:63], v[108:109], v[54:57]
	v_perm_b32 v63, v99, v97, s18
	s_waitcnt lgkmcnt(3)
	v_perm_b32 v62, v121, v107, s18
	v_cvt_f32_f16_e32 v96, v52
	v_cvt_f32_f16_sdwa v97, v52 dst_sel:DWORD dst_unused:UNUSED_PAD src0_sel:WORD_1
	v_cvt_f32_f16_e32 v98, v48
	v_cvt_f32_f16_sdwa v99, v48 dst_sel:DWORD dst_unused:UNUSED_PAD src0_sel:WORD_1
	v_pk_mul_f16 v46, v46, v67
	v_pk_mul_f16 v45, v45, v67
	v_mfma_f32_16x16x16_f16 v[96:99], v[62:63], v[108:109], v[96:99]
	v_perm_b32 v63, v103, v102, s18
	s_waitcnt lgkmcnt(2)
	v_perm_b32 v62, v122, v117, s18
	v_cvt_f32_f16_e32 v100, v46
	v_cvt_f32_f16_sdwa v101, v46 dst_sel:DWORD dst_unused:UNUSED_PAD src0_sel:WORD_1
	v_cvt_f32_f16_e32 v102, v45
	v_cvt_f32_f16_sdwa v103, v45 dst_sel:DWORD dst_unused:UNUSED_PAD src0_sel:WORD_1
	v_pk_mul_f16 v46, v44, v67
	v_pk_mul_f16 v43, v43, v67
	v_perm_b32 v45, v105, v104, s18
	s_waitcnt lgkmcnt(1)
	v_perm_b32 v44, v123, v118, s18
	v_cvt_f32_f16_e32 v104, v46
	v_cvt_f32_f16_sdwa v105, v46 dst_sel:DWORD dst_unused:UNUSED_PAD src0_sel:WORD_1
	v_cvt_f32_f16_e32 v106, v43
	v_cvt_f32_f16_sdwa v107, v43 dst_sel:DWORD dst_unused:UNUSED_PAD src0_sel:WORD_1
	v_mfma_f32_16x16x16_f16 v[100:103], v[62:63], v[108:109], v[100:103]
	v_pk_mul_f16 v43, v42, v67
	v_pk_mul_f16 v41, v41, v67
	v_perm_b32 v63, v116, v115, s18
	s_waitcnt lgkmcnt(0)
	v_perm_b32 v62, v124, v119, s18
	v_mfma_f32_16x16x16_f16 v[104:107], v[44:45], v[108:109], v[104:107]
	v_cvt_f32_f16_e32 v42, v43
	v_cvt_f32_f16_sdwa v43, v43 dst_sel:DWORD dst_unused:UNUSED_PAD src0_sel:WORD_1
	v_cvt_f32_f16_e32 v44, v41
	v_cvt_f32_f16_sdwa v45, v41 dst_sel:DWORD dst_unused:UNUSED_PAD src0_sel:WORD_1
	v_add_f32_e32 v46, v110, v111
	v_add_f32_e32 v41, v113, v46
	v_mfma_f32_16x16x16_f16 v[42:45], v[62:63], v[108:109], v[42:45]
	v_add_f32_e32 v67, v114, v41
	v_cmp_lt_i32_e32 vcc, s82, v68
	v_fmac_f32_e32 v67, v83, v112
	v_cvt_pk_f16_f32 v46, v100, v101
	s_nop 3
	v_cvt_pk_f16_f32 v42, v42, v43
	v_cvt_pk_f16_f32 v41, v44, v45
	;; [unrolled: 1-line block ×15, first 2 shown]
	s_barrier
	s_cbranch_vccz .LBB24_266
; %bb.262:                              ;   in Loop: Header=BB24_261 Depth=1
	v_mov_b32_e32 v83, v67
	v_mov_b32_e32 v67, v66
	s_ashr_i32 s7, s6, 31
	s_and_saveexec_b64 s[8:9], s[0:1]
	s_cbranch_execnz .LBB24_260
	s_branch .LBB24_261
.LBB24_263:
                                        ; implicit-def: $sgpr54_sgpr55
	s_load_dwordx2 s[46:47], s[0:1], 0x74
	v_cvt_f32_u32_e32 v1, s44
	s_branch .LBB24_2
.LBB24_264:
                                        ; implicit-def: $sgpr58_sgpr59
	s_load_dwordx2 s[34:35], s[0:1], 0x5c
	s_branch .LBB24_5
.LBB24_265:
	v_mov_b32_e32 v66, 0xfeffffff
	v_mov_b32_e32 v67, 0
	;; [unrolled: 1-line block ×18, first 2 shown]
.LBB24_266:
	s_lshl_b32 s0, s82, 6
	s_ashr_i32 s1, s0, 31
	v_cmp_gt_u32_e32 vcc, 4, v65
	s_and_saveexec_b64 s[6:7], vcc
	s_cbranch_execz .LBB24_268
; %bb.267:
	v_or_b32_e32 v16, s10, v65
	v_mul_hi_u32 v17, s34, v16
	v_add_u32_e32 v17, v16, v17
	v_lshrrev_b32_e32 v17, s35, v17
	s_lshl_b64 s[8:9], s[0:1], 1
	v_mul_lo_u32 v17, v17, s36
	s_add_u32 s4, s4, s8
	v_sub_u32_e32 v17, v16, v17
	s_addc_u32 s5, s5, s9
	v_lshlrev_b32_e32 v16, 2, v36
	v_mad_i64_i32 v[18:19], s[8:9], v17, s62, 0
	v_and_b32_e32 v16, 0x7c, v16
	v_lshl_add_u64 v[18:19], v[18:19], 1, s[4:5]
	v_mov_b32_e32 v17, 0
	v_lshl_add_u64 v[18:19], v[18:19], 0, v[16:17]
	global_load_dword v17, v[18:19], off
	v_mul_u32_u24_e32 v18, 0x90, v65
	v_add3_u32 v16, 0, v18, v16
	s_waitcnt vmcnt(0)
	ds_write_b32 v16, v17 offset:17408
.LBB24_268:
	s_or_b64 exec, exec, s[6:7]
	s_mul_hi_i32 s5, s0, s38
	s_mul_i32 s4, s0, s38
	s_lshl_b64 s[4:5], s[4:5], 2
	v_add_u32_e32 v72, v51, v64
	s_add_u32 s4, s11, s4
	v_mul_lo_u32 v18, s38, v72
	s_addc_u32 s5, s12, s5
	v_ashrrev_i32_e32 v19, 31, v18
	s_lshl_b32 s1, s38, 4
	v_lshlrev_b32_e32 v16, 4, v36
	v_lshl_add_u64 v[20:21], v[18:19], 2, s[4:5]
	v_add_u32_e32 v18, s1, v18
	v_and_b32_e32 v16, 0xf0, v16
	v_mov_b32_e32 v17, 0
	v_ashrrev_i32_e32 v19, 31, v18
	v_lshl_add_u64 v[34:35], v[20:21], 0, v[16:17]
	v_lshl_add_u64 v[20:21], v[18:19], 2, s[4:5]
	v_add_u32_e32 v18, s1, v18
	v_ashrrev_i32_e32 v19, 31, v18
	v_lshl_add_u64 v[64:65], v[20:21], 0, v[16:17]
	v_lshl_add_u64 v[20:21], v[18:19], 2, s[4:5]
	v_add_u32_e32 v18, s1, v18
	v_ashrrev_i32_e32 v19, 31, v18
	v_lshl_add_u64 v[18:19], v[18:19], 2, s[4:5]
	v_lshl_add_u64 v[68:69], v[20:21], 0, v[16:17]
	;; [unrolled: 1-line block ×3, first 2 shown]
	global_load_dwordx4 v[18:21], v[34:35], off
	global_load_dwordx4 v[22:25], v[64:65], off
	global_load_dwordx4 v[26:29], v[68:69], off
	global_load_dwordx4 v[30:33], v[70:71], off
	s_movk_i32 s6, 0x110
	v_and_b32_e32 v34, 48, v47
	v_mul_u32_u24_e32 v65, 0x110, v72
	v_mad_u32_u24 v70, v34, s6, 0
	v_mul_lo_u32 v64, s14, v72
	v_add3_u32 v72, 0, v65, v16
	v_add3_u32 v59, v70, v59, v40
	v_lshrrev_b32_e32 v35, 2, v60
	v_mbcnt_hi_u32_b32 v60, -1, v77
	v_and_b32_e32 v71, 64, v60
	v_xor_b32_e32 v73, 32, v60
	v_add_u32_e32 v71, 64, v71
	v_xor_b32_e32 v74, 16, v60
	v_cmp_lt_i32_e32 vcc, v73, v71
	s_mul_hi_i32 s9, s0, s14
	s_mul_i32 s8, s0, s14
	v_cndmask_b32_e32 v73, v60, v73, vcc
	v_cmp_lt_i32_e32 vcc, v74, v71
	s_lshl_b64 s[8:9], s[8:9], 2
	s_add_u32 s2, s2, s8
	v_ashrrev_i32_e32 v65, 31, v64
	s_addc_u32 s3, s3, s9
	v_and_b32_e32 v68, 0xfc, v53
	v_add_u16_e32 v34, v34, v68
	s_movk_i32 s7, 0x90
	v_lshrrev_b16_e32 v34, 1, v34
	s_movk_i32 s10, 0x4400
	v_mad_u32_u24 v35, v35, s7, 0
	v_lshlrev_b32_e32 v34, 2, v34
	s_lshl_b32 s0, s14, 4
	s_mov_b32 s5, 0x3fb8aa3b
	s_mov_b32 s1, 0xc2ce8ed0
	;; [unrolled: 1-line block ×3, first 2 shown]
	v_mov_b32_e32 v69, 0x7f800000
	s_waitcnt vmcnt(3)
	ds_write_b128 v72, v[18:21]
	s_waitcnt vmcnt(2)
	ds_write_b128 v72, v[22:25] offset:4352
	s_waitcnt vmcnt(1)
	ds_write_b128 v72, v[26:29] offset:8704
	;; [unrolled: 2-line block ×3, first 2 shown]
	s_waitcnt lgkmcnt(0)
	s_barrier
	ds_read2_b64 v[18:21], v59 offset1:4
	v_cndmask_b32_e32 v22, v60, v74, vcc
	v_lshlrev_b32_e32 v33, 2, v22
	ds_read2_b64 v[22:25], v59 offset0:8 offset1:12
	s_waitcnt lgkmcnt(1)
	v_mfma_f32_16x16x16_f16 v[26:29], v[18:19], v[12:13], 0
	v_lshl_add_u64 v[18:19], v[64:65], 2, s[2:3]
	v_add3_u32 v32, v35, v34, s10
	v_add_u32_e32 v30, s0, v64
	v_mfma_f32_16x16x16_f16 v[12:15], v[20:21], v[14:15], v[26:29]
	v_ashrrev_i32_e32 v31, 31, v30
	v_lshlrev_b32_e32 v35, 2, v73
	s_nop 1
	v_lshl_add_u64 v[26:27], v[18:19], 0, v[16:17]
	ds_read2_b64 v[18:21], v59 offset0:16 offset1:20
	s_waitcnt lgkmcnt(1)
	v_mfma_f32_16x16x16_f16 v[12:15], v[22:23], v[8:9], v[12:15]
	v_add_u32_e32 v22, s0, v30
	v_ashrrev_i32_e32 v23, 31, v22
	v_lshl_add_u64 v[28:29], v[30:31], 2, s[2:3]
	v_mfma_f32_16x16x16_f16 v[8:11], v[24:25], v[10:11], v[12:15]
	v_add_u32_e32 v24, s0, v22
	v_ashrrev_i32_e32 v25, 31, v24
	s_mov_b32 s0, 0xc1a00000
	s_nop 0
	ds_read2_b64 v[12:15], v59 offset0:24 offset1:28
	s_waitcnt lgkmcnt(1)
	v_mfma_f32_16x16x16_f16 v[8:11], v[18:19], v[4:5], v[8:11]
	s_waitcnt lgkmcnt(0)
	s_barrier
	v_mfma_f32_16x16x16_f16 v[4:7], v[20:21], v[6:7], v[8:11]
	ds_read2_b32 v[18:19], v32 offset1:1
	v_lshl_add_u64 v[20:21], v[28:29], 0, v[16:17]
	v_mfma_f32_16x16x16_f16 v[4:7], v[12:13], v[0:1], v[4:7]
	s_nop 1
	v_lshl_add_u64 v[8:9], v[22:23], 2, s[2:3]
	s_waitcnt lgkmcnt(0)
	v_cvt_f32_f16_e32 v10, v18
	v_cvt_f32_f16_sdwa v11, v18 dst_sel:DWORD dst_unused:UNUSED_PAD src0_sel:WORD_1
	v_mfma_f32_16x16x16_f16 v[0:3], v[14:15], v[2:3], v[4:7]
	v_cvt_f32_f16_e32 v12, v19
	v_cvt_f32_f16_sdwa v13, v19 dst_sel:DWORD dst_unused:UNUSED_PAD src0_sel:WORD_1
	v_lshl_add_u64 v[18:19], v[8:9], 0, v[16:17]
	s_nop 4
	v_add_f32_e32 v22, v0, v10
	v_add_f32_e32 v23, v1, v11
	;; [unrolled: 1-line block ×8, first 2 shown]
	v_max3_f32 v0, v66, v0, v1
	v_max3_f32 v2, v0, v2, v3
	ds_bpermute_b32 v3, v35, v2
	v_lshl_add_u64 v[0:1], v[24:25], 2, s[2:3]
	v_lshl_add_u64 v[16:17], v[0:1], 0, v[16:17]
	s_waitcnt lgkmcnt(0)
	v_max_f32_e32 v0, v3, v3
	v_max_f32_e32 v24, v2, v0
	global_load_dwordx4 v[0:3], v[26:27], off
	global_load_dwordx4 v[4:7], v[20:21], off
	;; [unrolled: 1-line block ×4, first 2 shown]
	ds_bpermute_b32 v25, v33, v24
	s_waitcnt vmcnt(3)
	ds_write_b128 v72, v[0:3]
	s_waitcnt vmcnt(2)
	ds_write_b128 v72, v[4:7] offset:4352
	s_waitcnt vmcnt(1)
	ds_write_b128 v72, v[8:11] offset:8704
	;; [unrolled: 2-line block ×3, first 2 shown]
	s_waitcnt lgkmcnt(4)
	v_max_f32_e32 v16, v25, v25
	v_max_f32_e32 v32, v24, v16
	v_sub_f32_e32 v16, v22, v32
	v_mul_f32_e32 v19, 0x3fb8aa3b, v16
	v_sub_f32_e32 v17, v23, v32
	v_fma_f32 v22, v16, s5, -v19
	v_rndne_f32_e32 v23, v19
	v_fmac_f32_e32 v22, 0x32a5705f, v16
	v_sub_f32_e32 v19, v19, v23
	v_mul_f32_e32 v20, 0x3fb8aa3b, v17
	v_add_f32_e32 v19, v19, v22
	v_sub_f32_e32 v18, v28, v32
	v_fma_f32 v24, v17, s5, -v20
	v_rndne_f32_e32 v25, v20
	v_cvt_i32_f32_e32 v23, v23
	v_exp_f32_e32 v19, v19
	v_mul_f32_e32 v21, 0x3fb8aa3b, v18
	v_fmac_f32_e32 v24, 0x32a5705f, v17
	v_sub_f32_e32 v20, v20, v25
	v_fma_f32 v26, v18, s5, -v21
	v_rndne_f32_e32 v27, v21
	v_add_f32_e32 v20, v20, v24
	v_cvt_i32_f32_e32 v25, v25
	v_fmac_f32_e32 v26, 0x32a5705f, v18
	v_sub_f32_e32 v21, v21, v27
	v_exp_f32_e32 v20, v20
	v_add_f32_e32 v21, v21, v26
	v_ldexp_f32 v19, v19, v23
	v_cmp_ngt_f32_e32 vcc, s1, v16
	v_exp_f32_e32 v21, v21
	v_ldexp_f32 v20, v20, v25
	v_cndmask_b32_e32 v19, 0, v19, vcc
	v_cmp_nlt_f32_e32 vcc, s4, v16
	v_cvt_i32_f32_e32 v16, v27
	s_waitcnt lgkmcnt(0)
	v_cndmask_b32_e32 v19, v69, v19, vcc
	v_cmp_ngt_f32_e32 vcc, s1, v17
	v_ldexp_f32 v16, v21, v16
	s_barrier
	v_cndmask_b32_e32 v20, 0, v20, vcc
	v_cmp_nlt_f32_e32 vcc, s4, v17
	v_sub_f32_e32 v17, v29, v32
	v_mul_f32_e32 v21, 0x3fb8aa3b, v17
	v_fma_f32 v22, v17, s5, -v21
	v_rndne_f32_e32 v23, v21
	v_fmac_f32_e32 v22, 0x32a5705f, v17
	v_sub_f32_e32 v21, v21, v23
	v_add_f32_e32 v21, v21, v22
	v_cvt_i32_f32_e32 v22, v23
	v_sub_f32_e32 v23, v66, v32
	v_mul_f32_e32 v24, 0x3fb8aa3b, v23
	v_fma_f32 v25, v23, s5, -v24
	v_rndne_f32_e32 v26, v24
	v_fmac_f32_e32 v25, 0x32a5705f, v23
	v_sub_f32_e32 v24, v24, v26
	v_add_f32_e32 v24, v24, v25
	v_exp_f32_e32 v24, v24
	v_cvt_i32_f32_e32 v25, v26
	v_cndmask_b32_e32 v20, v69, v20, vcc
	v_cmp_ngt_f32_e32 vcc, s1, v18
	v_exp_f32_e32 v21, v21
	s_nop 0
	v_cndmask_b32_e32 v16, 0, v16, vcc
	v_cmp_nlt_f32_e32 vcc, s4, v18
	v_ldexp_f32 v18, v24, v25
	s_nop 0
	v_cndmask_b32_e32 v26, v69, v16, vcc
	v_cmp_ngt_f32_e32 vcc, s1, v23
	v_ldexp_f32 v16, v21, v22
	v_mul_u32_u24_e32 v21, 0x110, v68
	v_cndmask_b32_e32 v18, 0, v18, vcc
	v_cmp_nlt_f32_e32 vcc, s4, v23
	v_or_b32_e32 v22, 3, v53
	v_mul_u32_u24_e32 v22, 0x110, v22
	v_cndmask_b32_e32 v18, v69, v18, vcc
	v_cmp_le_f32_e32 vcc, s0, v23
	v_add3_u32 v0, v70, v21, v50
	v_add3_u32 v1, v70, v22, v50
	v_cndmask_b32_e32 v30, 0, v18, vcc
	v_cvt_f16_f32_e32 v18, v30
	v_cmp_ngt_f32_e32 vcc, s1, v17
	s_mov_b32 s0, 0x5040100
	ds_read_u16 v2, v0 offset:544
	ds_read_u16 v6, v0 offset:576
	;; [unrolled: 1-line block ×8, first 2 shown]
	ds_read_u16 v3, v1
	ds_read_u16 v7, v1 offset:32
	ds_read_u16 v11, v1 offset:64
	;; [unrolled: 1-line block ×7, first 2 shown]
	v_cndmask_b32_e32 v16, 0, v16, vcc
	v_cmp_nlt_f32_e32 vcc, s4, v17
	v_mul_u32_u24_e32 v31, 0x10001, v18
	v_pk_mul_f16 v17, v62, v31
	v_cndmask_b32_e32 v27, v69, v16, vcc
	v_pk_mul_f16 v16, v63, v31
	v_pk_mul_f16 v18, v61, v31
	s_waitcnt lgkmcnt(7)
	v_perm_b32 v5, v3, v2, s0
	ds_read_u16 v1, v0
	ds_read_u16 v8, v0 offset:32
	ds_read_u16 v12, v0 offset:64
	;; [unrolled: 1-line block ×15, first 2 shown]
	s_waitcnt lgkmcnt(7)
	v_perm_b32 v4, v2, v1, s0
	v_cvt_f32_f16_e32 v0, v16
	v_cvt_f32_f16_sdwa v1, v16 dst_sel:DWORD dst_unused:UNUSED_PAD src0_sel:WORD_1
	v_cvt_f32_f16_e32 v2, v17
	v_cvt_f32_f16_sdwa v3, v17 dst_sel:DWORD dst_unused:UNUSED_PAD src0_sel:WORD_1
	v_pk_mul_f16 v16, v58, v31
	v_cvt_pk_f16_f32 v59, v26, v27
	v_cvt_pk_f16_f32 v58, v19, v20
	v_perm_b32 v9, v7, v6, s0
	s_waitcnt lgkmcnt(6)
	v_perm_b32 v8, v13, v8, s0
	v_mfma_f32_16x16x16_f16 v[0:3], v[4:5], v[58:59], v[0:3]
	v_cvt_f32_f16_e32 v4, v18
	v_cvt_f32_f16_sdwa v5, v18 dst_sel:DWORD dst_unused:UNUSED_PAD src0_sel:WORD_1
	v_cvt_f32_f16_e32 v6, v16
	v_cvt_f32_f16_sdwa v7, v16 dst_sel:DWORD dst_unused:UNUSED_PAD src0_sel:WORD_1
	v_pk_mul_f16 v16, v57, v31
	v_pk_mul_f16 v17, v56, v31
	v_perm_b32 v13, v11, v10, s0
	s_waitcnt lgkmcnt(5)
	v_perm_b32 v12, v63, v12, s0
	v_mfma_f32_16x16x16_f16 v[4:7], v[8:9], v[58:59], v[4:7]
	v_cvt_f32_f16_e32 v8, v16
	v_cvt_f32_f16_sdwa v9, v16 dst_sel:DWORD dst_unused:UNUSED_PAD src0_sel:WORD_1
	v_cvt_f32_f16_e32 v10, v17
	v_cvt_f32_f16_sdwa v11, v17 dst_sel:DWORD dst_unused:UNUSED_PAD src0_sel:WORD_1
	v_pk_mul_f16 v18, v55, v31
	v_pk_mul_f16 v54, v54, v31
	v_perm_b32 v17, v15, v14, s0
	s_waitcnt lgkmcnt(4)
	v_perm_b32 v16, v64, v25, s0
	v_mfma_f32_16x16x16_f16 v[8:11], v[12:13], v[58:59], v[8:11]
	v_cvt_f32_f16_e32 v12, v18
	v_cvt_f32_f16_sdwa v13, v18 dst_sel:DWORD dst_unused:UNUSED_PAD src0_sel:WORD_1
	v_cvt_f32_f16_e32 v14, v54
	v_cvt_f32_f16_sdwa v15, v54 dst_sel:DWORD dst_unused:UNUSED_PAD src0_sel:WORD_1
	v_add_f32_e32 v25, v19, v20
	v_pk_mul_f16 v18, v52, v31
	v_pk_mul_f16 v19, v48, v31
	v_perm_b32 v21, v23, v21, s0
	s_waitcnt lgkmcnt(3)
	v_perm_b32 v20, v65, v53, s0
	v_mfma_f32_16x16x16_f16 v[12:15], v[16:17], v[58:59], v[12:15]
	v_cvt_f32_f16_e32 v16, v18
	v_cvt_f32_f16_sdwa v17, v18 dst_sel:DWORD dst_unused:UNUSED_PAD src0_sel:WORD_1
	v_cvt_f32_f16_e32 v18, v19
	v_cvt_f32_f16_sdwa v19, v19 dst_sel:DWORD dst_unused:UNUSED_PAD src0_sel:WORD_1
	v_add_f32_e32 v26, v26, v25
	;; [unrolled: 11-line block ×3, first 2 shown]
	v_pk_mul_f16 v26, v44, v31
	v_pk_mul_f16 v27, v43, v31
	v_perm_b32 v29, v29, v28, s0
	s_waitcnt lgkmcnt(1)
	v_perm_b32 v28, v68, v61, s0
	v_mfma_f32_16x16x16_f16 v[20:23], v[24:25], v[58:59], v[20:23]
	v_cvt_f32_f16_e32 v24, v26
	v_cvt_f32_f16_sdwa v25, v26 dst_sel:DWORD dst_unused:UNUSED_PAD src0_sel:WORD_1
	v_cvt_f32_f16_e32 v26, v27
	v_cvt_f32_f16_sdwa v27, v27 dst_sel:DWORD dst_unused:UNUSED_PAD src0_sel:WORD_1
	v_fmac_f32_e32 v45, v67, v30
	v_perm_b32 v43, v50, v34, s0
	ds_bpermute_b32 v34, v35, v45
	v_pk_mul_f16 v30, v42, v31
	v_pk_mul_f16 v31, v41, v31
	s_waitcnt lgkmcnt(1)
	v_perm_b32 v42, v69, v62, s0
	v_mfma_f32_16x16x16_f16 v[24:27], v[28:29], v[58:59], v[24:27]
	v_cvt_f32_f16_e32 v28, v30
	v_cvt_f32_f16_sdwa v29, v30 dst_sel:DWORD dst_unused:UNUSED_PAD src0_sel:WORD_1
	v_cvt_f32_f16_e32 v30, v31
	v_cvt_f32_f16_sdwa v31, v31 dst_sel:DWORD dst_unused:UNUSED_PAD src0_sel:WORD_1
	s_waitcnt lgkmcnt(0)
	v_add_f32_e32 v34, v45, v34
	ds_bpermute_b32 v41, v33, v34
	v_mfma_f32_16x16x16_f16 v[28:31], v[42:43], v[58:59], v[28:31]
	v_cmp_gt_u32_e64 s[0:1], 16, v36
	s_waitcnt lgkmcnt(0)
	s_barrier
	s_and_saveexec_b64 s[4:5], s[0:1]
; %bb.269:
	v_add_f32_e32 v34, v34, v41
	v_or_b32_e32 v41, v47, v36
	v_mad_u32_u24 v41, v41, s6, 0
	ds_write2_b32 v41, v32, v34 offset0:64 offset1:65
; %bb.270:
	s_or_b64 exec, exec, s[4:5]
	v_cmp_eq_u32_e32 vcc, 0, v75
	v_cmp_ne_u32_e64 s[4:5], 0, v75
	s_waitcnt lgkmcnt(0)
	s_barrier
	s_and_saveexec_b64 s[2:3], s[4:5]
	s_xor_b64 s[4:5], exec, s[2:3]
	s_cbranch_execz .LBB24_272
; %bb.271:
	s_barrier
                                        ; implicit-def: $vgpr35
                                        ; implicit-def: $vgpr33
                                        ; implicit-def: $vgpr51
.LBB24_272:
	s_andn2_saveexec_b64 s[6:7], s[4:5]
	s_cbranch_execz .LBB24_276
; %bb.273:
	v_add_u32_e32 v32, v47, v36
	s_movk_i32 s2, 0x110
	v_mad_u32_u24 v41, v32, s2, 0
	ds_read_b64 v[42:43], v41 offset:256
	s_mov_b32 s2, 0x3fb8aa3b
	s_mov_b32 s3, 0x42b17218
	;; [unrolled: 1-line block ×3, first 2 shown]
	s_waitcnt lgkmcnt(0)
	ds_bpermute_b32 v32, v35, v42
	v_max_f32_e32 v34, v42, v42
	s_barrier
	s_waitcnt lgkmcnt(0)
	v_max_f32_e32 v32, v32, v32
	v_max_f32_e32 v32, v34, v32
	ds_bpermute_b32 v34, v33, v32
	s_waitcnt lgkmcnt(0)
	v_max_f32_e32 v34, v34, v34
	v_max_f32_e32 v32, v32, v34
	v_sub_f32_e32 v34, v42, v32
	v_mul_f32_e32 v42, 0x3fb8aa3b, v34
	v_fma_f32 v44, v34, s2, -v42
	v_rndne_f32_e32 v45, v42
	v_fmamk_f32 v44, v34, 0x32a5705f, v44
	v_sub_f32_e32 v42, v42, v45
	v_add_f32_e32 v42, v42, v44
	v_cvt_i32_f32_e32 v45, v45
	v_exp_f32_e32 v42, v42
	s_mov_b32 s2, 0xc2ce8ed0
	v_cmp_ngt_f32_e64 s[4:5], s2, v34
	v_mov_b32_e32 v44, 0x7f800000
	v_ldexp_f32 v42, v42, v45
	v_cndmask_b32_e64 v42, 0, v42, s[4:5]
	v_cmp_nlt_f32_e64 s[4:5], s3, v34
	s_nop 1
	v_cndmask_b32_e64 v34, v44, v42, s[4:5]
	v_mul_f32_e32 v42, v43, v34
	ds_bpermute_b32 v35, v35, v42
	s_waitcnt lgkmcnt(0)
	v_fmac_f32_e32 v35, v43, v34
	ds_bpermute_b32 v33, v33, v35
	s_waitcnt lgkmcnt(0)
	v_add_f32_e32 v35, v35, v33
	ds_write_b64 v41, v[34:35] offset:256
	s_and_saveexec_b64 s[4:5], s[0:1]
	s_cbranch_execz .LBB24_275
; %bb.274:
	s_add_i32 s0, s44, s33
	s_lshl_b32 s8, s0, 4
	s_lshl_b64 s[0:1], s[8:9], 3
	s_add_u32 s0, s30, s0
	v_or_b32_e32 v33, v51, v36
	s_addc_u32 s1, s31, s1
	v_lshlrev_b32_e32 v34, 3, v33
	v_mov_b32_e32 v33, v35
	global_store_dwordx2 v34, v[32:33], s[0:1]
.LBB24_275:
	s_or_b64 exec, exec, s[4:5]
.LBB24_276:
	s_or_b64 exec, exec, s[6:7]
	v_cvt_pk_f16_f32 v2, v2, v3
	v_cvt_pk_f16_f32 v3, v4, v5
	;; [unrolled: 1-line block ×4, first 2 shown]
	v_or_b32_e32 v16, v47, v39
	v_mul_u32_u24_e32 v16, 0x110, v16
	v_cvt_pk_f16_f32 v0, v0, v1
	s_mov_b32 s3, 0
	s_movk_i32 s4, 0x110
	v_add3_u32 v16, 0, v40, v16
	v_cvt_pk_f16_f32 v1, v6, v7
	v_cvt_pk_f16_f32 v4, v10, v11
	;; [unrolled: 1-line block ×11, first 2 shown]
	ds_write2_b32 v16, v0, v2 offset1:1
	ds_write2_b32 v16, v3, v1 offset0:8 offset1:9
	ds_write2_b32 v16, v5, v4 offset0:16 offset1:17
	;; [unrolled: 1-line block ×7, first 2 shown]
	s_waitcnt lgkmcnt(0)
	s_barrier
	s_and_saveexec_b64 s[0:1], vcc
	s_cbranch_execz .LBB24_278
; %bb.277:
	s_lshl_b32 s2, s33, 10
	s_lshl_b64 s[6:7], s[2:3], 3
	s_add_u32 s5, s30, s6
	s_addc_u32 s6, s31, s7
	v_bfe_u32 v0, v49, 2, 4
	s_movk_i32 s7, 0x3c0
	v_and_or_b32 v2, v49, s7, v0
	v_mad_u32_u24 v8, v2, s4, v37
	ds_read2st64_b32 v[0:1], v8 offset1:17
	v_mad_u32_u24 v6, v2, s4, 0
	ds_read2st64_b32 v[2:3], v6 offset0:1 offset1:18
	ds_read2st64_b32 v[6:7], v6 offset0:35 offset1:52
	;; [unrolled: 1-line block ×3, first 2 shown]
	s_lshl_b32 s2, s44, 5
	s_waitcnt lgkmcnt(3)
	v_cvt_f32_f16_e32 v4, v0
	v_cvt_f32_f16_sdwa v5, v0 dst_sel:DWORD dst_unused:UNUSED_PAD src0_sel:WORD_1
	v_cvt_f32_f16_e32 v0, v1
	v_cvt_f32_f16_sdwa v1, v1 dst_sel:DWORD dst_unused:UNUSED_PAD src0_sel:WORD_1
	s_waitcnt lgkmcnt(0)
	v_cvt_f32_f16_e32 v10, v8
	v_cvt_f32_f16_sdwa v11, v8 dst_sel:DWORD dst_unused:UNUSED_PAD src0_sel:WORD_1
	v_cvt_f32_f16_e32 v8, v9
	v_cvt_f32_f16_sdwa v9, v9 dst_sel:DWORD dst_unused:UNUSED_PAD src0_sel:WORD_1
	v_pk_fma_f32 v[4:5], v[2:3], v[4:5], 0 op_sel_hi:[0,1,0]
	v_mov_b32_e32 v2, v3
	v_pk_fma_f32 v[0:1], v[2:3], v[0:1], v[4:5] op_sel_hi:[0,1,1]
	s_lshl_b64 s[2:3], s[2:3], 3
	v_pk_fma_f32 v[0:1], v[6:7], v[10:11], v[0:1] op_sel_hi:[0,1,1]
	v_mov_b32_e32 v2, v7
	v_add_u32_e32 v4, 1, v38
	s_add_u32 s2, s5, s2
	v_pk_fma_f32 v[0:1], v[2:3], v[8:9], v[0:1] op_sel_hi:[0,1,1]
	v_lshlrev_b32_e32 v2, 2, v4
	v_and_b32_e32 v3, 15, v4
	s_movk_i32 s5, 0x7c0
	v_and_or_b32 v5, v2, s5, v3
	v_mad_u32_u24 v8, v5, s4, v37
	s_addc_u32 s3, s6, s3
	v_add_lshl_u32 v12, v47, v36, 3
	ds_read2st64_b32 v[2:3], v8 offset1:17
	global_store_dwordx2 v12, v[0:1], s[2:3]
	v_mad_u32_u24 v6, v5, s4, 0
	ds_read2st64_b32 v[0:1], v6 offset0:1 offset1:18
	ds_read2st64_b32 v[6:7], v6 offset0:35 offset1:52
	ds_read2st64_b32 v[8:9], v8 offset0:34 offset1:51
	v_lshlrev_b32_e32 v10, 6, v4
	s_waitcnt lgkmcnt(3)
	v_cvt_f32_f16_e32 v4, v2
	v_cvt_f32_f16_sdwa v5, v2 dst_sel:DWORD dst_unused:UNUSED_PAD src0_sel:WORD_1
	v_cvt_f32_f16_e32 v2, v3
	v_cvt_f32_f16_sdwa v3, v3 dst_sel:DWORD dst_unused:UNUSED_PAD src0_sel:WORD_1
	v_add_lshl_u32 v12, v10, v36, 3
	s_waitcnt lgkmcnt(0)
	v_cvt_f32_f16_e32 v10, v8
	v_cvt_f32_f16_sdwa v11, v8 dst_sel:DWORD dst_unused:UNUSED_PAD src0_sel:WORD_1
	v_cvt_f32_f16_e32 v8, v9
	v_cvt_f32_f16_sdwa v9, v9 dst_sel:DWORD dst_unused:UNUSED_PAD src0_sel:WORD_1
	v_pk_fma_f32 v[4:5], v[0:1], v[4:5], 0 op_sel_hi:[0,1,0]
	v_mov_b32_e32 v0, v1
	v_pk_fma_f32 v[0:1], v[0:1], v[2:3], v[4:5] op_sel_hi:[0,1,1]
	v_pk_fma_f32 v[0:1], v[6:7], v[10:11], v[0:1] op_sel_hi:[0,1,1]
	v_mov_b32_e32 v2, v7
	v_add_u32_e32 v4, 2, v38
	v_pk_fma_f32 v[0:1], v[2:3], v[8:9], v[0:1] op_sel_hi:[0,1,1]
	v_lshlrev_b32_e32 v2, 2, v4
	v_and_b32_e32 v3, 15, v4
	v_and_or_b32 v5, v2, s5, v3
	v_mad_u32_u24 v8, v5, s4, v37
	ds_read2st64_b32 v[2:3], v8 offset1:17
	global_store_dwordx2 v12, v[0:1], s[2:3]
	v_mad_u32_u24 v6, v5, s4, 0
	ds_read2st64_b32 v[0:1], v6 offset0:1 offset1:18
	ds_read2st64_b32 v[6:7], v6 offset0:35 offset1:52
	ds_read2st64_b32 v[8:9], v8 offset0:34 offset1:51
	v_lshlrev_b32_e32 v10, 6, v4
	s_waitcnt lgkmcnt(3)
	v_cvt_f32_f16_e32 v4, v2
	v_cvt_f32_f16_sdwa v5, v2 dst_sel:DWORD dst_unused:UNUSED_PAD src0_sel:WORD_1
	v_cvt_f32_f16_e32 v2, v3
	v_cvt_f32_f16_sdwa v3, v3 dst_sel:DWORD dst_unused:UNUSED_PAD src0_sel:WORD_1
	v_add_lshl_u32 v12, v10, v36, 3
	s_waitcnt lgkmcnt(0)
	v_cvt_f32_f16_e32 v10, v8
	v_cvt_f32_f16_sdwa v11, v8 dst_sel:DWORD dst_unused:UNUSED_PAD src0_sel:WORD_1
	v_cvt_f32_f16_e32 v8, v9
	v_cvt_f32_f16_sdwa v9, v9 dst_sel:DWORD dst_unused:UNUSED_PAD src0_sel:WORD_1
	v_pk_fma_f32 v[4:5], v[0:1], v[4:5], 0 op_sel_hi:[0,1,0]
	v_mov_b32_e32 v0, v1
	v_pk_fma_f32 v[0:1], v[0:1], v[2:3], v[4:5] op_sel_hi:[0,1,1]
	v_pk_fma_f32 v[0:1], v[6:7], v[10:11], v[0:1] op_sel_hi:[0,1,1]
	v_mov_b32_e32 v2, v7
	v_add_u32_e32 v4, 3, v38
	v_pk_fma_f32 v[0:1], v[2:3], v[8:9], v[0:1] op_sel_hi:[0,1,1]
	v_lshlrev_b32_e32 v2, 2, v4
	v_and_b32_e32 v3, 15, v4
	v_and_or_b32 v5, v2, s5, v3
	v_mad_u32_u24 v8, v5, s4, v37
	;; [unrolled: 29-line block ×14, first 2 shown]
	ds_read2st64_b32 v[2:3], v8 offset1:17
	global_store_dwordx2 v12, v[0:1], s[2:3]
	v_mad_u32_u24 v6, v5, s4, 0
	ds_read2st64_b32 v[0:1], v6 offset0:1 offset1:18
	ds_read2st64_b32 v[6:7], v6 offset0:35 offset1:52
	;; [unrolled: 1-line block ×3, first 2 shown]
	v_lshlrev_b32_e32 v10, 6, v4
	s_waitcnt lgkmcnt(3)
	v_cvt_f32_f16_e32 v4, v2
	v_cvt_f32_f16_sdwa v5, v2 dst_sel:DWORD dst_unused:UNUSED_PAD src0_sel:WORD_1
	v_cvt_f32_f16_e32 v2, v3
	v_cvt_f32_f16_sdwa v3, v3 dst_sel:DWORD dst_unused:UNUSED_PAD src0_sel:WORD_1
	v_add_lshl_u32 v12, v10, v36, 3
	s_waitcnt lgkmcnt(0)
	v_cvt_f32_f16_e32 v10, v8
	v_cvt_f32_f16_sdwa v11, v8 dst_sel:DWORD dst_unused:UNUSED_PAD src0_sel:WORD_1
	v_cvt_f32_f16_e32 v8, v9
	v_cvt_f32_f16_sdwa v9, v9 dst_sel:DWORD dst_unused:UNUSED_PAD src0_sel:WORD_1
	v_pk_fma_f32 v[4:5], v[0:1], v[4:5], 0 op_sel_hi:[0,1,0]
	v_mov_b32_e32 v0, v1
	v_pk_fma_f32 v[0:1], v[0:1], v[2:3], v[4:5] op_sel_hi:[0,1,1]
	v_pk_fma_f32 v[0:1], v[6:7], v[10:11], v[0:1] op_sel_hi:[0,1,1]
	v_mov_b32_e32 v2, v7
	v_pk_fma_f32 v[0:1], v[2:3], v[8:9], v[0:1] op_sel_hi:[0,1,1]
	global_store_dwordx2 v12, v[0:1], s[2:3]
.LBB24_278:
	s_or_b64 exec, exec, s[0:1]
	s_barrier
	s_endpgm
	.section	.rodata,"a",@progbits
	.p2align	6, 0x0
	.amdhsa_kernel _ZL18flash_attn_ext_f16ILi128ELi128ELi4ELi4ELb0ELb0EEvPKcS1_S1_S1_S1_PKiPfP15HIP_vector_typeIfLj2EEffffjfiS5_IjLj3EEiiiiiiiiiiiliiliiiiil
		.amdhsa_group_segment_fixed_size 0
		.amdhsa_private_segment_fixed_size 0
		.amdhsa_kernarg_size 464
		.amdhsa_user_sgpr_count 2
		.amdhsa_user_sgpr_dispatch_ptr 0
		.amdhsa_user_sgpr_queue_ptr 0
		.amdhsa_user_sgpr_kernarg_segment_ptr 1
		.amdhsa_user_sgpr_dispatch_id 0
		.amdhsa_user_sgpr_kernarg_preload_length 0
		.amdhsa_user_sgpr_kernarg_preload_offset 0
		.amdhsa_user_sgpr_private_segment_size 0
		.amdhsa_uses_dynamic_stack 0
		.amdhsa_enable_private_segment 0
		.amdhsa_system_sgpr_workgroup_id_x 1
		.amdhsa_system_sgpr_workgroup_id_y 0
		.amdhsa_system_sgpr_workgroup_id_z 0
		.amdhsa_system_sgpr_workgroup_info 0
		.amdhsa_system_vgpr_workitem_id 1
		.amdhsa_next_free_vgpr 201
		.amdhsa_next_free_sgpr 100
		.amdhsa_accum_offset 204
		.amdhsa_reserve_vcc 1
		.amdhsa_float_round_mode_32 0
		.amdhsa_float_round_mode_16_64 0
		.amdhsa_float_denorm_mode_32 3
		.amdhsa_float_denorm_mode_16_64 3
		.amdhsa_dx10_clamp 1
		.amdhsa_ieee_mode 1
		.amdhsa_fp16_overflow 0
		.amdhsa_tg_split 0
		.amdhsa_exception_fp_ieee_invalid_op 0
		.amdhsa_exception_fp_denorm_src 0
		.amdhsa_exception_fp_ieee_div_zero 0
		.amdhsa_exception_fp_ieee_overflow 0
		.amdhsa_exception_fp_ieee_underflow 0
		.amdhsa_exception_fp_ieee_inexact 0
		.amdhsa_exception_int_div_zero 0
	.end_amdhsa_kernel
	.section	.text._ZL18flash_attn_ext_f16ILi128ELi128ELi4ELi4ELb0ELb0EEvPKcS1_S1_S1_S1_PKiPfP15HIP_vector_typeIfLj2EEffffjfiS5_IjLj3EEiiiiiiiiiiiliiliiiiil,"axG",@progbits,_ZL18flash_attn_ext_f16ILi128ELi128ELi4ELi4ELb0ELb0EEvPKcS1_S1_S1_S1_PKiPfP15HIP_vector_typeIfLj2EEffffjfiS5_IjLj3EEiiiiiiiiiiiliiliiiiil,comdat
.Lfunc_end24:
	.size	_ZL18flash_attn_ext_f16ILi128ELi128ELi4ELi4ELb0ELb0EEvPKcS1_S1_S1_S1_PKiPfP15HIP_vector_typeIfLj2EEffffjfiS5_IjLj3EEiiiiiiiiiiiliiliiiiil, .Lfunc_end24-_ZL18flash_attn_ext_f16ILi128ELi128ELi4ELi4ELb0ELb0EEvPKcS1_S1_S1_S1_PKiPfP15HIP_vector_typeIfLj2EEffffjfiS5_IjLj3EEiiiiiiiiiiiliiliiiiil
                                        ; -- End function
	.set _ZL18flash_attn_ext_f16ILi128ELi128ELi4ELi4ELb0ELb0EEvPKcS1_S1_S1_S1_PKiPfP15HIP_vector_typeIfLj2EEffffjfiS5_IjLj3EEiiiiiiiiiiiliiliiiiil.num_vgpr, 201
	.set _ZL18flash_attn_ext_f16ILi128ELi128ELi4ELi4ELb0ELb0EEvPKcS1_S1_S1_S1_PKiPfP15HIP_vector_typeIfLj2EEffffjfiS5_IjLj3EEiiiiiiiiiiiliiliiiiil.num_agpr, 0
	.set _ZL18flash_attn_ext_f16ILi128ELi128ELi4ELi4ELb0ELb0EEvPKcS1_S1_S1_S1_PKiPfP15HIP_vector_typeIfLj2EEffffjfiS5_IjLj3EEiiiiiiiiiiiliiliiiiil.numbered_sgpr, 100
	.set _ZL18flash_attn_ext_f16ILi128ELi128ELi4ELi4ELb0ELb0EEvPKcS1_S1_S1_S1_PKiPfP15HIP_vector_typeIfLj2EEffffjfiS5_IjLj3EEiiiiiiiiiiiliiliiiiil.num_named_barrier, 0
	.set _ZL18flash_attn_ext_f16ILi128ELi128ELi4ELi4ELb0ELb0EEvPKcS1_S1_S1_S1_PKiPfP15HIP_vector_typeIfLj2EEffffjfiS5_IjLj3EEiiiiiiiiiiiliiliiiiil.private_seg_size, 0
	.set _ZL18flash_attn_ext_f16ILi128ELi128ELi4ELi4ELb0ELb0EEvPKcS1_S1_S1_S1_PKiPfP15HIP_vector_typeIfLj2EEffffjfiS5_IjLj3EEiiiiiiiiiiiliiliiiiil.uses_vcc, 1
	.set _ZL18flash_attn_ext_f16ILi128ELi128ELi4ELi4ELb0ELb0EEvPKcS1_S1_S1_S1_PKiPfP15HIP_vector_typeIfLj2EEffffjfiS5_IjLj3EEiiiiiiiiiiiliiliiiiil.uses_flat_scratch, 0
	.set _ZL18flash_attn_ext_f16ILi128ELi128ELi4ELi4ELb0ELb0EEvPKcS1_S1_S1_S1_PKiPfP15HIP_vector_typeIfLj2EEffffjfiS5_IjLj3EEiiiiiiiiiiiliiliiiiil.has_dyn_sized_stack, 0
	.set _ZL18flash_attn_ext_f16ILi128ELi128ELi4ELi4ELb0ELb0EEvPKcS1_S1_S1_S1_PKiPfP15HIP_vector_typeIfLj2EEffffjfiS5_IjLj3EEiiiiiiiiiiiliiliiiiil.has_recursion, 0
	.set _ZL18flash_attn_ext_f16ILi128ELi128ELi4ELi4ELb0ELb0EEvPKcS1_S1_S1_S1_PKiPfP15HIP_vector_typeIfLj2EEffffjfiS5_IjLj3EEiiiiiiiiiiiliiliiiiil.has_indirect_call, 0
	.section	.AMDGPU.csdata,"",@progbits
; Kernel info:
; codeLenInByte = 37712
; TotalNumSgprs: 106
; NumVgprs: 201
; NumAgprs: 0
; TotalNumVgprs: 201
; ScratchSize: 0
; MemoryBound: 0
; FloatMode: 240
; IeeeMode: 1
; LDSByteSize: 0 bytes/workgroup (compile time only)
; SGPRBlocks: 13
; VGPRBlocks: 25
; NumSGPRsForWavesPerEU: 106
; NumVGPRsForWavesPerEU: 201
; AccumOffset: 204
; Occupancy: 2
; WaveLimiterHint : 0
; COMPUTE_PGM_RSRC2:SCRATCH_EN: 0
; COMPUTE_PGM_RSRC2:USER_SGPR: 2
; COMPUTE_PGM_RSRC2:TRAP_HANDLER: 0
; COMPUTE_PGM_RSRC2:TGID_X_EN: 1
; COMPUTE_PGM_RSRC2:TGID_Y_EN: 0
; COMPUTE_PGM_RSRC2:TGID_Z_EN: 0
; COMPUTE_PGM_RSRC2:TIDIG_COMP_CNT: 1
; COMPUTE_PGM_RSRC3_GFX90A:ACCUM_OFFSET: 50
; COMPUTE_PGM_RSRC3_GFX90A:TG_SPLIT: 0
	.section	.text._ZL18flash_attn_ext_f16ILi128ELi128ELi4ELi4ELb1ELb0EEvPKcS1_S1_S1_S1_PKiPfP15HIP_vector_typeIfLj2EEffffjfiS5_IjLj3EEiiiiiiiiiiiliiliiiiil,"axG",@progbits,_ZL18flash_attn_ext_f16ILi128ELi128ELi4ELi4ELb1ELb0EEvPKcS1_S1_S1_S1_PKiPfP15HIP_vector_typeIfLj2EEffffjfiS5_IjLj3EEiiiiiiiiiiiliiliiiiil,comdat
	.globl	_ZL18flash_attn_ext_f16ILi128ELi128ELi4ELi4ELb1ELb0EEvPKcS1_S1_S1_S1_PKiPfP15HIP_vector_typeIfLj2EEffffjfiS5_IjLj3EEiiiiiiiiiiiliiliiiiil ; -- Begin function _ZL18flash_attn_ext_f16ILi128ELi128ELi4ELi4ELb1ELb0EEvPKcS1_S1_S1_S1_PKiPfP15HIP_vector_typeIfLj2EEffffjfiS5_IjLj3EEiiiiiiiiiiiliiliiiiil
	.p2align	8
	.type	_ZL18flash_attn_ext_f16ILi128ELi128ELi4ELi4ELb1ELb0EEvPKcS1_S1_S1_S1_PKiPfP15HIP_vector_typeIfLj2EEffffjfiS5_IjLj3EEiiiiiiiiiiiliiliiiiil,@function
_ZL18flash_attn_ext_f16ILi128ELi128ELi4ELi4ELb1ELb0EEvPKcS1_S1_S1_S1_PKiPfP15HIP_vector_typeIfLj2EEffffjfiS5_IjLj3EEiiiiiiiiiiiliiliiiiil: ; @_ZL18flash_attn_ext_f16ILi128ELi128ELi4ELi4ELb1ELb0EEvPKcS1_S1_S1_S1_PKiPfP15HIP_vector_typeIfLj2EEffffjfiS5_IjLj3EEiiiiiiiiiiiliiliiiiil
; %bb.0:
	s_mov_b32 s33, s2
	s_load_dwordx2 s[2:3], s[0:1], 0x80
	s_load_dwordx4 s[36:39], s[0:1], 0x64
                                        ; implicit-def: $vgpr200 : SGPR spill to VGPR lane
	s_load_dword s44, s[0:1], 0xd0
	s_mov_b32 s6, 0
	s_waitcnt lgkmcnt(0)
	s_abs_i32 s4, s3
	v_cvt_f32_u32_e32 v1, s4
	s_sub_i32 s8, 0, s4
	s_abs_i32 s7, s37
	s_xor_b32 s5, s37, s3
	v_rcp_iflag_f32_e32 v1, v1
	s_ashr_i32 s5, s5, 31
	v_mul_f32_e32 v1, 0x4f7ffffe, v1
	v_cvt_u32_f32_e32 v1, v1
	s_nop 0
	v_readfirstlane_b32 s9, v1
	s_mul_i32 s8, s8, s9
	s_mul_hi_u32 s8, s9, s8
	s_add_i32 s9, s9, s8
	s_mul_hi_u32 s8, s7, s9
	s_mul_i32 s9, s8, s4
	s_sub_i32 s7, s7, s9
	s_add_i32 s10, s8, 1
	s_sub_i32 s9, s7, s4
	s_cmp_ge_u32 s7, s4
	s_cselect_b32 s8, s10, s8
	s_cselect_b32 s7, s9, s7
	s_add_i32 s9, s8, 1
	s_cmp_ge_u32 s7, s4
	s_cselect_b32 s4, s9, s8
	s_add_i32 s2, s2, 63
	s_xor_b32 s4, s4, s5
	s_ashr_i32 s7, s2, 31
	s_sub_i32 s86, s4, s5
	s_lshr_b32 s4, s7, 26
	s_add_i32 s2, s2, s4
	s_ashr_i32 s91, s2, 6
	s_add_i32 s2, s36, 3
	s_lshr_b32 s5, s2, 2
	s_add_i32 s2, s86, 3
	s_ashr_i32 s4, s2, 31
	s_lshr_b32 s4, s4, 30
	s_add_i32 s2, s2, s4
	s_ashr_i32 s2, s2, 2
	s_mul_i32 s4, s5, s91
	s_mul_i32 s89, s4, s2
	;; [unrolled: 1-line block ×4, first 2 shown]
	v_writelane_b32 v200, s5, 0
	s_ashr_i32 s3, s2, 31
	v_writelane_b32 v200, s4, 1
	s_mul_i32 s4, s3, s33
	s_mul_hi_u32 s5, s2, s33
	s_add_i32 s7, s5, s4
	s_cmp_lg_u64 s[6:7], 0
	s_mul_i32 s6, s2, s33
	s_cbranch_scc0 .LBB25_343
; %bb.1:
	s_add_u32 s4, s44, 0
	s_addc_u32 s5, 0, 0
	s_xor_b64 s[8:9], s[4:5], 0
	v_cvt_f32_u32_e32 v1, s8
	v_cvt_f32_u32_e32 v2, s9
	s_sub_u32 s12, 0, s8
	s_subb_u32 s13, 0, s9
	v_fmamk_f32 v1, v2, 0x4f800000, v1
	v_rcp_f32_e32 v1, v1
	s_nop 0
	v_mul_f32_e32 v1, 0x5f7ffffc, v1
	v_mul_f32_e32 v2, 0x2f800000, v1
	v_trunc_f32_e32 v2, v2
	v_fmamk_f32 v1, v2, 0xcf800000, v1
	v_cvt_u32_f32_e32 v2, v2
	v_cvt_u32_f32_e32 v1, v1
	v_readfirstlane_b32 s14, v2
	v_readfirstlane_b32 s10, v1
	s_mul_i32 s11, s12, s14
	s_mul_hi_u32 s16, s12, s10
	s_mul_i32 s15, s13, s10
	s_add_i32 s11, s16, s11
	s_add_i32 s11, s11, s15
	s_mul_i32 s17, s12, s10
	s_mul_i32 s16, s10, s11
	s_mul_hi_u32 s18, s10, s17
	s_mul_hi_u32 s15, s10, s11
	s_add_u32 s16, s18, s16
	s_addc_u32 s15, 0, s15
	s_mul_hi_u32 s19, s14, s17
	s_mul_i32 s17, s14, s17
	s_add_u32 s16, s16, s17
	s_mul_hi_u32 s18, s14, s11
	s_addc_u32 s15, s15, s19
	s_addc_u32 s16, s18, 0
	s_mul_i32 s11, s14, s11
	s_add_u32 s11, s15, s11
	s_addc_u32 s15, 0, s16
	s_add_u32 s16, s10, s11
	s_cselect_b64 s[10:11], -1, 0
	s_cmp_lg_u64 s[10:11], 0
	s_addc_u32 s14, s14, s15
	s_mul_i32 s10, s12, s14
	s_mul_hi_u32 s11, s12, s16
	s_add_i32 s10, s11, s10
	s_mul_i32 s13, s13, s16
	s_add_i32 s10, s10, s13
	s_mul_i32 s12, s12, s16
	s_mul_hi_u32 s13, s14, s12
	s_mul_i32 s15, s14, s12
	s_mul_i32 s18, s16, s10
	s_mul_hi_u32 s12, s16, s12
	s_mul_hi_u32 s17, s16, s10
	s_add_u32 s12, s12, s18
	s_addc_u32 s17, 0, s17
	s_add_u32 s12, s12, s15
	s_mul_hi_u32 s11, s14, s10
	s_addc_u32 s12, s17, s13
	s_addc_u32 s11, s11, 0
	s_mul_i32 s10, s14, s10
	s_add_u32 s10, s12, s10
	s_addc_u32 s12, 0, s11
	s_add_u32 s15, s16, s10
	s_cselect_b64 s[10:11], -1, 0
	s_cmp_lg_u64 s[10:11], 0
	s_addc_u32 s14, s14, s12
	s_ashr_i32 s10, s7, 31
	s_add_u32 s12, s6, s10
	s_mov_b32 s11, s10
	s_addc_u32 s13, s7, s10
	s_xor_b64 s[12:13], s[12:13], s[10:11]
	s_mul_i32 s16, s12, s14
	s_mul_hi_u32 s17, s12, s15
	s_mul_hi_u32 s7, s12, s14
	s_add_u32 s16, s17, s16
	s_addc_u32 s7, 0, s7
	s_mul_hi_u32 s18, s13, s15
	s_mul_i32 s15, s13, s15
	s_add_u32 s15, s16, s15
	s_mul_hi_u32 s17, s13, s14
	s_addc_u32 s7, s7, s18
	s_addc_u32 s15, s17, 0
	s_mul_i32 s14, s13, s14
	s_add_u32 s7, s7, s14
	s_addc_u32 s18, 0, s15
	s_mul_i32 s14, s8, s18
	s_mul_hi_u32 s15, s8, s7
	s_add_i32 s14, s15, s14
	s_mul_i32 s15, s9, s7
	s_add_i32 s19, s14, s15
	s_sub_i32 s16, s13, s19
	s_mul_i32 s14, s8, s7
	s_sub_u32 s12, s12, s14
	s_cselect_b64 s[14:15], -1, 0
	s_cmp_lg_u64 s[14:15], 0
	s_subb_u32 s20, s16, s9
	s_sub_u32 s21, s12, s8
	s_cselect_b64 s[16:17], -1, 0
	s_cmp_lg_u64 s[16:17], 0
	s_subb_u32 s16, s20, 0
	s_cmp_ge_u32 s16, s9
	s_cselect_b32 s17, -1, 0
	s_cmp_ge_u32 s21, s8
	s_cselect_b32 s20, -1, 0
	s_cmp_eq_u32 s16, s9
	s_cselect_b32 s16, s20, s17
	s_add_u32 s17, s7, 1
	s_addc_u32 s20, s18, 0
	s_add_u32 s21, s7, 2
	s_addc_u32 s22, s18, 0
	s_cmp_lg_u32 s16, 0
	s_cselect_b32 s16, s21, s17
	s_cselect_b32 s17, s22, s20
	s_cmp_lg_u64 s[14:15], 0
	s_subb_u32 s13, s13, s19
	s_cmp_ge_u32 s13, s9
	s_cselect_b32 s14, -1, 0
	s_cmp_ge_u32 s12, s8
	s_cselect_b32 s8, -1, 0
	s_cmp_eq_u32 s13, s9
	s_cselect_b32 s8, s8, s14
	s_cmp_lg_u32 s8, 0
	s_cselect_b32 s9, s17, s18
	s_cselect_b32 s8, s16, s7
	s_xor_b64 s[10:11], s[10:11], 0
	s_xor_b64 s[8:9], s[8:9], s[10:11]
	s_sub_u32 s54, s8, s10
	s_load_dwordx2 s[46:47], s[0:1], 0x74
	v_cvt_f32_u32_e32 v1, s44
	s_cbranch_execnz .LBB25_3
.LBB25_2:
	v_rcp_iflag_f32_e32 v2, v1
	s_sub_i32 s4, 0, s44
	v_mul_f32_e32 v2, 0x4f7ffffe, v2
	v_cvt_u32_f32_e32 v2, v2
	s_nop 0
	v_readfirstlane_b32 s5, v2
	s_mul_i32 s4, s4, s5
	s_mul_hi_u32 s4, s5, s4
	s_add_i32 s5, s5, s4
	s_mul_hi_u32 s4, s6, s5
	s_mul_i32 s7, s4, s44
	s_sub_i32 s6, s6, s7
	s_add_i32 s5, s4, 1
	s_sub_i32 s7, s6, s44
	s_cmp_ge_u32 s6, s44
	s_cselect_b32 s4, s5, s4
	s_cselect_b32 s6, s7, s6
	s_add_i32 s5, s4, 1
	s_cmp_ge_u32 s6, s44
	s_cselect_b32 s54, s5, s4
.LBB25_3:
	s_add_i32 s4, s33, 1
	s_mul_i32 s3, s3, s4
	s_mul_hi_u32 s5, s2, s4
	s_add_i32 s9, s5, s3
	s_mov_b32 s8, 0
	s_cmp_lg_u64 s[8:9], 0
	s_mul_i32 s2, s2, s4
	s_cbranch_scc0 .LBB25_344
; %bb.4:
	s_add_u32 s4, s44, 0
	s_addc_u32 s5, 0, 0
	s_xor_b64 s[6:7], s[4:5], 0
	v_cvt_f32_u32_e32 v2, s6
	v_cvt_f32_u32_e32 v3, s7
	s_sub_u32 s3, 0, s6
	s_subb_u32 s8, 0, s7
	v_fmamk_f32 v2, v3, 0x4f800000, v2
	v_rcp_f32_e32 v2, v2
	s_nop 0
	v_mul_f32_e32 v2, 0x5f7ffffc, v2
	v_mul_f32_e32 v3, 0x2f800000, v2
	v_trunc_f32_e32 v3, v3
	v_fmamk_f32 v2, v3, 0xcf800000, v2
	v_cvt_u32_f32_e32 v3, v3
	v_cvt_u32_f32_e32 v2, v2
	v_readfirstlane_b32 s12, v3
	v_readfirstlane_b32 s10, v2
	s_mul_i32 s11, s3, s12
	s_mul_hi_u32 s14, s3, s10
	s_mul_i32 s13, s8, s10
	s_add_i32 s11, s14, s11
	s_add_i32 s11, s11, s13
	s_mul_i32 s15, s3, s10
	s_mul_i32 s14, s10, s11
	s_mul_hi_u32 s16, s10, s15
	s_mul_hi_u32 s13, s10, s11
	s_add_u32 s14, s16, s14
	s_addc_u32 s13, 0, s13
	s_mul_hi_u32 s17, s12, s15
	s_mul_i32 s15, s12, s15
	s_add_u32 s14, s14, s15
	s_mul_hi_u32 s16, s12, s11
	s_addc_u32 s13, s13, s17
	s_addc_u32 s14, s16, 0
	s_mul_i32 s11, s12, s11
	s_add_u32 s11, s13, s11
	s_addc_u32 s13, 0, s14
	s_add_u32 s14, s10, s11
	s_cselect_b64 s[10:11], -1, 0
	s_cmp_lg_u64 s[10:11], 0
	s_addc_u32 s12, s12, s13
	s_mul_i32 s10, s3, s12
	s_mul_hi_u32 s11, s3, s14
	s_add_i32 s10, s11, s10
	s_mul_i32 s8, s8, s14
	s_add_i32 s10, s10, s8
	s_mul_i32 s3, s3, s14
	s_mul_hi_u32 s11, s12, s3
	s_mul_i32 s13, s12, s3
	s_mul_i32 s16, s14, s10
	s_mul_hi_u32 s3, s14, s3
	s_mul_hi_u32 s15, s14, s10
	s_add_u32 s3, s3, s16
	s_addc_u32 s15, 0, s15
	s_add_u32 s3, s3, s13
	s_mul_hi_u32 s8, s12, s10
	s_addc_u32 s3, s15, s11
	s_addc_u32 s8, s8, 0
	s_mul_i32 s10, s12, s10
	s_add_u32 s3, s3, s10
	s_addc_u32 s8, 0, s8
	s_add_u32 s3, s14, s3
	s_cselect_b64 s[10:11], -1, 0
	s_cmp_lg_u64 s[10:11], 0
	s_addc_u32 s12, s12, s8
	s_ashr_i32 s10, s9, 31
	s_add_u32 s8, s2, s10
	s_mov_b32 s11, s10
	s_addc_u32 s9, s9, s10
	s_xor_b64 s[8:9], s[8:9], s[10:11]
	s_mul_i32 s14, s8, s12
	s_mul_hi_u32 s15, s8, s3
	s_mul_hi_u32 s13, s8, s12
	s_add_u32 s14, s15, s14
	s_addc_u32 s13, 0, s13
	s_mul_hi_u32 s16, s9, s3
	s_mul_i32 s3, s9, s3
	s_add_u32 s3, s14, s3
	s_mul_hi_u32 s15, s9, s12
	s_addc_u32 s3, s13, s16
	s_addc_u32 s13, s15, 0
	s_mul_i32 s12, s9, s12
	s_add_u32 s3, s3, s12
	s_addc_u32 s16, 0, s13
	s_mul_i32 s12, s6, s16
	s_mul_hi_u32 s13, s6, s3
	s_add_i32 s12, s13, s12
	s_mul_i32 s13, s7, s3
	s_add_i32 s17, s12, s13
	s_sub_i32 s14, s9, s17
	s_mul_i32 s12, s6, s3
	s_sub_u32 s8, s8, s12
	s_cselect_b64 s[12:13], -1, 0
	s_cmp_lg_u64 s[12:13], 0
	s_subb_u32 s18, s14, s7
	s_sub_u32 s19, s8, s6
	s_cselect_b64 s[14:15], -1, 0
	s_cmp_lg_u64 s[14:15], 0
	s_subb_u32 s14, s18, 0
	s_cmp_ge_u32 s14, s7
	s_cselect_b32 s15, -1, 0
	s_cmp_ge_u32 s19, s6
	s_cselect_b32 s18, -1, 0
	s_cmp_eq_u32 s14, s7
	s_cselect_b32 s14, s18, s15
	s_add_u32 s15, s3, 1
	s_addc_u32 s18, s16, 0
	s_add_u32 s19, s3, 2
	s_addc_u32 s20, s16, 0
	s_cmp_lg_u32 s14, 0
	s_cselect_b32 s14, s19, s15
	s_cselect_b32 s15, s20, s18
	s_cmp_lg_u64 s[12:13], 0
	s_subb_u32 s9, s9, s17
	s_cmp_ge_u32 s9, s7
	s_cselect_b32 s12, -1, 0
	s_cmp_ge_u32 s8, s6
	s_cselect_b32 s6, -1, 0
	s_cmp_eq_u32 s9, s7
	s_cselect_b32 s6, s6, s12
	s_cmp_lg_u32 s6, 0
	s_cselect_b32 s7, s15, s16
	s_cselect_b32 s6, s14, s3
	s_xor_b64 s[8:9], s[10:11], 0
	s_xor_b64 s[6:7], s[6:7], s[8:9]
	s_sub_u32 s58, s6, s8
	s_load_dwordx2 s[34:35], s[0:1], 0x5c
	s_cbranch_execnz .LBB25_6
.LBB25_5:
	v_rcp_iflag_f32_e32 v1, v1
	s_sub_i32 s3, 0, s44
	v_mul_f32_e32 v1, 0x4f7ffffe, v1
	v_cvt_u32_f32_e32 v1, v1
	s_nop 0
	v_readfirstlane_b32 s4, v1
	s_mul_i32 s3, s3, s4
	s_mul_hi_u32 s3, s4, s3
	s_add_i32 s4, s4, s3
	s_mul_hi_u32 s3, s2, s4
	s_mul_i32 s5, s3, s44
	s_sub_i32 s2, s2, s5
	s_add_i32 s4, s3, 1
	s_sub_i32 s5, s2, s44
	s_cmp_ge_u32 s2, s44
	s_cselect_b32 s3, s4, s3
	s_cselect_b32 s2, s5, s2
	s_add_i32 s4, s3, 1
	s_cmp_ge_u32 s2, s44
	s_cselect_b32 s58, s4, s3
.LBB25_6:
	s_abs_i32 s92, s91
	v_cvt_f32_u32_e32 v1, s92
	s_load_dwordx16 s[16:31], s[0:1], 0x0
	s_load_dword s2, s[0:1], 0x40
	s_load_dword s3, s[0:1], 0x54
	s_load_dwordx2 s[4:5], s[0:1], 0x8c
	s_load_dwordx4 s[40:43], s[0:1], 0x98
	s_load_dwordx2 s[48:49], s[0:1], 0xa8
	s_load_dwordx2 s[12:13], s[0:1], 0xb8
	;; [unrolled: 1-line block ×3, first 2 shown]
	s_waitcnt lgkmcnt(0)
	s_mov_b32 s1, s5
	s_ashr_i32 s38, s4, 2
	v_rcp_iflag_f32_e32 v1, v1
	s_sub_i32 s4, 0, s92
	v_writelane_b32 v200, s0, 2
	s_ashr_i32 s55, s39, 3
	v_mul_f32_e32 v1, 0x4f7ffffe, v1
	v_cvt_u32_f32_e32 v1, v1
	v_writelane_b32 v200, s1, 3
	s_ashr_i32 s1, s91, 31
	v_writelane_b32 v200, s1, 4
	v_readfirstlane_b32 s52, v1
	s_mul_i32 s4, s4, s52
	s_mul_hi_u32 s4, s52, s4
	s_abs_i32 s1, s54
	s_add_i32 s52, s52, s4
	s_mul_hi_u32 s4, s1, s52
	s_mul_i32 s4, s4, s92
	s_sub_i32 s1, s1, s4
	s_ashr_i32 s53, s46, 3
	s_ashr_i32 s62, s13, 1
	;; [unrolled: 1-line block ×4, first 2 shown]
	s_sub_i32 s4, s1, s92
	s_cmp_ge_u32 s1, s92
	s_cselect_b32 s1, s4, s1
	s_sub_i32 s4, s1, s92
	s_cmp_ge_u32 s1, s92
	s_cselect_b32 s1, s4, s1
	s_xor_b32 s1, s1, s0
	s_sub_i32 s82, s1, s0
	s_sub_i32 s0, s58, s54
	s_add_i32 s4, s0, s82
	s_min_i32 s98, s91, s4
	s_cmp_gt_i32 s58, s54
	s_cselect_b64 s[8:9], -1, 0
	s_cmp_le_i32 s58, s54
	s_cselect_b64 s[0:1], -1, 0
	s_cmp_gt_i32 s91, s4
	v_cvt_f16_f32_e32 v83, s2
	s_cselect_b64 s[4:5], -1, 0
	v_bfe_u32 v75, v0, 10, 2
	s_or_b64 s[0:1], s[4:5], s[0:1]
	v_bfe_u32 v49, v0, 10, 10
	v_cmp_ne_u32_e64 s[4:5], 0, v75
	s_mov_b32 s61, 0
	s_and_b64 vcc, exec, s[0:1]
	v_lshlrev_b32_e32 v51, 2, v49
	v_lshlrev_b32_e32 v47, 4, v49
	v_cmp_eq_u32_e64 s[0:1], 0, v75
	v_writelane_b32 v200, s4, 5
	v_lshrrev_b32_e32 v85, 10, v0
	v_add_u32_e32 v81, 4, v49
	v_add_u32_e32 v79, 8, v49
	;; [unrolled: 1-line block ×3, first 2 shown]
	v_mbcnt_lo_u32_b32 v77, -1, 0
	v_writelane_b32 v200, s5, 6
	s_cbranch_vccz .LBB25_9
; %bb.7:
	s_andn2_b64 vcc, exec, s[8:9]
	s_cbranch_vccz .LBB25_304
.LBB25_8:
	s_endpgm
.LBB25_9:
	v_and_b32_e32 v3, 0x3f0, v51
	s_movk_i32 s2, 0x110
	v_and_b32_e32 v5, 15, v0
	v_lshrrev_b32_e32 v7, 1, v0
	v_and_b32_e32 v46, 0x3ff, v0
	v_mad_u32_u24 v4, v3, s2, 0
	v_mul_u32_u24_e32 v6, 0x110, v5
	v_and_b32_e32 v7, 0x78, v7
	v_add3_u32 v87, v4, v6, v7
	v_bfe_u32 v4, v0, 5, 5
	v_lshlrev_b32_e32 v8, 1, v46
	v_lshl_add_u32 v89, v49, 1, v4
	v_and_b32_e32 v48, 62, v8
	v_mul_u32_u24_e32 v4, 0x90, v89
	v_lshlrev_b32_e32 v8, 1, v48
	v_lshlrev_b32_e32 v2, 2, v46
	v_add3_u32 v91, 0, v4, v8
	v_bfe_u32 v4, v0, 4, 6
	v_add_u32_e32 v4, v51, v4
	v_and_b32_e32 v50, 60, v2
	v_mul_u32_u24_e32 v8, 0x110, v4
	v_lshlrev_b32_e32 v9, 2, v50
	v_add3_u32 v93, 0, v8, v9
	v_and_b32_e32 v8, 48, v47
	v_mad_u32_u24 v9, v8, s2, 0
	v_add3_u32 v95, v9, v6, v7
	v_bfe_u32 v6, v0, 2, 8
	v_and_b32_e32 v10, 60, v6
	v_and_or_b32 v3, v0, 12, v3
	v_add_u16_e32 v8, v8, v10
	v_lshrrev_b32_e32 v3, 2, v3
	v_lshrrev_b16_e32 v8, 1, v8
	v_mul_u32_u24_e32 v3, 0x90, v3
	v_lshlrev_b32_e32 v8, 2, v8
	v_add3_u32 v97, 0, v3, v8
	v_mul_u32_u24_e32 v3, 0x110, v10
	v_or_b32_e32 v6, 3, v6
	v_lshlrev_b32_e32 v8, 1, v5
	v_bfe_u32 v142, v85, 2, 8
	v_mul_u32_u24_e32 v6, 0x110, v6
	v_add3_u32 v99, v9, v3, v8
	v_add_u32_e32 v3, 1, v142
	v_add3_u32 v103, v9, v6, v8
	v_lshlrev_b32_e32 v6, 2, v3
	v_and_b32_e32 v8, 15, v3
	s_movk_i32 s2, 0x1c0
	v_and_or_b32 v6, v6, s2, v8
	v_add_u32_e32 v8, 2, v142
	v_lshlrev_b32_e32 v9, 2, v8
	v_and_b32_e32 v10, 15, v8
	v_and_or_b32 v9, v9, s2, v10
	v_add_u32_e32 v10, 3, v142
	v_lshlrev_b32_e32 v11, 2, v10
	v_and_b32_e32 v12, 15, v10
	;; [unrolled: 4-line block ×5, first 2 shown]
	v_and_or_b32 v17, v17, s2, v18
	v_add_u32_e32 v18, 7, v142
	s_cmp_eq_u64 s[24:25], 0
	v_writelane_b32 v200, s44, 7
	v_lshlrev_b32_e32 v19, 2, v18
	v_and_b32_e32 v20, 15, v18
	s_cselect_b64 s[4:5], -1, 0
	v_and_or_b32 v19, v19, s2, v20
	v_add_u32_e32 v20, 8, v142
	v_writelane_b32 v200, s4, 8
	s_cmp_lg_u64 s[26:27], 0
	v_lshlrev_b32_e32 v21, 2, v20
	v_and_b32_e32 v22, 15, v20
	v_writelane_b32 v200, s5, 9
	s_cselect_b64 s[4:5], -1, 0
	v_and_or_b32 v21, v21, s2, v22
	v_add_u32_e32 v22, 9, v142
	v_writelane_b32 v200, s4, 10
	s_lshl_b32 s60, s33, 4
	v_lshlrev_b32_e32 v23, 2, v22
	v_and_b32_e32 v24, 15, v22
	v_writelane_b32 v200, s5, 11
	s_ashr_i32 s63, s62, 31
	s_ashr_i32 s39, s38, 31
	s_lshl_b32 s6, s38, 4
	s_ashr_i32 s15, s14, 31
	s_lshl_b32 s7, s14, 4
	s_lshl_b64 s[4:5], s[60:61], 3
	v_and_or_b32 v23, v23, s2, v24
	v_add_u32_e32 v24, 10, v142
	s_add_u32 s4, s30, s4
	v_lshlrev_b32_e32 v25, 2, v24
	v_and_b32_e32 v26, 15, v24
	s_addc_u32 s5, s31, s5
	s_abs_i32 s57, s90
	v_and_or_b32 v25, v25, s2, v26
	v_add_u32_e32 v26, 11, v142
	v_cvt_f32_u32_e32 v35, s57
	v_lshlrev_b32_e32 v27, 2, v26
	v_and_b32_e32 v28, 15, v26
	v_and_or_b32 v27, v27, s2, v28
	v_add_u32_e32 v28, 12, v142
	v_lshlrev_b32_e32 v29, 2, v28
	v_and_b32_e32 v30, 15, v28
	v_and_or_b32 v29, v29, s2, v30
	v_add_u32_e32 v30, 13, v142
	v_rcp_iflag_f32_e32 v35, v35
	s_abs_i32 s93, s89
	v_lshlrev_b32_e32 v31, 2, v30
	v_and_b32_e32 v32, 15, v30
	v_cvt_f32_u32_e32 v37, s93
	v_and_or_b32 v31, v31, s2, v32
	v_add_u32_e32 v32, 14, v142
	v_lshlrev_b32_e32 v33, 2, v32
	v_and_b32_e32 v34, 15, v32
	v_writelane_b32 v200, s33, 12
	v_and_or_b32 v33, v33, s2, v34
	v_add_u32_e32 v34, 15, v142
	v_mul_f32_e32 v35, 0x4f7ffffe, v35
	v_readlane_b32 s13, v200, 1
	v_lshlrev_b32_e32 v36, 2, v34
	v_and_b32_e32 v38, 15, v34
	v_rcp_iflag_f32_e32 v37, v37
	s_abs_i32 s94, s13
	v_cvt_u32_f32_e32 v35, v35
	v_add_u32_e32 v143, 0, v2
	v_add_u32_e32 v2, v47, v46
	v_and_or_b32 v36, v36, s2, v38
	v_cvt_f32_u32_e32 v38, s94
	s_mov_b32 s2, s12
	v_mul_u32_u24_e32 v144, 0x110, v2
	v_or_b32_e32 v2, v47, v5
	v_writelane_b32 v200, s2, 13
	s_abs_i32 s95, s12
	v_mul_u32_u24_e32 v146, 0x110, v2
	s_movk_i32 s12, 0xc0
	v_bfe_u32 v2, v49, 2, 4
	v_writelane_b32 v200, s3, 14
	v_and_or_b32 v2, v85, s12, v2
	s_ashr_i32 s12, s90, 31
	v_mul_f32_e32 v37, 0x4f7ffffe, v37
	v_readfirstlane_b32 s2, v35
	v_writelane_b32 v200, s12, 15
	s_sub_i32 s12, 0, s57
	v_cvt_f32_u32_e32 v39, s95
	v_rcp_iflag_f32_e32 v38, v38
	v_cvt_u32_f32_e32 v37, v37
	s_mul_i32 s12, s12, s2
	s_mul_hi_u32 s12, s2, s12
	s_add_i32 s2, s2, s12
	v_writelane_b32 v200, s2, 16
	s_ashr_i32 s2, s89, 31
	v_rcp_iflag_f32_e32 v39, v39
	v_mul_f32_e32 v38, 0x4f7ffffe, v38
	v_readfirstlane_b32 s8, v37
	v_writelane_b32 v200, s2, 17
	s_sub_i32 s2, 0, s93
	v_cvt_u32_f32_e32 v38, v38
	s_mul_i32 s2, s2, s8
	s_mul_hi_u32 s2, s8, s2
	s_add_i32 s2, s8, s2
	v_mul_f32_e32 v39, 0x4f7ffffe, v39
	v_writelane_b32 v200, s2, 18
	s_ashr_i32 s2, s13, 31
	v_cvt_u32_f32_e32 v39, v39
	v_readfirstlane_b32 s9, v38
	v_writelane_b32 v200, s2, 19
	s_sub_i32 s2, 0, s94
	s_mul_i32 s2, s2, s9
	s_mul_hi_u32 s2, s9, s2
	s_add_i32 s2, s9, s2
	v_readfirstlane_b32 s10, v39
	v_writelane_b32 v200, s2, 20
	s_sub_i32 s2, 0, s95
	s_mul_i32 s2, s2, s10
	s_mul_hi_u32 s2, s10, s2
	v_mul_lo_u32 v56, s38, v4
	v_mul_lo_u32 v64, s14, v4
	s_add_i32 s2, s10, s2
	v_add_u32_e32 v58, s6, v56
	v_add_u32_e32 v66, s7, v64
	v_writelane_b32 v200, s2, 21
	s_mov_b32 s2, s62
	v_or_b32_e32 v35, v51, v46
	v_add_u32_e32 v60, s6, v58
	v_add_u32_e32 v68, s7, v66
	v_writelane_b32 v200, s2, 22
	v_lshlrev_b32_e32 v52, 3, v35
	v_mov_b32_e32 v53, 0
	v_and_b32_e32 v35, 31, v0
	v_add_u32_e32 v62, s6, v60
	v_add_u32_e32 v70, s7, v68
	v_writelane_b32 v200, s3, 23
	s_lshl_b64 s[8:9], s[62:63], 1
	v_lshl_add_u64 v[54:55], s[4:5], 0, v[52:53]
	v_lshlrev_b32_e32 v52, 2, v35
	s_mov_b32 s11, 0x10001
	v_ashrrev_i32_e32 v57, 31, v56
	v_ashrrev_i32_e32 v59, 31, v58
	;; [unrolled: 1-line block ×8, first 2 shown]
	v_writelane_b32 v200, s8, 24
	v_cmp_gt_u32_e64 s[4:5], 4, v89
	v_cmp_gt_u32_e64 s[6:7], 16, v46
	v_add_u32_e32 v145, 0, v7
	v_mul_u32_u24_e32 v147, 0x110, v2
	v_mul_u32_u24_e32 v148, 0x110, v6
	v_mul_u32_u24_e32 v149, 0x110, v9
	v_mul_u32_u24_e32 v150, 0x110, v11
	v_lshrrev_b32_e32 v151, 2, v12
	v_mul_u32_u24_e32 v152, 0x110, v13
	v_mul_u32_u24_e32 v153, 0x110, v15
	v_mul_u32_u24_e32 v154, 0x110, v17
	v_mul_u32_u24_e32 v155, 0x110, v19
	v_lshrrev_b32_e32 v156, 2, v20
	;; [unrolled: 5-line block ×3, first 2 shown]
	v_mul_u32_u24_e32 v162, 0x110, v29
	v_mul_u32_u24_e32 v163, 0x110, v31
	;; [unrolled: 1-line block ×4, first 2 shown]
	v_writelane_b32 v200, s9, 25
	v_lshlrev_b32_e32 v72, 4, v5
	v_mov_b32_e32 v73, v53
	s_lshl_b64 s[68:69], s[14:15], 8
	s_lshl_b64 s[70:71], s[38:39], 8
	s_mov_b32 s45, 0x3f200000
	s_mov_b32 s67, 0x3fb8aa3b
	;; [unrolled: 1-line block ×4, first 2 shown]
	s_brev_b32 s2, -2
	s_mov_b32 s44, 0xc1a00000
	s_mov_b32 s62, 0x5040100
	v_mul_lo_u32 v166, v83, s11
	v_add_u32_e32 v167, 0x1100, v93
	v_add_u32_e32 v168, 0x2200, v93
	;; [unrolled: 1-line block ×3, first 2 shown]
	v_mul_u32_u24_e32 v170, 0x110, v49
	v_lshrrev_b32_e32 v171, 2, v81
	v_lshrrev_b32_e32 v172, 2, v79
	;; [unrolled: 1-line block ×3, first 2 shown]
	v_bfe_u32 v174, v85, 4, 6
	v_lshrrev_b32_e32 v175, 2, v3
	v_and_b32_e32 v74, 3, v3
	v_lshrrev_b32_e32 v176, 2, v8
	v_and_b32_e32 v76, 3, v8
	;; [unrolled: 2-line block ×12, first 2 shown]
	v_mov_b32_e32 v187, 0x3ca908c9
	v_mbcnt_hi_u32_b32 v188, -1, v77
	v_mov_b32_e32 v189, 0x7f800000
	v_and_b32_e32 v98, 3, v0
	v_mad_u64_u32 v[100:101], s[8:9], v75, s53, v[46:47]
	v_bfe_u32 v102, v49, 2, 2
	v_lshl_add_u64 v[104:105], s[22:23], 0, v[52:53]
	v_lshl_add_u64 v[106:107], v[64:65], 2, s[20:21]
	;; [unrolled: 1-line block ×9, first 2 shown]
                                        ; implicit-def: $vgpr2
                                        ; implicit-def: $vgpr2
	;; [unrolled: 1-line block ×3, first 2 shown]
	v_writelane_b32 v200, s53, 26
	s_branch .LBB25_12
.LBB25_10:                              ;   in Loop: Header=BB25_12 Depth=1
	s_or_b64 exec, exec, s[74:75]
	s_barrier
.LBB25_11:                              ;   in Loop: Header=BB25_12 Depth=1
	s_add_i32 s8, s54, s91
	s_abs_i32 s10, s8
	s_mul_hi_u32 s11, s10, s52
	s_mul_i32 s11, s11, s92
	s_sub_i32 s10, s10, s11
	s_ashr_i32 s9, s8, 31
	s_sub_i32 s11, s10, s92
	s_cmp_ge_u32 s10, s92
	s_cselect_b32 s10, s11, s10
	s_sub_i32 s11, s10, s92
	s_cmp_ge_u32 s10, s92
	s_cselect_b32 s10, s11, s10
	s_xor_b32 s10, s10, s9
	s_sub_i32 s9, s9, s10
	s_add_i32 s54, s8, s9
	s_sub_i32 s10, s58, s54
	s_min_i32 s98, s91, s10
	s_cmp_gt_i32 s58, s54
	s_cselect_b64 s[8:9], -1, 0
	s_cmp_le_i32 s91, s10
	s_cselect_b64 s[10:11], -1, 0
	s_and_b64 s[10:11], s[10:11], s[8:9]
	s_mov_b32 s82, 0
	s_and_b64 vcc, exec, s[10:11]
	s_cbranch_vccz .LBB25_303
.LBB25_12:                              ; =>This Loop Header: Depth=1
                                        ;     Child Loop BB25_180 Depth 2
                                        ;     Child Loop BB25_34 Depth 2
	s_ashr_i32 s8, s54, 31
	v_readlane_b32 s9, v200, 15
	s_xor_b32 s8, s8, s9
	s_abs_i32 s9, s54
	v_readlane_b32 s10, v200, 16
	s_mul_hi_u32 s10, s9, s10
	s_mul_i32 s11, s10, s57
	s_sub_i32 s9, s9, s11
	s_add_i32 s11, s10, 1
	s_sub_i32 s12, s9, s57
	s_cmp_ge_u32 s9, s57
	s_cselect_b32 s10, s11, s10
	s_cselect_b32 s9, s12, s9
	s_add_i32 s11, s10, 1
	s_cmp_ge_u32 s9, s57
	s_cselect_b32 s9, s11, s10
	s_xor_b32 s9, s9, s8
	s_sub_i32 s8, s9, s8
	s_mul_i32 s9, s8, s90
	s_sub_i32 s10, s54, s9
	s_ashr_i32 s9, s10, 31
	v_readlane_b32 s11, v200, 17
	s_xor_b32 s9, s9, s11
	s_abs_i32 s11, s10
	v_readlane_b32 s12, v200, 18
	s_mul_hi_u32 s12, s11, s12
	s_mul_i32 s13, s12, s93
	s_sub_i32 s11, s11, s13
	s_add_i32 s13, s12, 1
	s_sub_i32 s42, s11, s93
	s_cmp_ge_u32 s11, s93
	s_cselect_b32 s12, s13, s12
	s_cselect_b32 s11, s42, s11
	s_add_i32 s13, s12, 1
	s_cmp_ge_u32 s11, s93
	s_cselect_b32 s11, s13, s12
	s_xor_b32 s11, s11, s9
	s_sub_i32 s9, s11, s9
	s_mul_i32 s11, s9, s89
	s_sub_i32 s11, s10, s11
	s_ashr_i32 s10, s11, 31
	v_readlane_b32 s12, v200, 19
	s_xor_b32 s10, s10, s12
	s_abs_i32 s12, s11
	v_readlane_b32 s13, v200, 20
	s_mul_hi_u32 s13, s12, s13
	s_mul_i32 s42, s13, s94
	s_sub_i32 s12, s12, s42
	s_add_i32 s42, s13, 1
	s_sub_i32 s53, s12, s94
	s_cmp_ge_u32 s12, s94
	s_cselect_b32 s13, s42, s13
	s_cselect_b32 s12, s53, s12
	s_add_i32 s42, s13, 1
	s_cmp_ge_u32 s12, s94
	s_cselect_b32 s12, s42, s13
	s_xor_b32 s12, s12, s10
	s_sub_i32 s10, s12, s10
	v_readlane_b32 s12, v200, 1
	s_mul_i32 s12, s10, s12
	s_sub_i32 s11, s11, s12
	s_ashr_i32 s12, s11, 31
	v_readlane_b32 s13, v200, 4
	s_abs_i32 s11, s11
	s_xor_b32 s12, s12, s13
	s_mul_hi_u32 s13, s11, s52
	s_mul_i32 s42, s13, s92
	s_sub_i32 s11, s11, s42
	s_add_i32 s42, s13, 1
	s_sub_i32 s53, s11, s92
	s_cmp_ge_u32 s11, s92
	s_cselect_b32 s13, s42, s13
	s_cselect_b32 s11, s53, s11
	s_add_i32 s42, s13, 1
	s_cmp_ge_u32 s11, s92
	s_cselect_b32 s11, s42, s13
	v_readlane_b32 s64, v200, 10
	s_xor_b32 s11, s11, s12
	v_readlane_b32 s65, v200, 11
	s_andn2_b64 vcc, exec, s[64:65]
	s_sub_i32 s11, s11, s12
	s_cbranch_vccnz .LBB25_14
; %bb.13:                               ;   in Loop: Header=BB25_12 Depth=1
	v_readlane_b32 s12, v200, 0
	s_mul_i32 s12, s8, s12
	s_add_i32 s12, s11, s12
	s_ashr_i32 s13, s12, 31
	s_lshl_b64 s[12:13], s[12:13], 2
	s_add_u32 s12, s26, s12
	s_addc_u32 s13, s27, s13
	global_load_dword v2, v53, s[12:13]
	s_waitcnt vmcnt(0)
	v_readfirstlane_b32 s12, v2
	s_ashr_i32 s13, s12, 31
	s_lshr_b32 s13, s13, 26
	s_add_i32 s12, s12, s13
	s_ashr_i32 s12, s12, 6
	s_min_i32 s98, s98, s12
.LBB25_14:                              ;   in Loop: Header=BB25_12 Depth=1
	s_mul_i32 s12, s9, s86
	s_lshl_b32 s63, s10, 2
	s_mul_i32 s10, s8, s47
	s_add_i32 s12, s63, s12
	s_ashr_i32 s13, s10, 31
	s_add_u32 s10, s16, s10
	s_mul_i32 s42, s12, s46
	s_addc_u32 s13, s17, s13
	s_ashr_i32 s53, s42, 31
	s_add_u32 s80, s10, s42
	s_addc_u32 s81, s13, s53
	s_ashr_i32 s10, s8, 31
	s_mul_hi_u32 s13, s40, s8
	s_mul_i32 s42, s40, s10
	s_add_i32 s13, s13, s42
	s_mul_i32 s42, s41, s8
	v_readlane_b32 s64, v200, 2
	s_add_i32 s99, s13, s42
	s_mul_i32 s59, s40, s8
	v_readlane_b32 s65, v200, 3
	s_add_u32 s13, s18, s59
	s_mul_i32 s56, s9, s65
	s_addc_u32 s42, s19, s99
	s_ashr_i32 s66, s56, 31
	s_add_u32 s96, s13, s56
	s_addc_u32 s97, s42, s66
	s_abs_i32 s13, s8
	v_readlane_b32 s42, v200, 21
	s_mul_hi_u32 s42, s13, s42
	s_mul_i32 s42, s42, s95
	s_sub_i32 s13, s13, s42
	s_sub_i32 s42, s13, s95
	s_cmp_ge_u32 s13, s95
	s_cselect_b32 s13, s42, s13
	s_sub_i32 s42, s13, s95
	s_cmp_ge_u32 s13, s95
	s_cselect_b32 s13, s42, s13
	s_xor_b32 s13, s13, s10
	s_sub_i32 s13, s13, s10
	s_ashr_i32 s42, s13, 31
	s_mul_i32 s42, s50, s42
	s_mul_hi_u32 s53, s50, s13
	s_add_i32 s42, s53, s42
	s_mul_i32 s53, s51, s13
	s_add_i32 s79, s42, s53
	s_mul_i32 s78, s50, s13
	s_mul_i32 s13, s36, s37
	s_add_u32 s76, s22, s78
	s_mul_i32 s13, s13, s8
	s_addc_u32 s77, s23, s79
	s_add_i32 s13, s12, s13
	s_lshl_b32 s60, s13, 6
	s_lshl_b64 s[64:65], s[60:61], 3
	s_add_u32 s72, s28, s64
	s_mul_hi_u32 s13, s48, s8
	s_mul_i32 s10, s48, s10
	s_addc_u32 s73, s29, s65
	s_add_i32 s10, s13, s10
	s_mul_i32 s13, s49, s8
	s_add_i32 s60, s10, s13
	s_mul_i32 s42, s48, s8
	s_add_u32 s8, s20, s42
	s_mul_i32 s53, s9, s43
	s_addc_u32 s13, s21, s60
	s_ashr_i32 s10, s53, 31
	s_add_u32 s64, s8, s53
	s_addc_u32 s65, s13, s10
	s_ashr_i32 s13, s12, 31
	s_lshl_b64 s[8:9], s[12:13], 2
	s_add_u32 s12, s24, s8
	s_addc_u32 s13, s25, s9
	v_readlane_b32 s8, v200, 8
	v_readlane_b32 s9, v200, 9
	s_and_b64 s[8:9], s[8:9], exec
	s_cselect_b32 s75, 0, s13
	s_cselect_b32 s74, 0, s12
	s_cmp_lg_u32 s82, 0
	v_or_b32_e32 v101, s63, v75
	s_cbranch_scc0 .LBB25_52
; %bb.15:                               ;   in Loop: Header=BB25_12 Depth=1
	s_lshl_b32 s88, s11, 2
	v_add_u32_e32 v2, s88, v142
	v_cmp_le_i32_e64 s[8:9], s36, v2
	v_cmp_le_i32_e64 s[12:13], s86, v101
	v_cmp_gt_i32_e32 vcc, s86, v101
	s_or_b64 s[8:9], s[8:9], s[12:13]
	s_and_saveexec_b64 s[12:13], s[8:9]
	s_xor_b64 s[8:9], exec, s[12:13]
; %bb.16:                               ;   in Loop: Header=BB25_12 Depth=1
	v_add_u32_e32 v2, v143, v170
	ds_write_b32 v2, v53
                                        ; implicit-def: $vgpr2
; %bb.17:                               ;   in Loop: Header=BB25_12 Depth=1
	s_andn2_saveexec_b64 s[8:9], s[8:9]
	s_cbranch_execz .LBB25_19
; %bb.18:                               ;   in Loop: Header=BB25_12 Depth=1
	v_mad_u64_u32 v[2:3], s[12:13], v2, s55, v[100:101]
	v_ashrrev_i32_e32 v3, 31, v2
	v_lshl_add_u64 v[2:3], v[2:3], 3, s[80:81]
	global_load_dwordx2 v[2:3], v[2:3], off
	s_waitcnt vmcnt(0)
	v_cvt_pk_f16_f32 v2, v2, v3
	v_pk_mul_f16 v2, v2, v166
	v_add_u32_e32 v3, v143, v170
	ds_write_b32 v3, v2
.LBB25_19:                              ;   in Loop: Header=BB25_12 Depth=1
	s_or_b64 exec, exec, s[8:9]
	v_add_u32_e32 v2, s88, v171
	v_cmp_le_i32_e64 s[8:9], s36, v2
	s_xor_b64 s[12:13], vcc, -1
	s_or_b64 s[8:9], s[8:9], s[12:13]
	s_and_saveexec_b64 s[84:85], s[8:9]
	s_xor_b64 s[8:9], exec, s[84:85]
; %bb.20:                               ;   in Loop: Header=BB25_12 Depth=1
	v_add_u32_e32 v2, v143, v170
	ds_write_b32 v2, v53 offset:1088
                                        ; implicit-def: $vgpr2
; %bb.21:                               ;   in Loop: Header=BB25_12 Depth=1
	s_andn2_saveexec_b64 s[8:9], s[8:9]
	s_cbranch_execz .LBB25_23
; %bb.22:                               ;   in Loop: Header=BB25_12 Depth=1
	v_mad_u64_u32 v[2:3], s[84:85], v2, s55, v[100:101]
	v_ashrrev_i32_e32 v3, 31, v2
	v_lshl_add_u64 v[2:3], v[2:3], 3, s[80:81]
	global_load_dwordx2 v[2:3], v[2:3], off
	s_waitcnt vmcnt(0)
	v_cvt_pk_f16_f32 v2, v2, v3
	v_pk_mul_f16 v2, v2, v166
	v_add_u32_e32 v3, v143, v170
	ds_write_b32 v3, v2 offset:1088
.LBB25_23:                              ;   in Loop: Header=BB25_12 Depth=1
	s_or_b64 exec, exec, s[8:9]
	v_add_u32_e32 v2, s88, v172
	v_cmp_le_i32_e32 vcc, s36, v2
	s_or_b64 s[8:9], vcc, s[12:13]
	s_and_saveexec_b64 s[84:85], s[8:9]
	s_xor_b64 s[8:9], exec, s[84:85]
; %bb.24:                               ;   in Loop: Header=BB25_12 Depth=1
	v_add_u32_e32 v2, v143, v170
	ds_write_b32 v2, v53 offset:2176
                                        ; implicit-def: $vgpr2
; %bb.25:                               ;   in Loop: Header=BB25_12 Depth=1
	s_andn2_saveexec_b64 s[8:9], s[8:9]
	s_cbranch_execz .LBB25_27
; %bb.26:                               ;   in Loop: Header=BB25_12 Depth=1
	v_mad_u64_u32 v[2:3], s[84:85], v2, s55, v[100:101]
	v_ashrrev_i32_e32 v3, 31, v2
	v_lshl_add_u64 v[2:3], v[2:3], 3, s[80:81]
	global_load_dwordx2 v[2:3], v[2:3], off
	s_waitcnt vmcnt(0)
	v_cvt_pk_f16_f32 v2, v2, v3
	v_pk_mul_f16 v2, v2, v166
	v_add_u32_e32 v3, v143, v170
	ds_write_b32 v3, v2 offset:2176
.LBB25_27:                              ;   in Loop: Header=BB25_12 Depth=1
	s_or_b64 exec, exec, s[8:9]
	v_add_u32_e32 v2, s88, v173
	v_cmp_le_i32_e32 vcc, s36, v2
	s_or_b64 s[8:9], vcc, s[12:13]
	s_and_saveexec_b64 s[12:13], s[8:9]
	s_xor_b64 s[8:9], exec, s[12:13]
; %bb.28:                               ;   in Loop: Header=BB25_12 Depth=1
	v_add_u32_e32 v2, v143, v170
	ds_write_b32 v2, v53 offset:3264
                                        ; implicit-def: $vgpr2
; %bb.29:                               ;   in Loop: Header=BB25_12 Depth=1
	s_andn2_saveexec_b64 s[8:9], s[8:9]
	s_cbranch_execz .LBB25_31
; %bb.30:                               ;   in Loop: Header=BB25_12 Depth=1
	v_mad_u64_u32 v[2:3], s[12:13], v2, s55, v[100:101]
	v_ashrrev_i32_e32 v3, 31, v2
	v_lshl_add_u64 v[2:3], v[2:3], 3, s[80:81]
	global_load_dwordx2 v[2:3], v[2:3], off
	s_waitcnt vmcnt(0)
	v_cvt_pk_f16_f32 v2, v2, v3
	v_pk_mul_f16 v2, v2, v166
	v_add_u32_e32 v3, v143, v170
	ds_write_b32 v3, v2 offset:3264
.LBB25_31:                              ;   in Loop: Header=BB25_12 Depth=1
	s_or_b64 exec, exec, s[8:9]
	s_waitcnt lgkmcnt(0)
	s_barrier
	ds_read2_b64 v[14:17], v87 offset1:4
	ds_read2_b64 v[10:13], v87 offset0:8 offset1:12
	ds_read2_b64 v[6:9], v87 offset0:16 offset1:20
	;; [unrolled: 1-line block ×3, first 2 shown]
	s_add_i32 s83, s98, -1
	s_cmp_ge_i32 s82, s83
	s_waitcnt lgkmcnt(0)
	s_barrier
	s_cbranch_scc1 .LBB25_53
; %bb.32:                               ;   in Loop: Header=BB25_12 Depth=1
	v_add_u32_e32 v18, s88, v89
	v_mul_hi_u32 v19, s34, v18
	v_add_u32_e32 v19, v18, v19
	v_lshrrev_b32_e32 v19, s35, v19
	v_mul_lo_u32 v19, v19, s36
	v_readlane_b32 s8, v200, 22
	v_sub_u32_e32 v18, v18, v19
	v_readlane_b32 s9, v200, 23
	v_mad_i64_i32 v[18:19], s[8:9], v18, s8, 0
	v_lshl_add_u64 v[18:19], v[18:19], 1, s[76:77]
	v_lshlrev_b32_e32 v52, 1, v48
	v_lshl_add_u64 v[122:123], v[18:19], 0, v[52:53]
	v_and_b32_e32 v18, 64, v188
	v_add_u32_e32 v18, 64, v18
	v_xor_b32_e32 v19, 32, v188
	v_cmp_lt_i32_e32 vcc, v19, v18
	s_lshl_b32 s8, s82, 6
	v_mov_b32_e32 v124, 0
	v_cndmask_b32_e32 v19, v188, v19, vcc
	v_lshlrev_b32_e32 v128, 2, v19
	v_xor_b32_e32 v19, 16, v188
	v_cmp_lt_i32_e32 vcc, v19, v18
	v_mov_b32_e32 v23, 0xfeffffff
	v_mov_b32_e32 v22, 0
	v_cndmask_b32_e32 v18, v188, v19, vcc
	v_lshlrev_b32_e32 v129, 2, v18
	v_mov_b32_e32 v125, 0
	v_mov_b32_e32 v43, 0
	;; [unrolled: 1-line block ×15, first 2 shown]
	s_ashr_i32 s9, s8, 31
	s_and_saveexec_b64 s[12:13], s[4:5]
	s_cbranch_execz .LBB25_34
.LBB25_33:                              ;   in Loop: Header=BB25_12 Depth=1
	v_lshl_add_u64 v[18:19], s[8:9], 1, v[122:123]
	global_load_dword v18, v[18:19], off
	s_waitcnt vmcnt(0)
	ds_write_b32 v91, v18 offset:17408
.LBB25_34:                              ;   Parent Loop BB25_12 Depth=1
                                        ; =>  This Inner Loop Header: Depth=2
	s_or_b64 exec, exec, s[12:13]
	s_mul_hi_i32 s13, s8, s38
	s_mul_i32 s12, s8, s38
	s_lshl_b64 s[12:13], s[12:13], 2
	s_add_u32 s12, s96, s12
	s_addc_u32 s13, s97, s13
	v_lshlrev_b32_e32 v52, 2, v50
	v_lshl_add_u64 v[20:21], v[58:59], 2, s[12:13]
	v_lshl_add_u64 v[18:19], v[56:57], 2, s[12:13]
	;; [unrolled: 1-line block ×8, first 2 shown]
	global_load_dwordx4 v[18:21], v[18:19], off
	s_waitcnt vmcnt(0)
	ds_write_b128 v93, v[18:21]
	global_load_dwordx4 v[18:21], v[32:33], off
                                        ; implicit-def: $vgpr32
	s_waitcnt vmcnt(0)
	ds_write_b128 v167, v[18:21]
	global_load_dwordx4 v[18:21], v[36:37], off
	s_waitcnt vmcnt(0)
	ds_write_b128 v168, v[18:21]
	global_load_dwordx4 v[18:21], v[40:41], off
	s_waitcnt vmcnt(0)
	ds_write_b128 v169, v[18:21]
	s_waitcnt lgkmcnt(0)
	s_barrier
	ds_read2_b64 v[18:21], v95 offset1:4
	s_waitcnt lgkmcnt(0)
	v_mfma_f32_16x16x16_f16 v[130:133], v[18:19], v[14:15], 0
	v_mfma_f32_16x16x16_f16 v[18:21], v[20:21], v[16:17], v[130:133]
	s_nop 6
	ds_read2_b64 v[130:133], v95 offset0:8 offset1:12
	s_waitcnt lgkmcnt(0)
	v_mfma_f32_16x16x16_f16 v[18:21], v[130:131], v[10:11], v[18:21]
	v_mfma_f32_16x16x16_f16 v[18:21], v[132:133], v[12:13], v[18:21]
	ds_read2_b64 v[130:133], v95 offset0:16 offset1:20
	s_waitcnt lgkmcnt(0)
	v_mfma_f32_16x16x16_f16 v[18:21], v[130:131], v[6:7], v[18:21]
	v_mfma_f32_16x16x16_f16 v[18:21], v[132:133], v[8:9], v[18:21]
	ds_read2_b64 v[130:133], v95 offset0:24 offset1:28
	s_waitcnt lgkmcnt(0)
	s_barrier
	v_mfma_f32_16x16x16_f16 v[18:21], v[130:131], v[2:3], v[18:21]
	v_mfma_f32_16x16x16_f16 v[18:21], v[132:133], v[4:5], v[18:21]
	s_nop 7
	v_cmp_nlt_f32_e64 s[12:13], |v18|, s45
	s_and_saveexec_b64 s[84:85], s[12:13]
	s_xor_b64 s[12:13], exec, s[84:85]
	s_cbranch_execz .LBB25_36
; %bb.35:                               ;   in Loop: Header=BB25_34 Depth=2
	v_add_f32_e64 v32, |v18|, |v18|
	v_mul_f32_e32 v33, 0x3fb8aa3b, v32
	v_rndne_f32_e32 v36, v33
	v_sub_f32_e32 v37, v33, v36
	v_fma_f32 v33, v32, s67, -v33
	v_fmac_f32_e32 v33, 0x32a5705f, v32
	v_add_f32_e32 v33, v37, v33
	v_cvt_i32_f32_e32 v36, v36
	v_exp_f32_e32 v33, v33
	v_cmp_ngt_f32_e32 vcc, s33, v32
	v_ldexp_f32 v33, v33, v36
	s_nop 0
	v_cndmask_b32_e32 v33, 0, v33, vcc
	v_cmp_nlt_f32_e32 vcc, s87, v32
	s_nop 1
	v_cndmask_b32_e32 v32, v189, v33, vcc
	v_add_f32_e32 v32, 1.0, v32
	v_rcp_f32_e32 v32, v32
	s_nop 0
	v_fma_f32 v32, v32, -2.0, 1.0
.LBB25_36:                              ;   in Loop: Header=BB25_34 Depth=2
	s_andn2_saveexec_b64 s[12:13], s[12:13]
; %bb.37:                               ;   in Loop: Header=BB25_34 Depth=2
	v_mul_f32_e32 v32, v18, v18
	v_fmamk_f32 v33, v32, 0xbbbac73d, v187
	v_fmaak_f32 v33, v32, v33, 0xbd5c1c4e
	v_fmaak_f32 v33, v32, v33, 0x3e088382
	;; [unrolled: 1-line block ×3, first 2 shown]
	v_mul_f32_e64 v33, |v18|, v33
	v_fma_f32 v32, v32, v33, |v18|
; %bb.38:                               ;   in Loop: Header=BB25_34 Depth=2
	s_or_b64 exec, exec, s[12:13]
	v_cmp_nlt_f32_e64 s[12:13], |v19|, s45
                                        ; implicit-def: $vgpr33
	s_and_saveexec_b64 s[84:85], s[12:13]
	s_xor_b64 s[12:13], exec, s[84:85]
	s_cbranch_execz .LBB25_40
; %bb.39:                               ;   in Loop: Header=BB25_34 Depth=2
	v_add_f32_e64 v33, |v19|, |v19|
	v_mul_f32_e32 v36, 0x3fb8aa3b, v33
	v_rndne_f32_e32 v37, v36
	v_sub_f32_e32 v40, v36, v37
	v_fma_f32 v36, v33, s67, -v36
	v_fmac_f32_e32 v36, 0x32a5705f, v33
	v_add_f32_e32 v36, v40, v36
	v_cvt_i32_f32_e32 v37, v37
	v_exp_f32_e32 v36, v36
	v_cmp_ngt_f32_e32 vcc, s33, v33
	v_ldexp_f32 v36, v36, v37
	s_nop 0
	v_cndmask_b32_e32 v36, 0, v36, vcc
	v_cmp_nlt_f32_e32 vcc, s87, v33
	s_nop 1
	v_cndmask_b32_e32 v33, v189, v36, vcc
	v_add_f32_e32 v33, 1.0, v33
	v_rcp_f32_e32 v33, v33
	s_nop 0
	v_fma_f32 v33, v33, -2.0, 1.0
.LBB25_40:                              ;   in Loop: Header=BB25_34 Depth=2
	s_andn2_saveexec_b64 s[12:13], s[12:13]
; %bb.41:                               ;   in Loop: Header=BB25_34 Depth=2
	v_mul_f32_e32 v33, v19, v19
	v_fmamk_f32 v36, v33, 0xbbbac73d, v187
	v_fmaak_f32 v36, v33, v36, 0xbd5c1c4e
	v_fmaak_f32 v36, v33, v36, 0x3e088382
	;; [unrolled: 1-line block ×3, first 2 shown]
	v_mul_f32_e64 v36, |v19|, v36
	v_fma_f32 v33, v33, v36, |v19|
; %bb.42:                               ;   in Loop: Header=BB25_34 Depth=2
	s_or_b64 exec, exec, s[12:13]
	v_cmp_nlt_f32_e64 s[12:13], |v20|, s45
                                        ; implicit-def: $vgpr36
	s_and_saveexec_b64 s[84:85], s[12:13]
	s_xor_b64 s[12:13], exec, s[84:85]
	s_cbranch_execz .LBB25_44
; %bb.43:                               ;   in Loop: Header=BB25_34 Depth=2
	v_add_f32_e64 v36, |v20|, |v20|
	v_mul_f32_e32 v37, 0x3fb8aa3b, v36
	v_rndne_f32_e32 v40, v37
	v_sub_f32_e32 v41, v37, v40
	v_fma_f32 v37, v36, s67, -v37
	v_fmac_f32_e32 v37, 0x32a5705f, v36
	v_add_f32_e32 v37, v41, v37
	v_cvt_i32_f32_e32 v40, v40
	v_exp_f32_e32 v37, v37
	v_cmp_ngt_f32_e32 vcc, s33, v36
	v_ldexp_f32 v37, v37, v40
	s_nop 0
	v_cndmask_b32_e32 v37, 0, v37, vcc
	v_cmp_nlt_f32_e32 vcc, s87, v36
	s_nop 1
	v_cndmask_b32_e32 v36, v189, v37, vcc
	v_add_f32_e32 v36, 1.0, v36
	v_rcp_f32_e32 v36, v36
	s_nop 0
	v_fma_f32 v36, v36, -2.0, 1.0
.LBB25_44:                              ;   in Loop: Header=BB25_34 Depth=2
	s_andn2_saveexec_b64 s[12:13], s[12:13]
; %bb.45:                               ;   in Loop: Header=BB25_34 Depth=2
	v_mul_f32_e32 v36, v20, v20
	v_fmamk_f32 v37, v36, 0xbbbac73d, v187
	v_fmaak_f32 v37, v36, v37, 0xbd5c1c4e
	v_fmaak_f32 v37, v36, v37, 0x3e088382
	;; [unrolled: 1-line block ×3, first 2 shown]
	v_mul_f32_e64 v37, |v20|, v37
	v_fma_f32 v36, v36, v37, |v20|
; %bb.46:                               ;   in Loop: Header=BB25_34 Depth=2
	s_or_b64 exec, exec, s[12:13]
	v_cmp_nlt_f32_e64 s[12:13], |v21|, s45
                                        ; implicit-def: $vgpr37
	s_and_saveexec_b64 s[84:85], s[12:13]
	s_xor_b64 s[12:13], exec, s[84:85]
	s_cbranch_execz .LBB25_48
; %bb.47:                               ;   in Loop: Header=BB25_34 Depth=2
	v_add_f32_e64 v37, |v21|, |v21|
	v_mul_f32_e32 v40, 0x3fb8aa3b, v37
	v_rndne_f32_e32 v41, v40
	v_sub_f32_e32 v44, v40, v41
	v_fma_f32 v40, v37, s67, -v40
	v_fmac_f32_e32 v40, 0x32a5705f, v37
	v_add_f32_e32 v40, v44, v40
	v_cvt_i32_f32_e32 v41, v41
	v_exp_f32_e32 v40, v40
	v_cmp_ngt_f32_e32 vcc, s33, v37
	v_ldexp_f32 v40, v40, v41
	s_nop 0
	v_cndmask_b32_e32 v40, 0, v40, vcc
	v_cmp_nlt_f32_e32 vcc, s87, v37
	s_nop 1
	v_cndmask_b32_e32 v37, v189, v40, vcc
	v_add_f32_e32 v37, 1.0, v37
	v_rcp_f32_e32 v37, v37
	s_nop 0
	v_fma_f32 v37, v37, -2.0, 1.0
.LBB25_48:                              ;   in Loop: Header=BB25_34 Depth=2
	s_andn2_saveexec_b64 s[12:13], s[12:13]
; %bb.49:                               ;   in Loop: Header=BB25_34 Depth=2
	v_mul_f32_e32 v37, v21, v21
	v_fmamk_f32 v40, v37, 0xbbbac73d, v187
	v_fmaak_f32 v40, v37, v40, 0xbd5c1c4e
	v_fmaak_f32 v40, v37, v40, 0x3e088382
	;; [unrolled: 1-line block ×3, first 2 shown]
	v_mul_f32_e64 v40, |v21|, v40
	v_fma_f32 v37, v37, v40, |v21|
; %bb.50:                               ;   in Loop: Header=BB25_34 Depth=2
	s_or_b64 exec, exec, s[12:13]
	v_bfi_b32 v32, s2, v32, v18
	v_add_u32_e32 v18, 0x4400, v97
	v_bfi_b32 v33, s2, v33, v19
	ds_read2_b32 v[18:19], v18 offset1:1
	v_bfi_b32 v20, s2, v36, v20
	v_bfi_b32 v21, s2, v37, v21
	s_mul_hi_i32 s13, s8, s14
	s_mul_i32 s12, s8, s14
	s_waitcnt lgkmcnt(0)
	v_fma_mix_f32 v32, s3, v32, v18 op_sel_hi:[0,0,1]
	v_fma_mix_f32 v18, s3, v33, v18 op_sel:[0,0,1] op_sel_hi:[0,0,1]
	v_fma_mix_f32 v20, s3, v20, v19 op_sel_hi:[0,0,1]
	v_fma_mix_f32 v19, s3, v21, v19 op_sel:[0,0,1] op_sel_hi:[0,0,1]
	v_add_f32_e32 v21, 0x40051340, v32
	v_add_f32_e32 v33, 0x40051340, v18
	v_max3_f32 v21, v23, v21, v33
	v_add_f32_e32 v33, 0x40051340, v20
	v_add_f32_e32 v36, 0x40051340, v19
	v_max3_f32 v21, v21, v33, v36
	ds_bpermute_b32 v33, v128, v21
	s_lshl_b64 s[12:13], s[12:13], 2
	s_add_u32 s12, s64, s12
	s_addc_u32 s13, s65, s13
	s_add_i32 s82, s82, 1
	s_waitcnt lgkmcnt(0)
	v_max_f32_e32 v33, v33, v33
	v_max_f32_e32 v21, v21, v33
	ds_bpermute_b32 v33, v129, v21
	s_add_i32 s8, s8, 64
	s_cmp_lt_i32 s82, s83
	s_waitcnt lgkmcnt(0)
	v_max_f32_e32 v33, v33, v33
	v_max_f32_e32 v126, v21, v33
	v_sub_f32_e32 v21, v32, v126
	v_mul_f32_e32 v32, 0x3fb8aa3b, v21
	v_fma_f32 v33, v21, s67, -v32
	v_rndne_f32_e32 v36, v32
	v_fmac_f32_e32 v33, 0x32a5705f, v21
	v_sub_f32_e32 v32, v32, v36
	v_add_f32_e32 v32, v32, v33
	v_exp_f32_e32 v32, v32
	v_cvt_i32_f32_e32 v33, v36
	v_cmp_ngt_f32_e32 vcc, s33, v21
	v_sub_f32_e32 v18, v18, v126
	v_sub_f32_e32 v20, v20, v126
	v_ldexp_f32 v32, v32, v33
	v_cndmask_b32_e32 v32, 0, v32, vcc
	v_cmp_nlt_f32_e32 vcc, s87, v21
	v_mul_f32_e32 v21, 0x3fb8aa3b, v18
	v_fma_f32 v33, v18, s67, -v21
	v_rndne_f32_e32 v36, v21
	v_fmac_f32_e32 v33, 0x32a5705f, v18
	v_sub_f32_e32 v21, v21, v36
	v_add_f32_e32 v21, v21, v33
	v_exp_f32_e32 v21, v21
	v_cvt_i32_f32_e32 v33, v36
	v_cndmask_b32_e32 v32, v189, v32, vcc
	v_cmp_ngt_f32_e32 vcc, s33, v18
	v_sub_f32_e32 v19, v19, v126
	v_ldexp_f32 v21, v21, v33
	v_cndmask_b32_e32 v21, 0, v21, vcc
	v_cmp_nlt_f32_e32 vcc, s87, v18
	s_nop 1
	v_cndmask_b32_e32 v33, v189, v21, vcc
	v_mul_f32_e32 v21, 0x3fb8aa3b, v20
	v_fma_f32 v36, v20, s67, -v21
	v_rndne_f32_e32 v37, v21
	v_fmac_f32_e32 v36, 0x32a5705f, v20
	v_sub_f32_e32 v21, v21, v37
	v_add_f32_e32 v21, v21, v36
	v_exp_f32_e32 v21, v21
	v_cvt_i32_f32_e32 v36, v37
	v_cmp_ngt_f32_e32 vcc, s33, v20
	v_add_f32_e32 v18, v32, v33
	v_ldexp_f32 v21, v21, v36
	v_cndmask_b32_e32 v21, 0, v21, vcc
	v_cmp_nlt_f32_e32 vcc, s87, v20
	v_mul_f32_e32 v20, 0x3fb8aa3b, v19
	v_rndne_f32_e32 v37, v20
	v_cndmask_b32_e32 v36, v189, v21, vcc
	v_fma_f32 v21, v19, s67, -v20
	v_fmac_f32_e32 v21, 0x32a5705f, v19
	v_sub_f32_e32 v20, v20, v37
	v_add_f32_e32 v20, v20, v21
	v_exp_f32_e32 v20, v20
	v_cvt_i32_f32_e32 v21, v37
	v_cmp_ngt_f32_e32 vcc, s33, v19
	v_add_f32_e32 v18, v36, v18
	v_ldexp_f32 v20, v20, v21
	v_cndmask_b32_e32 v20, 0, v20, vcc
	v_cmp_nlt_f32_e32 vcc, s87, v19
	s_nop 1
	v_cndmask_b32_e32 v37, v189, v20, vcc
	v_add_f32_e32 v127, v37, v18
	v_sub_f32_e32 v18, v23, v126
	v_mul_f32_e32 v19, 0x3fb8aa3b, v18
	v_fma_f32 v20, v18, s67, -v19
	v_rndne_f32_e32 v21, v19
	v_fmac_f32_e32 v20, 0x32a5705f, v18
	v_sub_f32_e32 v19, v19, v21
	v_add_f32_e32 v19, v19, v20
	v_exp_f32_e32 v19, v19
	v_cvt_i32_f32_e32 v20, v21
	v_cmp_ngt_f32_e32 vcc, s33, v18
	v_ldexp_f32 v19, v19, v20
	s_nop 0
	v_cndmask_b32_e32 v19, 0, v19, vcc
	v_cmp_nlt_f32_e32 vcc, s87, v18
	v_lshl_add_u64 v[20:21], v[66:67], 2, s[12:13]
	v_lshl_add_u64 v[40:41], v[20:21], 0, v[52:53]
	v_cndmask_b32_e32 v19, v189, v19, vcc
	v_cmp_le_f32_e32 vcc, s44, v18
	v_lshl_add_u64 v[20:21], v[68:69], 2, s[12:13]
	v_lshl_add_u64 v[44:45], v[20:21], 0, v[52:53]
	v_cndmask_b32_e32 v18, 0, v19, vcc
	v_fmac_f32_e32 v127, v22, v18
	v_cvt_f16_f32_e32 v18, v18
	v_lshl_add_u64 v[20:21], v[70:71], 2, s[12:13]
	v_mul_u32_u24_e32 v18, 0x10001, v18
	v_pk_mul_f16 v29, v29, v18
	v_pk_mul_f16 v25, v25, v18
	;; [unrolled: 1-line block ×16, first 2 shown]
	v_lshl_add_u64 v[18:19], v[64:65], 2, s[12:13]
	v_lshl_add_u64 v[18:19], v[18:19], 0, v[52:53]
	;; [unrolled: 1-line block ×3, first 2 shown]
	global_load_dwordx4 v[18:21], v[18:19], off
	v_cvt_f32_f16_e32 v132, v23
	v_cvt_f32_f16_sdwa v133, v23 dst_sel:DWORD dst_unused:UNUSED_PAD src0_sel:WORD_1
	v_cvt_f32_f16_e32 v134, v22
	v_cvt_f32_f16_sdwa v135, v22 dst_sel:DWORD dst_unused:UNUSED_PAD src0_sel:WORD_1
	s_waitcnt vmcnt(0)
	ds_write_b128 v93, v[18:21]
	global_load_dwordx4 v[18:21], v[40:41], off
	s_waitcnt vmcnt(0)
	ds_write_b128 v167, v[18:21]
	global_load_dwordx4 v[18:21], v[44:45], off
	s_waitcnt vmcnt(0)
	ds_write_b128 v168, v[18:21]
	global_load_dwordx4 v[18:21], v[124:125], off
	v_cvt_pk_f16_f32 v124, v32, v33
	v_cvt_pk_f16_f32 v125, v36, v37
	s_waitcnt vmcnt(0)
	ds_write_b128 v169, v[18:21]
	s_waitcnt lgkmcnt(0)
	s_barrier
	ds_read_u16 v18, v99 offset:272
	ds_read_u16 v19, v99 offset:544
	ds_read_u16 v20, v103
	ds_read_u16 v24, v103 offset:32
	v_cvt_f32_f16_sdwa v21, v25 dst_sel:DWORD dst_unused:UNUSED_PAD src0_sel:WORD_1
	s_waitcnt lgkmcnt(1)
	v_perm_b32 v33, v20, v19, s62
	ds_read_u16 v19, v99
	ds_read_u16 v28, v99 offset:32
	v_cvt_f32_f16_e32 v20, v25
	s_waitcnt lgkmcnt(1)
	v_perm_b32 v32, v18, v19, s62
	v_cvt_f32_f16_e32 v18, v29
	v_cvt_f32_f16_sdwa v19, v29 dst_sel:DWORD dst_unused:UNUSED_PAD src0_sel:WORD_1
	ds_read_u16 v29, v99 offset:304
	ds_read_u16 v25, v99 offset:576
	v_mfma_f32_16x16x16_f16 v[18:21], v[32:33], v[124:125], v[18:21]
	s_waitcnt lgkmcnt(0)
	v_perm_b32 v25, v24, v25, s62
	v_perm_b32 v24, v29, v28, s62
	ds_read_u16 v28, v99 offset:64
	ds_read_u16 v32, v99 offset:336
	;; [unrolled: 1-line block ×4, first 2 shown]
	v_mfma_f32_16x16x16_f16 v[22:25], v[24:25], v[124:125], v[132:135]
	s_waitcnt lgkmcnt(0)
	v_perm_b32 v29, v33, v29, s62
	v_perm_b32 v28, v32, v28, s62
	ds_read_u16 v32, v99 offset:96
	ds_read_u16 v36, v99 offset:368
	;; [unrolled: 1-line block ×4, first 2 shown]
	v_cvt_f32_f16_e32 v132, v27
	v_cvt_f32_f16_sdwa v133, v27 dst_sel:DWORD dst_unused:UNUSED_PAD src0_sel:WORD_1
	v_cvt_f32_f16_e32 v134, v26
	v_cvt_f32_f16_sdwa v135, v26 dst_sel:DWORD dst_unused:UNUSED_PAD src0_sel:WORD_1
	s_waitcnt lgkmcnt(0)
	v_perm_b32 v33, v37, v33, s62
	v_perm_b32 v32, v36, v32, s62
	ds_read_u16 v36, v99 offset:128
	ds_read_u16 v40, v99 offset:400
	;; [unrolled: 1-line block ×4, first 2 shown]
	v_mfma_f32_16x16x16_f16 v[26:29], v[28:29], v[124:125], v[132:135]
	v_cvt_pk_f16_f32 v24, v24, v25
	s_waitcnt lgkmcnt(2)
	v_perm_b32 v36, v40, v36, s62
	v_cvt_pk_f16_f32 v25, v20, v21
	v_cvt_f32_f16_e32 v132, v31
	v_cvt_f32_f16_sdwa v133, v31 dst_sel:DWORD dst_unused:UNUSED_PAD src0_sel:WORD_1
	v_cvt_f32_f16_e32 v134, v30
	v_cvt_f32_f16_sdwa v135, v30 dst_sel:DWORD dst_unused:UNUSED_PAD src0_sel:WORD_1
	s_waitcnt lgkmcnt(0)
	v_perm_b32 v37, v41, v37, s62
	ds_read_u16 v40, v99 offset:160
	ds_read_u16 v44, v99 offset:432
	;; [unrolled: 1-line block ×4, first 2 shown]
	v_mfma_f32_16x16x16_f16 v[30:33], v[32:33], v[124:125], v[132:135]
	s_waitcnt lgkmcnt(2)
	v_perm_b32 v40, v44, v40, s62
	v_cvt_pk_f16_f32 v27, v26, v27
	v_cvt_f32_f16_e32 v132, v35
	v_cvt_f32_f16_sdwa v133, v35 dst_sel:DWORD dst_unused:UNUSED_PAD src0_sel:WORD_1
	v_cvt_f32_f16_e32 v134, v34
	v_cvt_f32_f16_sdwa v135, v34 dst_sel:DWORD dst_unused:UNUSED_PAD src0_sel:WORD_1
	s_waitcnt lgkmcnt(0)
	v_perm_b32 v41, v45, v41, s62
	v_cvt_pk_f16_f32 v31, v30, v31
	v_mfma_f32_16x16x16_f16 v[34:37], v[36:37], v[124:125], v[132:135]
	v_cvt_pk_f16_f32 v30, v32, v33
	v_cvt_pk_f16_f32 v26, v28, v29
	s_nop 0
	v_cvt_f32_f16_e32 v132, v39
	v_cvt_f32_f16_sdwa v133, v39 dst_sel:DWORD dst_unused:UNUSED_PAD src0_sel:WORD_1
	v_cvt_f32_f16_e32 v134, v38
	v_cvt_f32_f16_sdwa v135, v38 dst_sel:DWORD dst_unused:UNUSED_PAD src0_sel:WORD_1
	s_nop 0
	v_cvt_pk_f16_f32 v35, v34, v35
	v_cvt_pk_f16_f32 v34, v36, v37
	v_mfma_f32_16x16x16_f16 v[38:41], v[40:41], v[124:125], v[132:135]
	ds_read_u16 v44, v99 offset:192
	ds_read_u16 v52, v99 offset:464
	;; [unrolled: 1-line block ×4, first 2 shown]
	v_cvt_f32_f16_sdwa v133, v43 dst_sel:DWORD dst_unused:UNUSED_PAD src0_sel:WORD_1
	v_cvt_f32_f16_e32 v134, v42
	s_waitcnt lgkmcnt(2)
	v_perm_b32 v44, v52, v44, s62
	v_cvt_f32_f16_sdwa v135, v42 dst_sel:DWORD dst_unused:UNUSED_PAD src0_sel:WORD_1
	s_waitcnt lgkmcnt(0)
	v_perm_b32 v45, v132, v45, s62
	v_cvt_f32_f16_e32 v132, v43
	v_cvt_pk_f16_f32 v39, v38, v39
	v_cvt_pk_f16_f32 v38, v40, v41
	v_mfma_f32_16x16x16_f16 v[42:45], v[44:45], v[124:125], v[132:135]
	ds_read_u16 v52, v99 offset:224
	s_nop 1
	ds_read_u16 v132, v99 offset:496
	ds_read_u16 v133, v99 offset:768
	;; [unrolled: 1-line block ×3, first 2 shown]
	v_cvt_f32_f16_sdwa v135, v130 dst_sel:DWORD dst_unused:UNUSED_PAD src0_sel:WORD_1
	v_cvt_pk_f16_f32 v28, v22, v23
	s_waitcnt lgkmcnt(2)
	v_perm_b32 v136, v132, v52, s62
	v_cvt_f32_f16_e32 v132, v131
	s_waitcnt lgkmcnt(0)
	v_perm_b32 v137, v134, v133, s62
	v_cvt_f32_f16_sdwa v133, v131 dst_sel:DWORD dst_unused:UNUSED_PAD src0_sel:WORD_1
	v_cvt_f32_f16_e32 v134, v130
	v_cvt_pk_f16_f32 v43, v42, v43
	v_cvt_pk_f16_f32 v42, v44, v45
	v_mfma_f32_16x16x16_f16 v[130:133], v[136:137], v[124:125], v[132:135]
	v_cvt_pk_f16_f32 v29, v18, v19
	s_barrier
	s_nop 5
	v_cvt_pk_f16_f32 v124, v130, v131
	v_cvt_pk_f16_f32 v125, v132, v133
	s_cbranch_scc0 .LBB25_54
; %bb.51:                               ;   in Loop: Header=BB25_34 Depth=2
	v_mov_b32_e32 v22, v127
	v_mov_b32_e32 v23, v126
	s_ashr_i32 s9, s8, 31
	s_and_saveexec_b64 s[12:13], s[4:5]
	s_cbranch_execnz .LBB25_33
	s_branch .LBB25_34
.LBB25_52:                              ;   in Loop: Header=BB25_12 Depth=1
	s_cbranch_execz .LBB25_11
	s_branch .LBB25_161
.LBB25_53:                              ;   in Loop: Header=BB25_12 Depth=1
	v_mov_b32_e32 v126, 0xfeffffff
	v_mov_b32_e32 v127, 0
	;; [unrolled: 1-line block ×18, first 2 shown]
.LBB25_54:                              ;   in Loop: Header=BB25_12 Depth=1
	s_lshl_b32 s8, s82, 6
	s_ashr_i32 s9, s8, 31
	s_and_saveexec_b64 s[12:13], s[4:5]
	s_cbranch_execz .LBB25_56
; %bb.55:                               ;   in Loop: Header=BB25_12 Depth=1
	v_or_b32_e32 v18, s88, v89
	v_mul_hi_u32 v19, s34, v18
	v_add_u32_e32 v19, v18, v19
	v_lshrrev_b32_e32 v19, s35, v19
	s_lshl_b64 s[82:83], s[8:9], 1
	v_mul_lo_u32 v19, v19, s36
	v_readlane_b32 s84, v200, 22
	s_add_u32 s82, s76, s82
	v_sub_u32_e32 v18, v18, v19
	v_readlane_b32 s85, v200, 23
	s_addc_u32 s83, s77, s83
	v_mad_i64_i32 v[18:19], s[84:85], v18, s84, 0
	v_lshl_add_u64 v[18:19], v[18:19], 1, s[82:83]
	v_lshlrev_b32_e32 v52, 1, v48
	v_lshl_add_u64 v[18:19], v[18:19], 0, v[52:53]
	global_load_dword v18, v[18:19], off
	s_waitcnt vmcnt(0)
	ds_write_b32 v91, v18 offset:17408
.LBB25_56:                              ;   in Loop: Header=BB25_12 Depth=1
	s_or_b64 exec, exec, s[12:13]
	s_mul_hi_i32 s13, s8, s38
	s_mul_i32 s12, s8, s38
	s_lshl_b64 s[12:13], s[12:13], 2
	s_add_u32 s12, s96, s12
	s_addc_u32 s13, s97, s13
	v_lshlrev_b32_e32 v52, 2, v50
	v_lshl_add_u64 v[20:21], v[58:59], 2, s[12:13]
	v_lshl_add_u64 v[18:19], v[56:57], 2, s[12:13]
	;; [unrolled: 1-line block ×8, first 2 shown]
	global_load_dwordx4 v[18:21], v[18:19], off
	s_waitcnt vmcnt(0)
	ds_write_b128 v93, v[18:21]
	global_load_dwordx4 v[18:21], v[22:23], off
	s_waitcnt vmcnt(0)
	ds_write_b128 v167, v[18:21]
	;; [unrolled: 3-line block ×4, first 2 shown]
	s_waitcnt lgkmcnt(0)
	s_barrier
	ds_read2_b64 v[18:21], v95 offset1:4
	s_waitcnt lgkmcnt(0)
	v_mfma_f32_16x16x16_f16 v[128:131], v[18:19], v[14:15], 0
	v_mfma_f32_16x16x16_f16 v[14:17], v[20:21], v[16:17], v[128:131]
	ds_read2_b64 v[18:21], v95 offset0:8 offset1:12
	s_waitcnt lgkmcnt(0)
	v_mfma_f32_16x16x16_f16 v[14:17], v[18:19], v[10:11], v[14:17]
	v_mfma_f32_16x16x16_f16 v[10:13], v[20:21], v[12:13], v[14:17]
	s_nop 6
	ds_read2_b64 v[14:17], v95 offset0:16 offset1:20
	s_waitcnt lgkmcnt(0)
	v_mfma_f32_16x16x16_f16 v[10:13], v[14:15], v[6:7], v[10:13]
	v_mfma_f32_16x16x16_f16 v[6:9], v[16:17], v[8:9], v[10:13]
	s_nop 6
	ds_read2_b64 v[10:13], v95 offset0:24 offset1:28
	s_waitcnt lgkmcnt(0)
	v_mfma_f32_16x16x16_f16 v[6:9], v[10:11], v[2:3], v[6:9]
	s_barrier
	v_mfma_f32_16x16x16_f16 v[2:5], v[12:13], v[4:5], v[6:9]
                                        ; implicit-def: $vgpr6
	s_nop 7
	v_cmp_nlt_f32_e64 s[12:13], |v2|, s45
	s_and_saveexec_b64 s[82:83], s[12:13]
	s_xor_b64 s[12:13], exec, s[82:83]
	s_cbranch_execz .LBB25_58
; %bb.57:                               ;   in Loop: Header=BB25_12 Depth=1
	v_add_f32_e64 v6, |v2|, |v2|
	v_mul_f32_e32 v7, 0x3fb8aa3b, v6
	v_rndne_f32_e32 v8, v7
	v_sub_f32_e32 v9, v7, v8
	v_fma_f32 v7, v6, s67, -v7
	v_fmac_f32_e32 v7, 0x32a5705f, v6
	v_add_f32_e32 v7, v9, v7
	v_cvt_i32_f32_e32 v8, v8
	v_exp_f32_e32 v7, v7
	v_cmp_ngt_f32_e32 vcc, s33, v6
	v_ldexp_f32 v7, v7, v8
	s_nop 0
	v_cndmask_b32_e32 v7, 0, v7, vcc
	v_cmp_nlt_f32_e32 vcc, s87, v6
	s_nop 1
	v_cndmask_b32_e32 v6, v189, v7, vcc
	v_add_f32_e32 v6, 1.0, v6
	v_rcp_f32_e32 v6, v6
	s_nop 0
	v_fma_f32 v6, v6, -2.0, 1.0
.LBB25_58:                              ;   in Loop: Header=BB25_12 Depth=1
	s_andn2_saveexec_b64 s[12:13], s[12:13]
; %bb.59:                               ;   in Loop: Header=BB25_12 Depth=1
	v_mul_f32_e32 v6, v2, v2
	v_fmamk_f32 v7, v6, 0xbbbac73d, v187
	v_fmaak_f32 v7, v6, v7, 0xbd5c1c4e
	v_fmaak_f32 v7, v6, v7, 0x3e088382
	;; [unrolled: 1-line block ×3, first 2 shown]
	v_mul_f32_e64 v7, |v2|, v7
	v_fma_f32 v6, v6, v7, |v2|
; %bb.60:                               ;   in Loop: Header=BB25_12 Depth=1
	s_or_b64 exec, exec, s[12:13]
	v_cmp_nlt_f32_e64 s[12:13], |v3|, s45
                                        ; implicit-def: $vgpr7
	s_and_saveexec_b64 s[82:83], s[12:13]
	s_xor_b64 s[12:13], exec, s[82:83]
	s_cbranch_execz .LBB25_62
; %bb.61:                               ;   in Loop: Header=BB25_12 Depth=1
	v_add_f32_e64 v7, |v3|, |v3|
	v_mul_f32_e32 v8, 0x3fb8aa3b, v7
	v_rndne_f32_e32 v9, v8
	v_sub_f32_e32 v10, v8, v9
	v_fma_f32 v8, v7, s67, -v8
	v_fmac_f32_e32 v8, 0x32a5705f, v7
	v_add_f32_e32 v8, v10, v8
	v_cvt_i32_f32_e32 v9, v9
	v_exp_f32_e32 v8, v8
	v_cmp_ngt_f32_e32 vcc, s33, v7
	v_ldexp_f32 v8, v8, v9
	s_nop 0
	v_cndmask_b32_e32 v8, 0, v8, vcc
	v_cmp_nlt_f32_e32 vcc, s87, v7
	s_nop 1
	v_cndmask_b32_e32 v7, v189, v8, vcc
	v_add_f32_e32 v7, 1.0, v7
	v_rcp_f32_e32 v7, v7
	s_nop 0
	v_fma_f32 v7, v7, -2.0, 1.0
.LBB25_62:                              ;   in Loop: Header=BB25_12 Depth=1
	s_andn2_saveexec_b64 s[12:13], s[12:13]
; %bb.63:                               ;   in Loop: Header=BB25_12 Depth=1
	v_mul_f32_e32 v7, v3, v3
	v_fmamk_f32 v8, v7, 0xbbbac73d, v187
	v_fmaak_f32 v8, v7, v8, 0xbd5c1c4e
	v_fmaak_f32 v8, v7, v8, 0x3e088382
	;; [unrolled: 1-line block ×3, first 2 shown]
	v_mul_f32_e64 v8, |v3|, v8
	v_fma_f32 v7, v7, v8, |v3|
; %bb.64:                               ;   in Loop: Header=BB25_12 Depth=1
	s_or_b64 exec, exec, s[12:13]
	v_cmp_nlt_f32_e64 s[12:13], |v4|, s45
                                        ; implicit-def: $vgpr8
	s_and_saveexec_b64 s[82:83], s[12:13]
	s_xor_b64 s[12:13], exec, s[82:83]
	s_cbranch_execz .LBB25_66
; %bb.65:                               ;   in Loop: Header=BB25_12 Depth=1
	v_add_f32_e64 v8, |v4|, |v4|
	v_mul_f32_e32 v9, 0x3fb8aa3b, v8
	v_rndne_f32_e32 v10, v9
	v_sub_f32_e32 v11, v9, v10
	v_fma_f32 v9, v8, s67, -v9
	v_fmac_f32_e32 v9, 0x32a5705f, v8
	v_add_f32_e32 v9, v11, v9
	v_cvt_i32_f32_e32 v10, v10
	v_exp_f32_e32 v9, v9
	v_cmp_ngt_f32_e32 vcc, s33, v8
	v_ldexp_f32 v9, v9, v10
	s_nop 0
	v_cndmask_b32_e32 v9, 0, v9, vcc
	v_cmp_nlt_f32_e32 vcc, s87, v8
	s_nop 1
	v_cndmask_b32_e32 v8, v189, v9, vcc
	v_add_f32_e32 v8, 1.0, v8
	v_rcp_f32_e32 v8, v8
	s_nop 0
	v_fma_f32 v8, v8, -2.0, 1.0
.LBB25_66:                              ;   in Loop: Header=BB25_12 Depth=1
	s_andn2_saveexec_b64 s[12:13], s[12:13]
; %bb.67:                               ;   in Loop: Header=BB25_12 Depth=1
	v_mul_f32_e32 v8, v4, v4
	v_fmamk_f32 v9, v8, 0xbbbac73d, v187
	v_fmaak_f32 v9, v8, v9, 0xbd5c1c4e
	v_fmaak_f32 v9, v8, v9, 0x3e088382
	;; [unrolled: 1-line block ×3, first 2 shown]
	v_mul_f32_e64 v9, |v4|, v9
	v_fma_f32 v8, v8, v9, |v4|
; %bb.68:                               ;   in Loop: Header=BB25_12 Depth=1
	s_or_b64 exec, exec, s[12:13]
	v_cmp_nlt_f32_e64 s[12:13], |v5|, s45
                                        ; implicit-def: $vgpr9
	s_and_saveexec_b64 s[82:83], s[12:13]
	s_xor_b64 s[12:13], exec, s[82:83]
	s_cbranch_execz .LBB25_70
; %bb.69:                               ;   in Loop: Header=BB25_12 Depth=1
	v_add_f32_e64 v9, |v5|, |v5|
	v_mul_f32_e32 v10, 0x3fb8aa3b, v9
	v_rndne_f32_e32 v11, v10
	v_sub_f32_e32 v12, v10, v11
	v_fma_f32 v10, v9, s67, -v10
	v_fmac_f32_e32 v10, 0x32a5705f, v9
	v_add_f32_e32 v10, v12, v10
	v_cvt_i32_f32_e32 v11, v11
	v_exp_f32_e32 v10, v10
	v_cmp_ngt_f32_e32 vcc, s33, v9
	v_ldexp_f32 v10, v10, v11
	s_nop 0
	v_cndmask_b32_e32 v10, 0, v10, vcc
	v_cmp_nlt_f32_e32 vcc, s87, v9
	s_nop 1
	v_cndmask_b32_e32 v9, v189, v10, vcc
	v_add_f32_e32 v9, 1.0, v9
	v_rcp_f32_e32 v9, v9
	s_nop 0
	v_fma_f32 v9, v9, -2.0, 1.0
.LBB25_70:                              ;   in Loop: Header=BB25_12 Depth=1
	s_andn2_saveexec_b64 s[12:13], s[12:13]
; %bb.71:                               ;   in Loop: Header=BB25_12 Depth=1
	v_mul_f32_e32 v9, v5, v5
	v_fmamk_f32 v10, v9, 0xbbbac73d, v187
	v_fmaak_f32 v10, v9, v10, 0xbd5c1c4e
	v_fmaak_f32 v10, v9, v10, 0x3e088382
	;; [unrolled: 1-line block ×3, first 2 shown]
	v_mul_f32_e64 v10, |v5|, v10
	v_fma_f32 v9, v9, v10, |v5|
; %bb.72:                               ;   in Loop: Header=BB25_12 Depth=1
	s_or_b64 exec, exec, s[12:13]
	v_bfi_b32 v6, s2, v6, v2
	v_add_u32_e32 v2, 0x4400, v97
	v_bfi_b32 v7, s2, v7, v3
	ds_read2_b32 v[2:3], v2 offset1:1
	v_bfi_b32 v4, s2, v8, v4
	v_bfi_b32 v5, s2, v9, v5
	s_mul_hi_i32 s9, s8, s14
	s_mul_i32 s8, s8, s14
	s_waitcnt lgkmcnt(0)
	v_fma_mix_f32 v6, s3, v6, v2 op_sel_hi:[0,0,1]
	v_fma_mix_f32 v2, s3, v7, v2 op_sel:[0,0,1] op_sel_hi:[0,0,1]
	v_fma_mix_f32 v4, s3, v4, v3 op_sel_hi:[0,0,1]
	v_fma_mix_f32 v3, s3, v5, v3 op_sel:[0,0,1] op_sel_hi:[0,0,1]
	v_add_f32_e32 v5, 0x40051340, v6
	v_add_f32_e32 v7, 0x40051340, v2
	v_max3_f32 v5, v126, v5, v7
	v_add_f32_e32 v7, 0x40051340, v4
	v_add_f32_e32 v8, 0x40051340, v3
	v_max3_f32 v5, v5, v7, v8
	v_and_b32_e32 v7, 64, v188
	v_add_u32_e32 v7, 64, v7
	v_xor_b32_e32 v8, 32, v188
	v_cmp_lt_i32_e32 vcc, v8, v7
	s_lshl_b64 s[8:9], s[8:9], 2
	s_add_u32 s8, s64, s8
	v_cndmask_b32_e32 v8, v188, v8, vcc
	v_lshlrev_b32_e32 v22, 2, v8
	ds_bpermute_b32 v8, v22, v5
	s_addc_u32 s9, s65, s9
	s_cmp_lg_u64 s[74:75], 0
	s_waitcnt lgkmcnt(0)
	v_max_f32_e32 v8, v8, v8
	v_max_f32_e32 v5, v5, v8
	v_xor_b32_e32 v8, 16, v188
	v_cmp_lt_i32_e32 vcc, v8, v7
	s_nop 1
	v_cndmask_b32_e32 v7, v188, v8, vcc
	v_lshlrev_b32_e32 v23, 2, v7
	ds_bpermute_b32 v7, v23, v5
	s_waitcnt lgkmcnt(0)
	v_max_f32_e32 v7, v7, v7
	v_max_f32_e32 v20, v5, v7
	v_sub_f32_e32 v5, v6, v20
	v_mul_f32_e32 v6, 0x3fb8aa3b, v5
	v_fma_f32 v7, v5, s67, -v6
	v_rndne_f32_e32 v8, v6
	v_fmac_f32_e32 v7, 0x32a5705f, v5
	v_sub_f32_e32 v6, v6, v8
	v_add_f32_e32 v6, v6, v7
	v_exp_f32_e32 v6, v6
	v_cvt_i32_f32_e32 v7, v8
	v_cmp_ngt_f32_e32 vcc, s33, v5
	v_sub_f32_e32 v2, v2, v20
	v_sub_f32_e32 v4, v4, v20
	v_ldexp_f32 v6, v6, v7
	v_cndmask_b32_e32 v6, 0, v6, vcc
	v_cmp_nlt_f32_e32 vcc, s87, v5
	v_mul_f32_e32 v5, 0x3fb8aa3b, v2
	v_rndne_f32_e32 v7, v5
	v_cndmask_b32_e32 v18, v189, v6, vcc
	v_fma_f32 v6, v2, s67, -v5
	v_fmac_f32_e32 v6, 0x32a5705f, v2
	v_sub_f32_e32 v5, v5, v7
	v_add_f32_e32 v5, v5, v6
	v_exp_f32_e32 v5, v5
	v_cvt_i32_f32_e32 v6, v7
	v_cmp_ngt_f32_e32 vcc, s33, v2
	v_sub_f32_e32 v3, v3, v20
	v_ldexp_f32 v5, v5, v6
	v_cndmask_b32_e32 v5, 0, v5, vcc
	v_cmp_nlt_f32_e32 vcc, s87, v2
	s_nop 1
	v_cndmask_b32_e32 v32, v189, v5, vcc
	v_mul_f32_e32 v5, 0x3fb8aa3b, v4
	v_fma_f32 v6, v4, s67, -v5
	v_rndne_f32_e32 v7, v5
	v_fmac_f32_e32 v6, 0x32a5705f, v4
	v_sub_f32_e32 v5, v5, v7
	v_add_f32_e32 v5, v5, v6
	v_exp_f32_e32 v5, v5
	v_cvt_i32_f32_e32 v6, v7
	v_cmp_ngt_f32_e32 vcc, s33, v4
	v_add_f32_e32 v2, v18, v32
	v_cvt_pk_f16_f32 v18, v18, v32
	v_ldexp_f32 v5, v5, v6
	v_cndmask_b32_e32 v5, 0, v5, vcc
	v_cmp_nlt_f32_e32 vcc, s87, v4
	v_mul_f32_e32 v4, 0x3fb8aa3b, v3
	v_rndne_f32_e32 v6, v4
	v_cndmask_b32_e32 v19, v189, v5, vcc
	v_fma_f32 v5, v3, s67, -v4
	v_fmac_f32_e32 v5, 0x32a5705f, v3
	v_sub_f32_e32 v4, v4, v6
	v_add_f32_e32 v4, v4, v5
	v_exp_f32_e32 v4, v4
	v_cvt_i32_f32_e32 v5, v6
	v_cmp_ngt_f32_e32 vcc, s33, v3
	v_add_f32_e32 v2, v19, v2
	v_ldexp_f32 v4, v4, v5
	v_cndmask_b32_e32 v4, 0, v4, vcc
	v_cmp_nlt_f32_e32 vcc, s87, v3
	s_nop 1
	v_cndmask_b32_e32 v36, v189, v4, vcc
	v_add_f32_e32 v21, v36, v2
	v_sub_f32_e32 v2, v126, v20
	v_mul_f32_e32 v3, 0x3fb8aa3b, v2
	v_fma_f32 v4, v2, s67, -v3
	v_rndne_f32_e32 v5, v3
	v_fmac_f32_e32 v4, 0x32a5705f, v2
	v_sub_f32_e32 v3, v3, v5
	v_add_f32_e32 v3, v3, v4
	v_exp_f32_e32 v3, v3
	v_cvt_i32_f32_e32 v4, v5
	v_cmp_ngt_f32_e32 vcc, s33, v2
	v_cvt_pk_f16_f32 v19, v19, v36
	v_ldexp_f32 v3, v3, v4
	v_cndmask_b32_e32 v3, 0, v3, vcc
	v_cmp_nlt_f32_e32 vcc, s87, v2
	v_lshl_add_u64 v[4:5], v[66:67], 2, s[8:9]
	s_nop 0
	v_cndmask_b32_e32 v3, v189, v3, vcc
	v_cmp_le_f32_e32 vcc, s44, v2
	s_nop 1
	v_cndmask_b32_e32 v2, 0, v3, vcc
	v_fmac_f32_e32 v21, v127, v2
	v_cvt_f16_f32_e32 v2, v2
	v_mul_u32_u24_e32 v2, 0x10001, v2
	v_pk_mul_f16 v33, v29, v2
	v_pk_mul_f16 v29, v25, v2
	;; [unrolled: 1-line block ×16, first 2 shown]
	v_lshl_add_u64 v[2:3], v[64:65], 2, s[8:9]
	v_lshl_add_u64 v[30:31], v[4:5], 0, v[52:53]
	;; [unrolled: 1-line block ×7, first 2 shown]
	global_load_dwordx4 v[2:5], v[2:3], off
	v_cvt_f32_f16_e32 v40, v11
	v_cvt_f32_f16_sdwa v41, v11 dst_sel:DWORD dst_unused:UNUSED_PAD src0_sel:WORD_1
	v_cvt_f32_f16_e32 v42, v10
	v_cvt_f32_f16_sdwa v43, v10 dst_sel:DWORD dst_unused:UNUSED_PAD src0_sel:WORD_1
	;; [unrolled: 2-line block ×5, first 2 shown]
	s_cselect_b64 s[8:9], -1, 0
	s_and_b64 s[12:13], s[0:1], s[8:9]
	s_waitcnt vmcnt(0)
	ds_write_b128 v93, v[2:5]
	global_load_dwordx4 v[2:5], v[30:31], off
	s_waitcnt vmcnt(0)
	ds_write_b128 v167, v[2:5]
	global_load_dwordx4 v[2:5], v[34:35], off
	s_waitcnt vmcnt(0)
	ds_write_b128 v168, v[2:5]
	global_load_dwordx4 v[2:5], v[38:39], off
	s_waitcnt vmcnt(0)
	ds_write_b128 v169, v[2:5]
	s_waitcnt lgkmcnt(0)
	s_barrier
	ds_read_u16 v2, v99 offset:272
	ds_read_u16 v3, v99 offset:544
	ds_read_u16 v4, v103
	ds_read_u16 v27, v103 offset:32
	v_cvt_f32_f16_sdwa v5, v29 dst_sel:DWORD dst_unused:UNUSED_PAD src0_sel:WORD_1
	s_waitcnt lgkmcnt(1)
	v_perm_b32 v31, v4, v3, s62
	ds_read_u16 v3, v99
	ds_read_u16 v28, v99 offset:32
	v_cvt_f32_f16_e32 v4, v29
	v_cvt_f32_f16_sdwa v29, v7 dst_sel:DWORD dst_unused:UNUSED_PAD src0_sel:WORD_1
	s_waitcnt lgkmcnt(1)
	v_perm_b32 v30, v2, v3, s62
	v_cvt_f32_f16_e32 v2, v33
	v_cvt_f32_f16_sdwa v3, v33 dst_sel:DWORD dst_unused:UNUSED_PAD src0_sel:WORD_1
	s_nop 1
	v_mfma_f32_16x16x16_f16 v[2:5], v[30:31], v[18:19], v[2:5]
	v_cvt_f32_f16_e32 v30, v6
	v_cvt_f32_f16_sdwa v31, v6 dst_sel:DWORD dst_unused:UNUSED_PAD src0_sel:WORD_1
	s_nop 5
	v_cvt_f16_f32_e32 v4, v4
	v_cvt_f16_f32_e32 v5, v5
	;; [unrolled: 1-line block ×4, first 2 shown]
	v_perm_b32 v24, v5, v4, s62
	ds_read_u16 v4, v99 offset:304
	ds_read_u16 v5, v99 offset:576
	v_perm_b32 v33, v34, v33, s62
	s_waitcnt lgkmcnt(1)
	v_perm_b32 v4, v4, v28, s62
	s_waitcnt lgkmcnt(0)
	v_perm_b32 v5, v27, v5, s62
	v_cvt_f32_f16_e32 v28, v7
	s_nop 1
	v_mfma_f32_16x16x16_f16 v[4:7], v[4:5], v[18:19], v[28:31]
	s_nop 2
	v_cvt_f32_f16_e32 v30, v8
	v_cvt_f32_f16_sdwa v31, v8 dst_sel:DWORD dst_unused:UNUSED_PAD src0_sel:WORD_1
	s_nop 2
	v_cvt_f16_f32_e32 v6, v6
	v_cvt_f16_f32_e32 v7, v7
	;; [unrolled: 1-line block ×4, first 2 shown]
	v_perm_b32 v27, v7, v6, s62
	ds_read_u16 v6, v99 offset:64
	ds_read_u16 v28, v99 offset:336
	;; [unrolled: 1-line block ×4, first 2 shown]
	v_perm_b32 v35, v36, v35, s62
	s_waitcnt lgkmcnt(2)
	v_perm_b32 v6, v28, v6, s62
	v_cvt_f32_f16_e32 v28, v9
	s_waitcnt lgkmcnt(0)
	v_perm_b32 v7, v29, v7, s62
	v_cvt_f32_f16_sdwa v29, v9 dst_sel:DWORD dst_unused:UNUSED_PAD src0_sel:WORD_1
	s_nop 1
	v_mfma_f32_16x16x16_f16 v[6:9], v[6:7], v[18:19], v[28:31]
	s_nop 7
	v_cvt_f16_f32_e32 v8, v8
	v_cvt_f16_f32_e32 v9, v9
	;; [unrolled: 1-line block ×4, first 2 shown]
	v_perm_b32 v28, v9, v8, s62
	ds_read_u16 v8, v99 offset:96
	ds_read_u16 v29, v99 offset:368
	;; [unrolled: 1-line block ×4, first 2 shown]
	v_perm_b32 v37, v38, v37, s62
	s_waitcnt lgkmcnt(2)
	v_perm_b32 v8, v29, v8, s62
	s_waitcnt lgkmcnt(0)
	v_perm_b32 v9, v30, v9, s62
	s_nop 1
	v_mfma_f32_16x16x16_f16 v[8:11], v[8:9], v[18:19], v[40:43]
	s_nop 2
	v_cvt_f32_f16_e32 v42, v13
	v_cvt_f32_f16_sdwa v43, v13 dst_sel:DWORD dst_unused:UNUSED_PAD src0_sel:WORD_1
	s_nop 2
	v_cvt_f16_f32_e32 v10, v10
	v_cvt_f16_f32_e32 v11, v11
	v_cvt_f16_f32_e32 v39, v8
	v_cvt_f16_f32_e32 v40, v9
	v_perm_b32 v29, v11, v10, s62
	ds_read_u16 v10, v99 offset:128
	ds_read_u16 v30, v99 offset:400
	;; [unrolled: 1-line block ×4, first 2 shown]
	v_perm_b32 v39, v40, v39, s62
	s_waitcnt lgkmcnt(2)
	v_perm_b32 v10, v30, v10, s62
	s_waitcnt lgkmcnt(0)
	v_perm_b32 v11, v31, v11, s62
	s_nop 1
	v_mfma_f32_16x16x16_f16 v[10:13], v[10:11], v[18:19], v[42:45]
	s_nop 7
	v_cvt_f16_f32_e32 v12, v12
	v_cvt_f16_f32_e32 v13, v13
	;; [unrolled: 1-line block ×4, first 2 shown]
	v_perm_b32 v30, v13, v12, s62
	ds_read_u16 v12, v99 offset:160
	ds_read_u16 v31, v99 offset:432
	;; [unrolled: 1-line block ×4, first 2 shown]
	v_perm_b32 v41, v42, v41, s62
	s_waitcnt lgkmcnt(2)
	v_perm_b32 v12, v31, v12, s62
	s_waitcnt lgkmcnt(0)
	v_perm_b32 v13, v32, v13, s62
	s_nop 1
	v_mfma_f32_16x16x16_f16 v[12:15], v[12:13], v[18:19], v[122:125]
	s_nop 2
	v_cvt_f32_f16_e32 v122, v17
	v_cvt_f32_f16_sdwa v123, v17 dst_sel:DWORD dst_unused:UNUSED_PAD src0_sel:WORD_1
	v_cvt_f32_f16_e32 v124, v16
	s_nop 1
	v_cvt_f16_f32_e32 v14, v14
	v_cvt_f16_f32_e32 v15, v15
	v_cvt_f32_f16_sdwa v125, v16 dst_sel:DWORD dst_unused:UNUSED_PAD src0_sel:WORD_1
	v_cvt_f16_f32_e32 v43, v12
	v_cvt_f16_f32_e32 v44, v13
	v_perm_b32 v31, v15, v14, s62
	ds_read_u16 v14, v99 offset:192
	ds_read_u16 v32, v99 offset:464
	;; [unrolled: 1-line block ×4, first 2 shown]
	s_waitcnt lgkmcnt(2)
	v_perm_b32 v14, v32, v14, s62
	s_waitcnt lgkmcnt(0)
	v_perm_b32 v15, v45, v15, s62
	s_nop 1
	v_mfma_f32_16x16x16_f16 v[14:17], v[14:15], v[18:19], v[122:125]
	s_nop 2
	v_cvt_f32_f16_e32 v124, v25
	v_cvt_f32_f16_sdwa v125, v25 dst_sel:DWORD dst_unused:UNUSED_PAD src0_sel:WORD_1
	s_nop 2
	v_cvt_f16_f32_e32 v16, v16
	v_cvt_f16_f32_e32 v17, v17
	;; [unrolled: 1-line block ×4, first 2 shown]
	v_perm_b32 v32, v17, v16, s62
	ds_read_u16 v16, v99 offset:224
	ds_read_u16 v122, v99 offset:496
	;; [unrolled: 1-line block ×4, first 2 shown]
	s_waitcnt lgkmcnt(0)
	s_barrier
	v_perm_b32 v16, v122, v16, s62
	v_cvt_f32_f16_e32 v122, v26
	v_perm_b32 v17, v123, v17, s62
	v_cvt_f32_f16_sdwa v123, v26 dst_sel:DWORD dst_unused:UNUSED_PAD src0_sel:WORD_1
	s_nop 1
	v_mfma_f32_16x16x16_f16 v[16:19], v[16:17], v[18:19], v[122:125]
	s_nop 7
	v_cvt_f16_f32_e32 v18, v18
	v_cvt_f16_f32_e32 v19, v19
	;; [unrolled: 1-line block ×4, first 2 shown]
	v_perm_b32 v18, v19, v18, s62
	ds_bpermute_b32 v19, v22, v21
	s_waitcnt lgkmcnt(0)
	v_add_f32_e32 v19, v21, v19
	ds_bpermute_b32 v21, v23, v19
	s_waitcnt lgkmcnt(0)
	v_add_f32_e32 v21, v19, v21
	v_perm_b32 v19, v26, v25, s62
	v_perm_b32 v25, v52, v45, s62
	;; [unrolled: 1-line block ×3, first 2 shown]
	s_and_saveexec_b64 s[8:9], s[12:13]
	s_cbranch_execz .LBB25_74
; %bb.73:                               ;   in Loop: Header=BB25_12 Depth=1
	v_cvt_pk_f16_f32 v3, v2, v3
	v_lshlrev_b32_e32 v2, 2, v98
	v_cvt_pk_f16_f32 v4, v4, v5
	v_cvt_pk_f16_f32 v5, v6, v7
	;; [unrolled: 1-line block ×3, first 2 shown]
	global_load_dword v11, v2, s[74:75]
	v_cvt_pk_f16_f32 v6, v8, v9
	v_cvt_pk_f16_f32 v8, v12, v13
	v_max_f32_e32 v12, v20, v20
	v_cvt_pk_f16_f32 v9, v14, v15
	v_cvt_pk_f16_f32 v10, v16, v17
	s_waitcnt vmcnt(0)
	v_max_f32_e32 v2, v11, v11
	v_max_f32_e32 v2, v12, v2
	v_sub_f32_e32 v12, v20, v2
	v_mul_f32_e32 v13, 0x3fb8aa3b, v12
	v_fma_f32 v14, v12, s67, -v13
	v_rndne_f32_e32 v15, v13
	v_fmac_f32_e32 v14, 0x32a5705f, v12
	v_sub_f32_e32 v13, v13, v15
	v_add_f32_e32 v13, v13, v14
	v_exp_f32_e32 v13, v13
	v_cvt_i32_f32_e32 v14, v15
	v_cmp_ngt_f32_e32 vcc, s33, v12
	v_sub_f32_e32 v11, v11, v2
	v_ldexp_f32 v13, v13, v14
	v_cndmask_b32_e32 v13, 0, v13, vcc
	v_cmp_nlt_f32_e32 vcc, s87, v12
	s_nop 1
	v_cndmask_b32_e32 v13, v189, v13, vcc
	v_cmp_le_f32_e32 vcc, s44, v12
	s_nop 1
	v_cndmask_b32_e32 v12, 0, v13, vcc
	v_cvt_f16_f32_e32 v13, v12
	v_cmp_ngt_f32_e32 vcc, s33, v11
	v_mul_u32_u24_e32 v13, 0x10001, v13
	v_pk_mul_f16 v33, v3, v13
	v_mul_f32_e32 v3, 0x3fb8aa3b, v11
	v_pk_mul_f16 v35, v4, v13
	v_pk_mul_f16 v37, v5, v13
	v_fma_f32 v4, v11, s67, -v3
	v_rndne_f32_e32 v5, v3
	v_fmac_f32_e32 v4, 0x32a5705f, v11
	v_sub_f32_e32 v3, v3, v5
	v_add_f32_e32 v3, v3, v4
	v_exp_f32_e32 v3, v3
	v_cvt_i32_f32_e32 v4, v5
	v_pk_mul_f16 v24, v24, v13
	v_pk_mul_f16 v27, v27, v13
	;; [unrolled: 1-line block ×3, first 2 shown]
	v_ldexp_f32 v3, v3, v4
	v_cndmask_b32_e32 v3, 0, v3, vcc
	v_cmp_nlt_f32_e32 vcc, s87, v11
	v_pk_mul_f16 v39, v6, v13
	v_pk_mul_f16 v29, v29, v13
	v_cndmask_b32_e32 v3, v189, v3, vcc
	v_fmac_f32_e32 v3, v21, v12
	v_pk_mul_f16 v41, v7, v13
	v_pk_mul_f16 v30, v30, v13
	;; [unrolled: 1-line block ×8, first 2 shown]
	v_mov_b64_e32 v[20:21], v[2:3]
.LBB25_74:                              ;   in Loop: Header=BB25_12 Depth=1
	s_or_b64 exec, exec, s[8:9]
	s_and_saveexec_b64 s[8:9], s[6:7]
; %bb.75:                               ;   in Loop: Header=BB25_12 Depth=1
	v_add_u32_e32 v2, 0, v144
	ds_write2_b32 v2, v20, v21 offset0:64 offset1:65
; %bb.76:                               ;   in Loop: Header=BB25_12 Depth=1
	s_or_b64 exec, exec, s[8:9]
	s_waitcnt lgkmcnt(0)
	s_barrier
	s_mov_b64 s[8:9], exec
	v_readlane_b32 s12, v200, 5
	v_readlane_b32 s13, v200, 6
	s_and_b64 s[12:13], s[8:9], s[12:13]
	s_xor_b64 s[8:9], s[12:13], s[8:9]
	s_mov_b64 exec, s[12:13]
	s_cbranch_execz .LBB25_78
; %bb.77:                               ;   in Loop: Header=BB25_12 Depth=1
	s_barrier
                                        ; implicit-def: $vgpr22
                                        ; implicit-def: $vgpr23
.LBB25_78:                              ;   in Loop: Header=BB25_12 Depth=1
	s_andn2_saveexec_b64 s[8:9], s[8:9]
	s_cbranch_execz .LBB25_82
; %bb.79:                               ;   in Loop: Header=BB25_12 Depth=1
	v_add_u32_e32 v3, 0, v144
	ds_read_b64 v[4:5], v3 offset:256
	s_waitcnt lgkmcnt(0)
	s_barrier
	ds_bpermute_b32 v2, v22, v4
	v_max_f32_e32 v6, v4, v4
	s_waitcnt lgkmcnt(0)
	v_max_f32_e32 v2, v2, v2
	v_max_f32_e32 v2, v6, v2
	ds_bpermute_b32 v6, v23, v2
	s_waitcnt lgkmcnt(0)
	v_max_f32_e32 v6, v6, v6
	v_max_f32_e32 v2, v2, v6
	v_sub_f32_e32 v4, v4, v2
	v_mul_f32_e32 v6, 0x3fb8aa3b, v4
	v_fma_f32 v7, v4, s67, -v6
	v_rndne_f32_e32 v8, v6
	v_fmac_f32_e32 v7, 0x32a5705f, v4
	v_sub_f32_e32 v6, v6, v8
	v_add_f32_e32 v6, v6, v7
	v_cvt_i32_f32_e32 v8, v8
	v_exp_f32_e32 v6, v6
	v_cmp_ngt_f32_e32 vcc, s33, v4
	v_ldexp_f32 v6, v6, v8
	s_nop 0
	v_cndmask_b32_e32 v6, 0, v6, vcc
	v_cmp_nlt_f32_e32 vcc, s87, v4
	s_nop 1
	v_cndmask_b32_e32 v4, v189, v6, vcc
	v_mul_f32_e32 v6, v5, v4
	ds_bpermute_b32 v6, v22, v6
	s_waitcnt lgkmcnt(0)
	v_fmac_f32_e32 v6, v5, v4
	ds_bpermute_b32 v5, v23, v6
	s_waitcnt lgkmcnt(0)
	v_add_f32_e32 v5, v6, v5
	ds_write_b64 v3, v[4:5] offset:256
	s_and_saveexec_b64 s[12:13], s[6:7]
	s_cbranch_execz .LBB25_81
; %bb.80:                               ;   in Loop: Header=BB25_12 Depth=1
	v_mov_b32_e32 v3, v5
	global_store_dwordx2 v[54:55], v[2:3], off
.LBB25_81:                              ;   in Loop: Header=BB25_12 Depth=1
	s_or_b64 exec, exec, s[12:13]
.LBB25_82:                              ;   in Loop: Header=BB25_12 Depth=1
	s_or_b64 exec, exec, s[8:9]
	v_add_u32_e32 v2, v145, v146
	ds_write2_b32 v2, v33, v24 offset1:1
	ds_write2_b32 v2, v35, v27 offset0:8 offset1:9
	ds_write2_b32 v2, v37, v28 offset0:16 offset1:17
	ds_write2_b32 v2, v39, v29 offset0:24 offset1:25
	ds_write2_b32 v2, v41, v30 offset0:32 offset1:33
	ds_write2_b32 v2, v26, v31 offset0:40 offset1:41
	ds_write2_b32 v2, v25, v32 offset0:48 offset1:49
	ds_write2_b32 v2, v19, v18 offset0:56 offset1:57
	s_waitcnt lgkmcnt(0)
	s_barrier
	s_and_saveexec_b64 s[82:83], s[0:1]
	s_cbranch_execz .LBB25_160
; %bb.83:                               ;   in Loop: Header=BB25_12 Depth=1
	v_add_u32_e32 v3, s88, v174
	v_or_b32_e32 v2, s63, v102
	v_cmp_gt_i32_e64 s[8:9], s36, v3
	v_cmp_gt_i32_e32 vcc, s86, v2
	s_and_b64 s[12:13], s[8:9], vcc
	v_mov_b32_e32 v2, 0x47
	s_and_saveexec_b64 s[8:9], s[12:13]
	s_cbranch_execz .LBB25_85
; %bb.84:                               ;   in Loop: Header=BB25_12 Depth=1
	v_mad_u64_u32 v[2:3], s[12:13], v3, s37, v[102:103]
	v_add_u32_e32 v3, 0, v147
	v_add_u32_e32 v10, v143, v147
	ds_read2st64_b32 v[4:5], v3 offset0:1 offset1:18
	ds_read2st64_b32 v[6:7], v10 offset1:17
	ds_read2st64_b32 v[8:9], v3 offset0:35 offset1:52
	ds_read2st64_b32 v[10:11], v10 offset0:34 offset1:51
	v_lshl_add_u32 v2, v2, 6, v46
	v_ashrrev_i32_e32 v3, 31, v2
	s_waitcnt lgkmcnt(2)
	v_cvt_f32_f16_e32 v12, v6
	v_cvt_f32_f16_sdwa v13, v6 dst_sel:DWORD dst_unused:UNUSED_PAD src0_sel:WORD_1
	v_cvt_f32_f16_e32 v6, v7
	v_cvt_f32_f16_sdwa v7, v7 dst_sel:DWORD dst_unused:UNUSED_PAD src0_sel:WORD_1
	v_lshl_add_u64 v[2:3], v[2:3], 3, s[72:73]
	v_pk_fma_f32 v[12:13], v[4:5], v[12:13], 0 op_sel_hi:[0,1,0]
	v_mov_b32_e32 v4, v5
	v_pk_fma_f32 v[4:5], v[4:5], v[6:7], v[12:13] op_sel_hi:[0,1,1]
	s_waitcnt lgkmcnt(0)
	v_cvt_f32_f16_e32 v6, v10
	v_cvt_f32_f16_sdwa v7, v10 dst_sel:DWORD dst_unused:UNUSED_PAD src0_sel:WORD_1
	v_pk_fma_f32 v[4:5], v[8:9], v[6:7], v[4:5] op_sel_hi:[0,1,1]
	v_cvt_f32_f16_e32 v6, v11
	v_cvt_f32_f16_sdwa v7, v11 dst_sel:DWORD dst_unused:UNUSED_PAD src0_sel:WORD_1
	v_mov_b32_e32 v8, v9
	v_pk_fma_f32 v[4:5], v[8:9], v[6:7], v[4:5] op_sel_hi:[0,1,1]
	global_store_dwordx2 v[2:3], v[4:5], off
	v_mov_b32_e32 v2, 0
.LBB25_85:                              ;   in Loop: Header=BB25_12 Depth=1
	s_or_b64 exec, exec, s[8:9]
	s_movk_i32 s8, 0x47
	v_cmp_gt_i32_e64 s[8:9], s8, v2
	s_mov_b64 s[12:13], -1
	s_and_saveexec_b64 s[84:85], s[8:9]
; %bb.86:                               ;   in Loop: Header=BB25_12 Depth=1
	v_cmp_eq_u32_e64 s[8:9], 0, v2
	s_orn2_b64 s[12:13], s[8:9], exec
; %bb.87:                               ;   in Loop: Header=BB25_12 Depth=1
	s_or_b64 exec, exec, s[84:85]
	s_and_b64 exec, exec, s[12:13]
	s_cbranch_execz .LBB25_160
; %bb.88:                               ;   in Loop: Header=BB25_12 Depth=1
	v_add_u32_e32 v3, s88, v175
	v_or_b32_e32 v2, s63, v74
	v_cmp_gt_i32_e64 s[8:9], s36, v3
	v_cmp_gt_i32_e64 s[12:13], s86, v2
	s_and_b64 s[12:13], s[8:9], s[12:13]
	v_mov_b32_e32 v2, 0x47
	s_and_saveexec_b64 s[8:9], s[12:13]
	s_cbranch_execz .LBB25_90
; %bb.89:                               ;   in Loop: Header=BB25_12 Depth=1
	v_mad_u64_u32 v[2:3], s[12:13], v3, s37, v[74:75]
	v_add_u32_e32 v3, 0, v148
	v_add_u32_e32 v10, v143, v148
	ds_read2st64_b32 v[4:5], v3 offset0:1 offset1:18
	ds_read2st64_b32 v[6:7], v10 offset1:17
	ds_read2st64_b32 v[8:9], v3 offset0:35 offset1:52
	ds_read2st64_b32 v[10:11], v10 offset0:34 offset1:51
	v_lshl_add_u32 v2, v2, 6, v46
	v_ashrrev_i32_e32 v3, 31, v2
	s_waitcnt lgkmcnt(2)
	v_cvt_f32_f16_e32 v12, v6
	v_cvt_f32_f16_sdwa v13, v6 dst_sel:DWORD dst_unused:UNUSED_PAD src0_sel:WORD_1
	v_cvt_f32_f16_e32 v6, v7
	v_cvt_f32_f16_sdwa v7, v7 dst_sel:DWORD dst_unused:UNUSED_PAD src0_sel:WORD_1
	v_lshl_add_u64 v[2:3], v[2:3], 3, s[72:73]
	v_pk_fma_f32 v[12:13], v[4:5], v[12:13], 0 op_sel_hi:[0,1,0]
	v_mov_b32_e32 v4, v5
	v_pk_fma_f32 v[4:5], v[4:5], v[6:7], v[12:13] op_sel_hi:[0,1,1]
	s_waitcnt lgkmcnt(0)
	v_cvt_f32_f16_e32 v6, v10
	v_cvt_f32_f16_sdwa v7, v10 dst_sel:DWORD dst_unused:UNUSED_PAD src0_sel:WORD_1
	v_pk_fma_f32 v[4:5], v[8:9], v[6:7], v[4:5] op_sel_hi:[0,1,1]
	v_cvt_f32_f16_e32 v6, v11
	v_cvt_f32_f16_sdwa v7, v11 dst_sel:DWORD dst_unused:UNUSED_PAD src0_sel:WORD_1
	v_mov_b32_e32 v8, v9
	v_pk_fma_f32 v[4:5], v[8:9], v[6:7], v[4:5] op_sel_hi:[0,1,1]
	global_store_dwordx2 v[2:3], v[4:5], off
	v_mov_b32_e32 v2, 0
.LBB25_90:                              ;   in Loop: Header=BB25_12 Depth=1
	s_or_b64 exec, exec, s[8:9]
	s_movk_i32 s8, 0x47
	v_cmp_gt_i32_e64 s[8:9], s8, v2
	s_mov_b64 s[12:13], -1
	s_and_saveexec_b64 s[84:85], s[8:9]
; %bb.91:                               ;   in Loop: Header=BB25_12 Depth=1
	v_cmp_eq_u32_e64 s[8:9], 0, v2
	s_orn2_b64 s[12:13], s[8:9], exec
; %bb.92:                               ;   in Loop: Header=BB25_12 Depth=1
	s_or_b64 exec, exec, s[84:85]
	s_and_b64 exec, exec, s[12:13]
	s_cbranch_execz .LBB25_160
; %bb.93:                               ;   in Loop: Header=BB25_12 Depth=1
	v_add_u32_e32 v3, s88, v176
	v_or_b32_e32 v2, s63, v76
	v_cmp_gt_i32_e64 s[8:9], s36, v3
	v_cmp_gt_i32_e64 s[12:13], s86, v2
	s_and_b64 s[12:13], s[8:9], s[12:13]
	;; [unrolled: 51-line block ×3, first 2 shown]
	v_mov_b32_e32 v2, 0x47
	s_and_saveexec_b64 s[8:9], s[12:13]
	s_cbranch_execz .LBB25_100
; %bb.99:                               ;   in Loop: Header=BB25_12 Depth=1
	v_mad_u64_u32 v[2:3], s[12:13], v3, s37, v[78:79]
	v_add_u32_e32 v3, 0, v150
	v_add_u32_e32 v10, v143, v150
	ds_read2st64_b32 v[4:5], v3 offset0:1 offset1:18
	ds_read2st64_b32 v[6:7], v10 offset1:17
	ds_read2st64_b32 v[8:9], v3 offset0:35 offset1:52
	ds_read2st64_b32 v[10:11], v10 offset0:34 offset1:51
	v_lshl_add_u32 v2, v2, 6, v46
	v_ashrrev_i32_e32 v3, 31, v2
	s_waitcnt lgkmcnt(2)
	v_cvt_f32_f16_e32 v12, v6
	v_cvt_f32_f16_sdwa v13, v6 dst_sel:DWORD dst_unused:UNUSED_PAD src0_sel:WORD_1
	v_cvt_f32_f16_e32 v6, v7
	v_cvt_f32_f16_sdwa v7, v7 dst_sel:DWORD dst_unused:UNUSED_PAD src0_sel:WORD_1
	v_lshl_add_u64 v[2:3], v[2:3], 3, s[72:73]
	v_pk_fma_f32 v[12:13], v[4:5], v[12:13], 0 op_sel_hi:[0,1,0]
	v_mov_b32_e32 v4, v5
	v_pk_fma_f32 v[4:5], v[4:5], v[6:7], v[12:13] op_sel_hi:[0,1,1]
	s_waitcnt lgkmcnt(0)
	v_cvt_f32_f16_e32 v6, v10
	v_cvt_f32_f16_sdwa v7, v10 dst_sel:DWORD dst_unused:UNUSED_PAD src0_sel:WORD_1
	v_pk_fma_f32 v[4:5], v[8:9], v[6:7], v[4:5] op_sel_hi:[0,1,1]
	v_cvt_f32_f16_e32 v6, v11
	v_cvt_f32_f16_sdwa v7, v11 dst_sel:DWORD dst_unused:UNUSED_PAD src0_sel:WORD_1
	v_mov_b32_e32 v8, v9
	v_pk_fma_f32 v[4:5], v[8:9], v[6:7], v[4:5] op_sel_hi:[0,1,1]
	global_store_dwordx2 v[2:3], v[4:5], off
	v_mov_b32_e32 v2, 0
.LBB25_100:                             ;   in Loop: Header=BB25_12 Depth=1
	s_or_b64 exec, exec, s[8:9]
	s_movk_i32 s8, 0x47
	v_cmp_gt_i32_e64 s[8:9], s8, v2
	s_mov_b64 s[12:13], -1
	s_and_saveexec_b64 s[84:85], s[8:9]
; %bb.101:                              ;   in Loop: Header=BB25_12 Depth=1
	v_cmp_eq_u32_e64 s[8:9], 0, v2
	s_orn2_b64 s[12:13], s[8:9], exec
; %bb.102:                              ;   in Loop: Header=BB25_12 Depth=1
	s_or_b64 exec, exec, s[84:85]
	s_and_b64 exec, exec, s[12:13]
	s_cbranch_execz .LBB25_160
; %bb.103:                              ;   in Loop: Header=BB25_12 Depth=1
	v_add_u32_e32 v3, s88, v151
	v_cmp_gt_i32_e64 s[8:9], s36, v3
	s_and_b64 s[12:13], s[8:9], vcc
	v_mov_b32_e32 v2, 0x47
	s_and_saveexec_b64 s[8:9], s[12:13]
	s_cbranch_execz .LBB25_105
; %bb.104:                              ;   in Loop: Header=BB25_12 Depth=1
	v_mad_u64_u32 v[2:3], s[12:13], v3, s37, v[102:103]
	v_add_u32_e32 v3, 0, v152
	v_add_u32_e32 v10, v143, v152
	ds_read2st64_b32 v[4:5], v3 offset0:1 offset1:18
	ds_read2st64_b32 v[6:7], v10 offset1:17
	ds_read2st64_b32 v[8:9], v3 offset0:35 offset1:52
	ds_read2st64_b32 v[10:11], v10 offset0:34 offset1:51
	v_lshl_add_u32 v2, v2, 6, v46
	v_ashrrev_i32_e32 v3, 31, v2
	s_waitcnt lgkmcnt(2)
	v_cvt_f32_f16_e32 v12, v6
	v_cvt_f32_f16_sdwa v13, v6 dst_sel:DWORD dst_unused:UNUSED_PAD src0_sel:WORD_1
	v_cvt_f32_f16_e32 v6, v7
	v_cvt_f32_f16_sdwa v7, v7 dst_sel:DWORD dst_unused:UNUSED_PAD src0_sel:WORD_1
	v_lshl_add_u64 v[2:3], v[2:3], 3, s[72:73]
	v_pk_fma_f32 v[12:13], v[4:5], v[12:13], 0 op_sel_hi:[0,1,0]
	v_mov_b32_e32 v4, v5
	v_pk_fma_f32 v[4:5], v[4:5], v[6:7], v[12:13] op_sel_hi:[0,1,1]
	s_waitcnt lgkmcnt(0)
	v_cvt_f32_f16_e32 v6, v10
	v_cvt_f32_f16_sdwa v7, v10 dst_sel:DWORD dst_unused:UNUSED_PAD src0_sel:WORD_1
	v_pk_fma_f32 v[4:5], v[8:9], v[6:7], v[4:5] op_sel_hi:[0,1,1]
	v_cvt_f32_f16_e32 v6, v11
	v_cvt_f32_f16_sdwa v7, v11 dst_sel:DWORD dst_unused:UNUSED_PAD src0_sel:WORD_1
	v_mov_b32_e32 v8, v9
	v_pk_fma_f32 v[4:5], v[8:9], v[6:7], v[4:5] op_sel_hi:[0,1,1]
	global_store_dwordx2 v[2:3], v[4:5], off
	v_mov_b32_e32 v2, 0
.LBB25_105:                             ;   in Loop: Header=BB25_12 Depth=1
	s_or_b64 exec, exec, s[8:9]
	s_movk_i32 s8, 0x47
	v_cmp_gt_i32_e64 s[8:9], s8, v2
	s_mov_b64 s[12:13], -1
	s_and_saveexec_b64 s[84:85], s[8:9]
; %bb.106:                              ;   in Loop: Header=BB25_12 Depth=1
	v_cmp_eq_u32_e64 s[8:9], 0, v2
	s_orn2_b64 s[12:13], s[8:9], exec
; %bb.107:                              ;   in Loop: Header=BB25_12 Depth=1
	s_or_b64 exec, exec, s[84:85]
	s_and_b64 exec, exec, s[12:13]
	s_cbranch_execz .LBB25_160
; %bb.108:                              ;   in Loop: Header=BB25_12 Depth=1
	v_add_u32_e32 v3, s88, v178
	v_or_b32_e32 v2, s63, v80
	v_cmp_gt_i32_e64 s[8:9], s36, v3
	v_cmp_gt_i32_e64 s[12:13], s86, v2
	s_and_b64 s[12:13], s[8:9], s[12:13]
	v_mov_b32_e32 v2, 0x47
	s_and_saveexec_b64 s[8:9], s[12:13]
	s_cbranch_execz .LBB25_110
; %bb.109:                              ;   in Loop: Header=BB25_12 Depth=1
	v_mad_u64_u32 v[2:3], s[12:13], v3, s37, v[80:81]
	v_add_u32_e32 v3, 0, v153
	v_add_u32_e32 v10, v143, v153
	ds_read2st64_b32 v[4:5], v3 offset0:1 offset1:18
	ds_read2st64_b32 v[6:7], v10 offset1:17
	ds_read2st64_b32 v[8:9], v3 offset0:35 offset1:52
	ds_read2st64_b32 v[10:11], v10 offset0:34 offset1:51
	v_lshl_add_u32 v2, v2, 6, v46
	v_ashrrev_i32_e32 v3, 31, v2
	s_waitcnt lgkmcnt(2)
	v_cvt_f32_f16_e32 v12, v6
	v_cvt_f32_f16_sdwa v13, v6 dst_sel:DWORD dst_unused:UNUSED_PAD src0_sel:WORD_1
	v_cvt_f32_f16_e32 v6, v7
	v_cvt_f32_f16_sdwa v7, v7 dst_sel:DWORD dst_unused:UNUSED_PAD src0_sel:WORD_1
	v_lshl_add_u64 v[2:3], v[2:3], 3, s[72:73]
	v_pk_fma_f32 v[12:13], v[4:5], v[12:13], 0 op_sel_hi:[0,1,0]
	v_mov_b32_e32 v4, v5
	v_pk_fma_f32 v[4:5], v[4:5], v[6:7], v[12:13] op_sel_hi:[0,1,1]
	s_waitcnt lgkmcnt(0)
	v_cvt_f32_f16_e32 v6, v10
	v_cvt_f32_f16_sdwa v7, v10 dst_sel:DWORD dst_unused:UNUSED_PAD src0_sel:WORD_1
	v_pk_fma_f32 v[4:5], v[8:9], v[6:7], v[4:5] op_sel_hi:[0,1,1]
	v_cvt_f32_f16_e32 v6, v11
	v_cvt_f32_f16_sdwa v7, v11 dst_sel:DWORD dst_unused:UNUSED_PAD src0_sel:WORD_1
	v_mov_b32_e32 v8, v9
	v_pk_fma_f32 v[4:5], v[8:9], v[6:7], v[4:5] op_sel_hi:[0,1,1]
	global_store_dwordx2 v[2:3], v[4:5], off
	v_mov_b32_e32 v2, 0
.LBB25_110:                             ;   in Loop: Header=BB25_12 Depth=1
	s_or_b64 exec, exec, s[8:9]
	s_movk_i32 s8, 0x47
	v_cmp_gt_i32_e64 s[8:9], s8, v2
	s_mov_b64 s[12:13], -1
	s_and_saveexec_b64 s[84:85], s[8:9]
; %bb.111:                              ;   in Loop: Header=BB25_12 Depth=1
	v_cmp_eq_u32_e64 s[8:9], 0, v2
	s_orn2_b64 s[12:13], s[8:9], exec
; %bb.112:                              ;   in Loop: Header=BB25_12 Depth=1
	s_or_b64 exec, exec, s[84:85]
	s_and_b64 exec, exec, s[12:13]
	s_cbranch_execz .LBB25_160
; %bb.113:                              ;   in Loop: Header=BB25_12 Depth=1
	v_add_u32_e32 v3, s88, v179
	v_or_b32_e32 v2, s63, v82
	v_cmp_gt_i32_e64 s[8:9], s36, v3
	v_cmp_gt_i32_e64 s[12:13], s86, v2
	s_and_b64 s[12:13], s[8:9], s[12:13]
	;; [unrolled: 51-line block ×3, first 2 shown]
	v_mov_b32_e32 v2, 0x47
	s_and_saveexec_b64 s[8:9], s[12:13]
	s_cbranch_execz .LBB25_120
; %bb.119:                              ;   in Loop: Header=BB25_12 Depth=1
	v_mad_u64_u32 v[2:3], s[12:13], v3, s37, v[84:85]
	v_add_u32_e32 v3, 0, v155
	v_add_u32_e32 v10, v143, v155
	ds_read2st64_b32 v[4:5], v3 offset0:1 offset1:18
	ds_read2st64_b32 v[6:7], v10 offset1:17
	ds_read2st64_b32 v[8:9], v3 offset0:35 offset1:52
	ds_read2st64_b32 v[10:11], v10 offset0:34 offset1:51
	v_lshl_add_u32 v2, v2, 6, v46
	v_ashrrev_i32_e32 v3, 31, v2
	s_waitcnt lgkmcnt(2)
	v_cvt_f32_f16_e32 v12, v6
	v_cvt_f32_f16_sdwa v13, v6 dst_sel:DWORD dst_unused:UNUSED_PAD src0_sel:WORD_1
	v_cvt_f32_f16_e32 v6, v7
	v_cvt_f32_f16_sdwa v7, v7 dst_sel:DWORD dst_unused:UNUSED_PAD src0_sel:WORD_1
	v_lshl_add_u64 v[2:3], v[2:3], 3, s[72:73]
	v_pk_fma_f32 v[12:13], v[4:5], v[12:13], 0 op_sel_hi:[0,1,0]
	v_mov_b32_e32 v4, v5
	v_pk_fma_f32 v[4:5], v[4:5], v[6:7], v[12:13] op_sel_hi:[0,1,1]
	s_waitcnt lgkmcnt(0)
	v_cvt_f32_f16_e32 v6, v10
	v_cvt_f32_f16_sdwa v7, v10 dst_sel:DWORD dst_unused:UNUSED_PAD src0_sel:WORD_1
	v_pk_fma_f32 v[4:5], v[8:9], v[6:7], v[4:5] op_sel_hi:[0,1,1]
	v_cvt_f32_f16_e32 v6, v11
	v_cvt_f32_f16_sdwa v7, v11 dst_sel:DWORD dst_unused:UNUSED_PAD src0_sel:WORD_1
	v_mov_b32_e32 v8, v9
	v_pk_fma_f32 v[4:5], v[8:9], v[6:7], v[4:5] op_sel_hi:[0,1,1]
	global_store_dwordx2 v[2:3], v[4:5], off
	v_mov_b32_e32 v2, 0
.LBB25_120:                             ;   in Loop: Header=BB25_12 Depth=1
	s_or_b64 exec, exec, s[8:9]
	s_movk_i32 s8, 0x47
	v_cmp_gt_i32_e64 s[8:9], s8, v2
	s_mov_b64 s[12:13], -1
	s_and_saveexec_b64 s[84:85], s[8:9]
; %bb.121:                              ;   in Loop: Header=BB25_12 Depth=1
	v_cmp_eq_u32_e64 s[8:9], 0, v2
	s_orn2_b64 s[12:13], s[8:9], exec
; %bb.122:                              ;   in Loop: Header=BB25_12 Depth=1
	s_or_b64 exec, exec, s[84:85]
	s_and_b64 exec, exec, s[12:13]
	s_cbranch_execz .LBB25_160
; %bb.123:                              ;   in Loop: Header=BB25_12 Depth=1
	v_add_u32_e32 v3, s88, v156
	v_cmp_gt_i32_e64 s[8:9], s36, v3
	s_and_b64 s[12:13], s[8:9], vcc
	v_mov_b32_e32 v2, 0x47
	s_and_saveexec_b64 s[8:9], s[12:13]
	s_cbranch_execz .LBB25_125
; %bb.124:                              ;   in Loop: Header=BB25_12 Depth=1
	v_mad_u64_u32 v[2:3], s[12:13], v3, s37, v[102:103]
	v_add_u32_e32 v3, 0, v157
	v_add_u32_e32 v10, v143, v157
	ds_read2st64_b32 v[4:5], v3 offset0:1 offset1:18
	ds_read2st64_b32 v[6:7], v10 offset1:17
	ds_read2st64_b32 v[8:9], v3 offset0:35 offset1:52
	ds_read2st64_b32 v[10:11], v10 offset0:34 offset1:51
	v_lshl_add_u32 v2, v2, 6, v46
	v_ashrrev_i32_e32 v3, 31, v2
	s_waitcnt lgkmcnt(2)
	v_cvt_f32_f16_e32 v12, v6
	v_cvt_f32_f16_sdwa v13, v6 dst_sel:DWORD dst_unused:UNUSED_PAD src0_sel:WORD_1
	v_cvt_f32_f16_e32 v6, v7
	v_cvt_f32_f16_sdwa v7, v7 dst_sel:DWORD dst_unused:UNUSED_PAD src0_sel:WORD_1
	v_lshl_add_u64 v[2:3], v[2:3], 3, s[72:73]
	v_pk_fma_f32 v[12:13], v[4:5], v[12:13], 0 op_sel_hi:[0,1,0]
	v_mov_b32_e32 v4, v5
	v_pk_fma_f32 v[4:5], v[4:5], v[6:7], v[12:13] op_sel_hi:[0,1,1]
	s_waitcnt lgkmcnt(0)
	v_cvt_f32_f16_e32 v6, v10
	v_cvt_f32_f16_sdwa v7, v10 dst_sel:DWORD dst_unused:UNUSED_PAD src0_sel:WORD_1
	v_pk_fma_f32 v[4:5], v[8:9], v[6:7], v[4:5] op_sel_hi:[0,1,1]
	v_cvt_f32_f16_e32 v6, v11
	v_cvt_f32_f16_sdwa v7, v11 dst_sel:DWORD dst_unused:UNUSED_PAD src0_sel:WORD_1
	v_mov_b32_e32 v8, v9
	v_pk_fma_f32 v[4:5], v[8:9], v[6:7], v[4:5] op_sel_hi:[0,1,1]
	global_store_dwordx2 v[2:3], v[4:5], off
	v_mov_b32_e32 v2, 0
.LBB25_125:                             ;   in Loop: Header=BB25_12 Depth=1
	s_or_b64 exec, exec, s[8:9]
	s_movk_i32 s8, 0x47
	v_cmp_gt_i32_e64 s[8:9], s8, v2
	s_mov_b64 s[12:13], -1
	s_and_saveexec_b64 s[84:85], s[8:9]
; %bb.126:                              ;   in Loop: Header=BB25_12 Depth=1
	v_cmp_eq_u32_e64 s[8:9], 0, v2
	s_orn2_b64 s[12:13], s[8:9], exec
; %bb.127:                              ;   in Loop: Header=BB25_12 Depth=1
	s_or_b64 exec, exec, s[84:85]
	s_and_b64 exec, exec, s[12:13]
	s_cbranch_execz .LBB25_160
; %bb.128:                              ;   in Loop: Header=BB25_12 Depth=1
	v_add_u32_e32 v3, s88, v181
	v_or_b32_e32 v2, s63, v86
	v_cmp_gt_i32_e64 s[8:9], s36, v3
	v_cmp_gt_i32_e64 s[12:13], s86, v2
	s_and_b64 s[12:13], s[8:9], s[12:13]
	v_mov_b32_e32 v2, 0x47
	s_and_saveexec_b64 s[8:9], s[12:13]
	s_cbranch_execz .LBB25_130
; %bb.129:                              ;   in Loop: Header=BB25_12 Depth=1
	v_mad_u64_u32 v[2:3], s[12:13], v3, s37, v[86:87]
	v_add_u32_e32 v3, 0, v158
	v_add_u32_e32 v10, v143, v158
	ds_read2st64_b32 v[4:5], v3 offset0:1 offset1:18
	ds_read2st64_b32 v[6:7], v10 offset1:17
	ds_read2st64_b32 v[8:9], v3 offset0:35 offset1:52
	ds_read2st64_b32 v[10:11], v10 offset0:34 offset1:51
	v_lshl_add_u32 v2, v2, 6, v46
	v_ashrrev_i32_e32 v3, 31, v2
	s_waitcnt lgkmcnt(2)
	v_cvt_f32_f16_e32 v12, v6
	v_cvt_f32_f16_sdwa v13, v6 dst_sel:DWORD dst_unused:UNUSED_PAD src0_sel:WORD_1
	v_cvt_f32_f16_e32 v6, v7
	v_cvt_f32_f16_sdwa v7, v7 dst_sel:DWORD dst_unused:UNUSED_PAD src0_sel:WORD_1
	v_lshl_add_u64 v[2:3], v[2:3], 3, s[72:73]
	v_pk_fma_f32 v[12:13], v[4:5], v[12:13], 0 op_sel_hi:[0,1,0]
	v_mov_b32_e32 v4, v5
	v_pk_fma_f32 v[4:5], v[4:5], v[6:7], v[12:13] op_sel_hi:[0,1,1]
	s_waitcnt lgkmcnt(0)
	v_cvt_f32_f16_e32 v6, v10
	v_cvt_f32_f16_sdwa v7, v10 dst_sel:DWORD dst_unused:UNUSED_PAD src0_sel:WORD_1
	v_pk_fma_f32 v[4:5], v[8:9], v[6:7], v[4:5] op_sel_hi:[0,1,1]
	v_cvt_f32_f16_e32 v6, v11
	v_cvt_f32_f16_sdwa v7, v11 dst_sel:DWORD dst_unused:UNUSED_PAD src0_sel:WORD_1
	v_mov_b32_e32 v8, v9
	v_pk_fma_f32 v[4:5], v[8:9], v[6:7], v[4:5] op_sel_hi:[0,1,1]
	global_store_dwordx2 v[2:3], v[4:5], off
	v_mov_b32_e32 v2, 0
.LBB25_130:                             ;   in Loop: Header=BB25_12 Depth=1
	s_or_b64 exec, exec, s[8:9]
	s_movk_i32 s8, 0x47
	v_cmp_gt_i32_e64 s[8:9], s8, v2
	s_mov_b64 s[12:13], -1
	s_and_saveexec_b64 s[84:85], s[8:9]
; %bb.131:                              ;   in Loop: Header=BB25_12 Depth=1
	v_cmp_eq_u32_e64 s[8:9], 0, v2
	s_orn2_b64 s[12:13], s[8:9], exec
; %bb.132:                              ;   in Loop: Header=BB25_12 Depth=1
	s_or_b64 exec, exec, s[84:85]
	s_and_b64 exec, exec, s[12:13]
	s_cbranch_execz .LBB25_160
; %bb.133:                              ;   in Loop: Header=BB25_12 Depth=1
	v_add_u32_e32 v3, s88, v182
	v_or_b32_e32 v2, s63, v88
	v_cmp_gt_i32_e64 s[8:9], s36, v3
	v_cmp_gt_i32_e64 s[12:13], s86, v2
	s_and_b64 s[12:13], s[8:9], s[12:13]
	;; [unrolled: 51-line block ×3, first 2 shown]
	v_mov_b32_e32 v2, 0x47
	s_and_saveexec_b64 s[8:9], s[12:13]
	s_cbranch_execz .LBB25_140
; %bb.139:                              ;   in Loop: Header=BB25_12 Depth=1
	v_mad_u64_u32 v[2:3], s[12:13], v3, s37, v[90:91]
	v_add_u32_e32 v3, 0, v160
	v_add_u32_e32 v10, v143, v160
	ds_read2st64_b32 v[4:5], v3 offset0:1 offset1:18
	ds_read2st64_b32 v[6:7], v10 offset1:17
	ds_read2st64_b32 v[8:9], v3 offset0:35 offset1:52
	ds_read2st64_b32 v[10:11], v10 offset0:34 offset1:51
	v_lshl_add_u32 v2, v2, 6, v46
	v_ashrrev_i32_e32 v3, 31, v2
	s_waitcnt lgkmcnt(2)
	v_cvt_f32_f16_e32 v12, v6
	v_cvt_f32_f16_sdwa v13, v6 dst_sel:DWORD dst_unused:UNUSED_PAD src0_sel:WORD_1
	v_cvt_f32_f16_e32 v6, v7
	v_cvt_f32_f16_sdwa v7, v7 dst_sel:DWORD dst_unused:UNUSED_PAD src0_sel:WORD_1
	v_lshl_add_u64 v[2:3], v[2:3], 3, s[72:73]
	v_pk_fma_f32 v[12:13], v[4:5], v[12:13], 0 op_sel_hi:[0,1,0]
	v_mov_b32_e32 v4, v5
	v_pk_fma_f32 v[4:5], v[4:5], v[6:7], v[12:13] op_sel_hi:[0,1,1]
	s_waitcnt lgkmcnt(0)
	v_cvt_f32_f16_e32 v6, v10
	v_cvt_f32_f16_sdwa v7, v10 dst_sel:DWORD dst_unused:UNUSED_PAD src0_sel:WORD_1
	v_pk_fma_f32 v[4:5], v[8:9], v[6:7], v[4:5] op_sel_hi:[0,1,1]
	v_cvt_f32_f16_e32 v6, v11
	v_cvt_f32_f16_sdwa v7, v11 dst_sel:DWORD dst_unused:UNUSED_PAD src0_sel:WORD_1
	v_mov_b32_e32 v8, v9
	v_pk_fma_f32 v[4:5], v[8:9], v[6:7], v[4:5] op_sel_hi:[0,1,1]
	global_store_dwordx2 v[2:3], v[4:5], off
	v_mov_b32_e32 v2, 0
.LBB25_140:                             ;   in Loop: Header=BB25_12 Depth=1
	s_or_b64 exec, exec, s[8:9]
	s_movk_i32 s8, 0x47
	v_cmp_gt_i32_e64 s[8:9], s8, v2
	s_mov_b64 s[12:13], -1
	s_and_saveexec_b64 s[84:85], s[8:9]
; %bb.141:                              ;   in Loop: Header=BB25_12 Depth=1
	v_cmp_eq_u32_e64 s[8:9], 0, v2
	s_orn2_b64 s[12:13], s[8:9], exec
; %bb.142:                              ;   in Loop: Header=BB25_12 Depth=1
	s_or_b64 exec, exec, s[84:85]
	s_and_b64 exec, exec, s[12:13]
	s_cbranch_execz .LBB25_160
; %bb.143:                              ;   in Loop: Header=BB25_12 Depth=1
	v_add_u32_e32 v3, s88, v161
	v_cmp_gt_i32_e64 s[8:9], s36, v3
	s_and_b64 s[12:13], s[8:9], vcc
	v_mov_b32_e32 v2, 0x47
	s_and_saveexec_b64 s[8:9], s[12:13]
	s_cbranch_execz .LBB25_145
; %bb.144:                              ;   in Loop: Header=BB25_12 Depth=1
	v_mad_u64_u32 v[2:3], s[12:13], v3, s37, v[102:103]
	v_add_u32_e32 v3, 0, v162
	v_add_u32_e32 v10, v143, v162
	ds_read2st64_b32 v[4:5], v3 offset0:1 offset1:18
	ds_read2st64_b32 v[6:7], v10 offset1:17
	ds_read2st64_b32 v[8:9], v3 offset0:35 offset1:52
	ds_read2st64_b32 v[10:11], v10 offset0:34 offset1:51
	v_lshl_add_u32 v2, v2, 6, v46
	v_ashrrev_i32_e32 v3, 31, v2
	s_waitcnt lgkmcnt(2)
	v_cvt_f32_f16_e32 v12, v6
	v_cvt_f32_f16_sdwa v13, v6 dst_sel:DWORD dst_unused:UNUSED_PAD src0_sel:WORD_1
	v_cvt_f32_f16_e32 v6, v7
	v_cvt_f32_f16_sdwa v7, v7 dst_sel:DWORD dst_unused:UNUSED_PAD src0_sel:WORD_1
	v_lshl_add_u64 v[2:3], v[2:3], 3, s[72:73]
	v_pk_fma_f32 v[12:13], v[4:5], v[12:13], 0 op_sel_hi:[0,1,0]
	v_mov_b32_e32 v4, v5
	v_pk_fma_f32 v[4:5], v[4:5], v[6:7], v[12:13] op_sel_hi:[0,1,1]
	s_waitcnt lgkmcnt(0)
	v_cvt_f32_f16_e32 v6, v10
	v_cvt_f32_f16_sdwa v7, v10 dst_sel:DWORD dst_unused:UNUSED_PAD src0_sel:WORD_1
	v_pk_fma_f32 v[4:5], v[8:9], v[6:7], v[4:5] op_sel_hi:[0,1,1]
	v_cvt_f32_f16_e32 v6, v11
	v_cvt_f32_f16_sdwa v7, v11 dst_sel:DWORD dst_unused:UNUSED_PAD src0_sel:WORD_1
	v_mov_b32_e32 v8, v9
	v_pk_fma_f32 v[4:5], v[8:9], v[6:7], v[4:5] op_sel_hi:[0,1,1]
	global_store_dwordx2 v[2:3], v[4:5], off
	v_mov_b32_e32 v2, 0
.LBB25_145:                             ;   in Loop: Header=BB25_12 Depth=1
	s_or_b64 exec, exec, s[8:9]
	s_movk_i32 s8, 0x47
	v_cmp_gt_i32_e32 vcc, s8, v2
	s_mov_b64 s[8:9], -1
	s_and_saveexec_b64 s[12:13], vcc
; %bb.146:                              ;   in Loop: Header=BB25_12 Depth=1
	v_cmp_eq_u32_e32 vcc, 0, v2
	s_orn2_b64 s[8:9], vcc, exec
; %bb.147:                              ;   in Loop: Header=BB25_12 Depth=1
	s_or_b64 exec, exec, s[12:13]
	s_and_b64 exec, exec, s[8:9]
	s_cbranch_execz .LBB25_160
; %bb.148:                              ;   in Loop: Header=BB25_12 Depth=1
	v_add_u32_e32 v3, s88, v184
	v_or_b32_e32 v2, s63, v92
	v_cmp_gt_i32_e32 vcc, s36, v3
	v_cmp_gt_i32_e64 s[8:9], s86, v2
	s_and_b64 s[12:13], vcc, s[8:9]
	v_mov_b32_e32 v2, 0x47
	s_and_saveexec_b64 s[8:9], s[12:13]
	s_cbranch_execz .LBB25_150
; %bb.149:                              ;   in Loop: Header=BB25_12 Depth=1
	v_mad_u64_u32 v[2:3], s[12:13], v3, s37, v[92:93]
	v_add_u32_e32 v3, 0, v163
	v_add_u32_e32 v10, v143, v163
	ds_read2st64_b32 v[4:5], v3 offset0:1 offset1:18
	ds_read2st64_b32 v[6:7], v10 offset1:17
	ds_read2st64_b32 v[8:9], v3 offset0:35 offset1:52
	ds_read2st64_b32 v[10:11], v10 offset0:34 offset1:51
	v_lshl_add_u32 v2, v2, 6, v46
	v_ashrrev_i32_e32 v3, 31, v2
	s_waitcnt lgkmcnt(2)
	v_cvt_f32_f16_e32 v12, v6
	v_cvt_f32_f16_sdwa v13, v6 dst_sel:DWORD dst_unused:UNUSED_PAD src0_sel:WORD_1
	v_cvt_f32_f16_e32 v6, v7
	v_cvt_f32_f16_sdwa v7, v7 dst_sel:DWORD dst_unused:UNUSED_PAD src0_sel:WORD_1
	v_lshl_add_u64 v[2:3], v[2:3], 3, s[72:73]
	v_pk_fma_f32 v[12:13], v[4:5], v[12:13], 0 op_sel_hi:[0,1,0]
	v_mov_b32_e32 v4, v5
	v_pk_fma_f32 v[4:5], v[4:5], v[6:7], v[12:13] op_sel_hi:[0,1,1]
	s_waitcnt lgkmcnt(0)
	v_cvt_f32_f16_e32 v6, v10
	v_cvt_f32_f16_sdwa v7, v10 dst_sel:DWORD dst_unused:UNUSED_PAD src0_sel:WORD_1
	v_pk_fma_f32 v[4:5], v[8:9], v[6:7], v[4:5] op_sel_hi:[0,1,1]
	v_cvt_f32_f16_e32 v6, v11
	v_cvt_f32_f16_sdwa v7, v11 dst_sel:DWORD dst_unused:UNUSED_PAD src0_sel:WORD_1
	v_mov_b32_e32 v8, v9
	v_pk_fma_f32 v[4:5], v[8:9], v[6:7], v[4:5] op_sel_hi:[0,1,1]
	global_store_dwordx2 v[2:3], v[4:5], off
	v_mov_b32_e32 v2, 0
.LBB25_150:                             ;   in Loop: Header=BB25_12 Depth=1
	s_or_b64 exec, exec, s[8:9]
	s_movk_i32 s8, 0x47
	v_cmp_gt_i32_e32 vcc, s8, v2
	s_mov_b64 s[8:9], -1
	s_and_saveexec_b64 s[12:13], vcc
; %bb.151:                              ;   in Loop: Header=BB25_12 Depth=1
	v_cmp_eq_u32_e32 vcc, 0, v2
	s_orn2_b64 s[8:9], vcc, exec
; %bb.152:                              ;   in Loop: Header=BB25_12 Depth=1
	s_or_b64 exec, exec, s[12:13]
	s_and_b64 exec, exec, s[8:9]
	s_cbranch_execz .LBB25_160
; %bb.153:                              ;   in Loop: Header=BB25_12 Depth=1
	v_add_u32_e32 v3, s88, v185
	v_or_b32_e32 v2, s63, v94
	v_cmp_gt_i32_e32 vcc, s36, v3
	v_cmp_gt_i32_e64 s[8:9], s86, v2
	s_and_b64 s[12:13], vcc, s[8:9]
	;; [unrolled: 51-line block ×3, first 2 shown]
	s_and_b64 exec, exec, s[8:9]
	s_cbranch_execz .LBB25_160
; %bb.159:                              ;   in Loop: Header=BB25_12 Depth=1
	v_mad_u64_u32 v[2:3], s[8:9], v2, s37, v[96:97]
	v_add_u32_e32 v3, 0, v165
	v_add_u32_e32 v10, v143, v165
	ds_read2st64_b32 v[4:5], v3 offset0:1 offset1:18
	ds_read2st64_b32 v[6:7], v10 offset1:17
	ds_read2st64_b32 v[8:9], v3 offset0:35 offset1:52
	ds_read2st64_b32 v[10:11], v10 offset0:34 offset1:51
	v_lshl_add_u32 v2, v2, 6, v46
	v_ashrrev_i32_e32 v3, 31, v2
	s_waitcnt lgkmcnt(2)
	v_cvt_f32_f16_e32 v12, v6
	v_cvt_f32_f16_sdwa v13, v6 dst_sel:DWORD dst_unused:UNUSED_PAD src0_sel:WORD_1
	v_cvt_f32_f16_e32 v6, v7
	v_cvt_f32_f16_sdwa v7, v7 dst_sel:DWORD dst_unused:UNUSED_PAD src0_sel:WORD_1
	v_lshl_add_u64 v[2:3], v[2:3], 3, s[72:73]
	v_pk_fma_f32 v[12:13], v[4:5], v[12:13], 0 op_sel_hi:[0,1,0]
	v_mov_b32_e32 v4, v5
	v_pk_fma_f32 v[4:5], v[4:5], v[6:7], v[12:13] op_sel_hi:[0,1,1]
	s_waitcnt lgkmcnt(0)
	v_cvt_f32_f16_e32 v6, v10
	v_cvt_f32_f16_sdwa v7, v10 dst_sel:DWORD dst_unused:UNUSED_PAD src0_sel:WORD_1
	v_pk_fma_f32 v[4:5], v[8:9], v[6:7], v[4:5] op_sel_hi:[0,1,1]
	v_cvt_f32_f16_e32 v6, v11
	v_cvt_f32_f16_sdwa v7, v11 dst_sel:DWORD dst_unused:UNUSED_PAD src0_sel:WORD_1
	v_mov_b32_e32 v8, v9
	v_pk_fma_f32 v[4:5], v[8:9], v[6:7], v[4:5] op_sel_hi:[0,1,1]
	global_store_dwordx2 v[2:3], v[4:5], off
.LBB25_160:                             ;   in Loop: Header=BB25_12 Depth=1
	s_or_b64 exec, exec, s[82:83]
	s_barrier
	s_branch .LBB25_11
.LBB25_161:                             ;   in Loop: Header=BB25_12 Depth=1
	s_lshl_b32 s82, s11, 2
	v_add_u32_e32 v2, s82, v142
	v_cmp_le_i32_e64 s[8:9], s36, v2
	v_cmp_le_i32_e64 s[12:13], s86, v101
	v_cmp_gt_i32_e32 vcc, s86, v101
	s_or_b64 s[8:9], s[8:9], s[12:13]
	s_and_saveexec_b64 s[12:13], s[8:9]
	s_xor_b64 s[8:9], exec, s[12:13]
; %bb.162:                              ;   in Loop: Header=BB25_12 Depth=1
	v_add_u32_e32 v2, v143, v170
	ds_write_b32 v2, v53
                                        ; implicit-def: $vgpr2
; %bb.163:                              ;   in Loop: Header=BB25_12 Depth=1
	s_andn2_saveexec_b64 s[8:9], s[8:9]
	s_cbranch_execz .LBB25_165
; %bb.164:                              ;   in Loop: Header=BB25_12 Depth=1
	v_mad_u64_u32 v[2:3], s[12:13], v2, s55, v[100:101]
	v_ashrrev_i32_e32 v3, 31, v2
	v_lshl_add_u64 v[2:3], v[2:3], 3, s[80:81]
	global_load_dwordx2 v[2:3], v[2:3], off
	s_waitcnt vmcnt(0)
	v_cvt_pk_f16_f32 v2, v2, v3
	v_pk_mul_f16 v2, v2, v166
	v_add_u32_e32 v3, v143, v170
	ds_write_b32 v3, v2
.LBB25_165:                             ;   in Loop: Header=BB25_12 Depth=1
	s_or_b64 exec, exec, s[8:9]
	v_add_u32_e32 v2, s82, v171
	v_cmp_le_i32_e64 s[8:9], s36, v2
	s_xor_b64 s[12:13], vcc, -1
	s_or_b64 s[8:9], s[8:9], s[12:13]
	s_and_saveexec_b64 s[84:85], s[8:9]
	s_xor_b64 s[8:9], exec, s[84:85]
; %bb.166:                              ;   in Loop: Header=BB25_12 Depth=1
	v_add_u32_e32 v2, v143, v170
	ds_write_b32 v2, v53 offset:1088
                                        ; implicit-def: $vgpr2
; %bb.167:                              ;   in Loop: Header=BB25_12 Depth=1
	s_andn2_saveexec_b64 s[8:9], s[8:9]
	s_cbranch_execz .LBB25_169
; %bb.168:                              ;   in Loop: Header=BB25_12 Depth=1
	v_mad_u64_u32 v[2:3], s[84:85], v2, s55, v[100:101]
	v_ashrrev_i32_e32 v3, 31, v2
	v_lshl_add_u64 v[2:3], v[2:3], 3, s[80:81]
	global_load_dwordx2 v[2:3], v[2:3], off
	s_waitcnt vmcnt(0)
	v_cvt_pk_f16_f32 v2, v2, v3
	v_pk_mul_f16 v2, v2, v166
	v_add_u32_e32 v3, v143, v170
	ds_write_b32 v3, v2 offset:1088
.LBB25_169:                             ;   in Loop: Header=BB25_12 Depth=1
	s_or_b64 exec, exec, s[8:9]
	v_add_u32_e32 v2, s82, v172
	v_cmp_le_i32_e32 vcc, s36, v2
	s_or_b64 s[8:9], vcc, s[12:13]
	s_and_saveexec_b64 s[84:85], s[8:9]
	s_xor_b64 s[8:9], exec, s[84:85]
; %bb.170:                              ;   in Loop: Header=BB25_12 Depth=1
	v_add_u32_e32 v2, v143, v170
	ds_write_b32 v2, v53 offset:2176
                                        ; implicit-def: $vgpr2
; %bb.171:                              ;   in Loop: Header=BB25_12 Depth=1
	s_andn2_saveexec_b64 s[8:9], s[8:9]
	s_cbranch_execz .LBB25_173
; %bb.172:                              ;   in Loop: Header=BB25_12 Depth=1
	v_mad_u64_u32 v[2:3], s[84:85], v2, s55, v[100:101]
	v_ashrrev_i32_e32 v3, 31, v2
	v_lshl_add_u64 v[2:3], v[2:3], 3, s[80:81]
	global_load_dwordx2 v[2:3], v[2:3], off
	s_waitcnt vmcnt(0)
	v_cvt_pk_f16_f32 v2, v2, v3
	v_pk_mul_f16 v2, v2, v166
	v_add_u32_e32 v3, v143, v170
	ds_write_b32 v3, v2 offset:2176
.LBB25_173:                             ;   in Loop: Header=BB25_12 Depth=1
	s_or_b64 exec, exec, s[8:9]
	v_add_u32_e32 v2, s82, v173
	v_cmp_le_i32_e32 vcc, s36, v2
	s_or_b64 s[8:9], vcc, s[12:13]
	s_and_saveexec_b64 s[12:13], s[8:9]
	s_xor_b64 s[8:9], exec, s[12:13]
; %bb.174:                              ;   in Loop: Header=BB25_12 Depth=1
	v_add_u32_e32 v2, v143, v170
	ds_write_b32 v2, v53 offset:3264
                                        ; implicit-def: $vgpr2
; %bb.175:                              ;   in Loop: Header=BB25_12 Depth=1
	s_andn2_saveexec_b64 s[8:9], s[8:9]
	s_cbranch_execz .LBB25_177
; %bb.176:                              ;   in Loop: Header=BB25_12 Depth=1
	v_mad_u64_u32 v[2:3], s[12:13], v2, s55, v[100:101]
	v_ashrrev_i32_e32 v3, 31, v2
	v_lshl_add_u64 v[2:3], v[2:3], 3, s[80:81]
	global_load_dwordx2 v[2:3], v[2:3], off
	s_waitcnt vmcnt(0)
	v_cvt_pk_f16_f32 v2, v2, v3
	v_pk_mul_f16 v2, v2, v166
	v_add_u32_e32 v3, v143, v170
	ds_write_b32 v3, v2 offset:3264
.LBB25_177:                             ;   in Loop: Header=BB25_12 Depth=1
	s_or_b64 exec, exec, s[8:9]
	s_waitcnt lgkmcnt(0)
	s_barrier
	ds_read2_b64 v[14:17], v87 offset1:4
	ds_read2_b64 v[10:13], v87 offset0:8 offset1:12
	ds_read2_b64 v[6:9], v87 offset0:16 offset1:20
	;; [unrolled: 1-line block ×3, first 2 shown]
	s_cmp_lt_i32 s98, 2
	s_waitcnt lgkmcnt(0)
	s_barrier
	s_cbranch_scc1 .LBB25_198
; %bb.178:                              ;   in Loop: Header=BB25_12 Depth=1
	v_add_u32_e32 v18, s82, v89
	v_mul_hi_u32 v19, s34, v18
	v_add_u32_e32 v19, v18, v19
	v_lshrrev_b32_e32 v19, s35, v19
	v_mul_lo_u32 v19, v19, s36
	v_sub_u32_e32 v20, v18, v19
	v_and_b32_e32 v18, 64, v188
	v_add_u32_e32 v18, 64, v18
	v_xor_b32_e32 v19, 32, v188
	v_cmp_lt_i32_e32 vcc, v19, v18
	v_readlane_b32 s8, v200, 24
	v_readlane_b32 s9, v200, 25
	v_cndmask_b32_e32 v19, v188, v19, vcc
	v_lshlrev_b32_e32 v52, 2, v19
	v_xor_b32_e32 v19, 16, v188
	v_cmp_lt_i32_e32 vcc, v19, v18
	s_add_i32 s11, s98, -1
	v_mov_b32_e32 v140, 0
	v_cndmask_b32_e32 v18, v188, v19, vcc
	v_lshlrev_b32_e32 v191, 2, v18
	v_mov_b64_e32 v[18:19], s[78:79]
	v_mad_i64_i32 v[18:19], s[8:9], s8, v20, v[18:19]
	s_add_u32 s8, s42, s53
	s_addc_u32 s9, s60, s10
	v_lshl_add_u64 v[124:125], v[106:107], 0, s[8:9]
	v_lshl_add_u64 v[126:127], v[108:109], 0, s[8:9]
	v_lshl_add_u64 v[128:129], v[110:111], 0, s[8:9]
	v_lshl_add_u64 v[130:131], v[112:113], 0, s[8:9]
	s_add_u32 s8, s59, s56
	s_addc_u32 s9, s99, s66
	v_lshl_add_u64 v[122:123], v[104:105], 0, v[18:19]
	v_lshl_add_u64 v[132:133], v[114:115], 0, s[8:9]
	;; [unrolled: 1-line block ×5, first 2 shown]
	v_mov_b32_e32 v23, 0xfeffffff
	v_mov_b32_e32 v22, 0
	s_mov_b32 s10, s11
	v_mov_b32_e32 v141, 0
	v_mov_b32_e32 v43, 0
	;; [unrolled: 1-line block ×15, first 2 shown]
	s_and_saveexec_b64 s[8:9], s[4:5]
	s_cbranch_execz .LBB25_180
.LBB25_179:                             ;   in Loop: Header=BB25_12 Depth=1
	global_load_dword v18, v[122:123], off
	s_waitcnt vmcnt(0)
	ds_write_b32 v91, v18 offset:17408
.LBB25_180:                             ;   Parent Loop BB25_12 Depth=1
                                        ; =>  This Inner Loop Header: Depth=2
	s_or_b64 exec, exec, s[8:9]
	v_lshl_add_u64 v[18:19], v[132:133], 0, v[72:73]
	global_load_dwordx4 v[18:21], v[18:19], off
	v_lshl_add_u64 v[32:33], v[134:135], 0, v[72:73]
	v_lshl_add_u64 v[36:37], v[136:137], 0, v[72:73]
	;; [unrolled: 1-line block ×3, first 2 shown]
	s_waitcnt vmcnt(0)
	ds_write_b128 v93, v[18:21]
	global_load_dwordx4 v[18:21], v[32:33], off
                                        ; implicit-def: $vgpr32
	s_waitcnt vmcnt(0)
	ds_write_b128 v167, v[18:21]
	global_load_dwordx4 v[18:21], v[36:37], off
	s_waitcnt vmcnt(0)
	ds_write_b128 v168, v[18:21]
	global_load_dwordx4 v[18:21], v[40:41], off
	s_waitcnt vmcnt(0)
	ds_write_b128 v169, v[18:21]
	s_waitcnt lgkmcnt(0)
	s_barrier
	ds_read2_b64 v[18:21], v95 offset1:4
	s_waitcnt lgkmcnt(0)
	v_mfma_f32_16x16x16_f16 v[192:195], v[18:19], v[14:15], 0
	v_mfma_f32_16x16x16_f16 v[18:21], v[20:21], v[16:17], v[192:195]
	s_nop 6
	ds_read2_b64 v[192:195], v95 offset0:8 offset1:12
	s_waitcnt lgkmcnt(0)
	v_mfma_f32_16x16x16_f16 v[18:21], v[192:193], v[10:11], v[18:21]
	v_mfma_f32_16x16x16_f16 v[18:21], v[194:195], v[12:13], v[18:21]
	ds_read2_b64 v[192:195], v95 offset0:16 offset1:20
	s_waitcnt lgkmcnt(0)
	v_mfma_f32_16x16x16_f16 v[18:21], v[192:193], v[6:7], v[18:21]
	v_mfma_f32_16x16x16_f16 v[18:21], v[194:195], v[8:9], v[18:21]
	ds_read2_b64 v[192:195], v95 offset0:24 offset1:28
	s_waitcnt lgkmcnt(0)
	s_barrier
	v_mfma_f32_16x16x16_f16 v[18:21], v[192:193], v[2:3], v[18:21]
	v_mfma_f32_16x16x16_f16 v[18:21], v[194:195], v[4:5], v[18:21]
	s_nop 7
	v_cmp_nlt_f32_e64 s[8:9], |v18|, s45
	s_and_saveexec_b64 s[12:13], s[8:9]
	s_xor_b64 s[8:9], exec, s[12:13]
	s_cbranch_execz .LBB25_182
; %bb.181:                              ;   in Loop: Header=BB25_180 Depth=2
	v_add_f32_e64 v32, |v18|, |v18|
	v_mul_f32_e32 v33, 0x3fb8aa3b, v32
	v_rndne_f32_e32 v36, v33
	v_sub_f32_e32 v37, v33, v36
	v_fma_f32 v33, v32, s67, -v33
	v_fmac_f32_e32 v33, 0x32a5705f, v32
	v_add_f32_e32 v33, v37, v33
	v_cvt_i32_f32_e32 v36, v36
	v_exp_f32_e32 v33, v33
	v_cmp_ngt_f32_e32 vcc, s33, v32
	v_ldexp_f32 v33, v33, v36
	s_nop 0
	v_cndmask_b32_e32 v33, 0, v33, vcc
	v_cmp_nlt_f32_e32 vcc, s87, v32
	s_nop 1
	v_cndmask_b32_e32 v32, v189, v33, vcc
	v_add_f32_e32 v32, 1.0, v32
	v_rcp_f32_e32 v32, v32
	s_nop 0
	v_fma_f32 v32, v32, -2.0, 1.0
.LBB25_182:                             ;   in Loop: Header=BB25_180 Depth=2
	s_andn2_saveexec_b64 s[8:9], s[8:9]
; %bb.183:                              ;   in Loop: Header=BB25_180 Depth=2
	v_mul_f32_e32 v32, v18, v18
	v_fmamk_f32 v33, v32, 0xbbbac73d, v187
	v_fmaak_f32 v33, v32, v33, 0xbd5c1c4e
	v_fmaak_f32 v33, v32, v33, 0x3e088382
	;; [unrolled: 1-line block ×3, first 2 shown]
	v_mul_f32_e64 v33, |v18|, v33
	v_fma_f32 v32, v32, v33, |v18|
; %bb.184:                              ;   in Loop: Header=BB25_180 Depth=2
	s_or_b64 exec, exec, s[8:9]
	v_cmp_nlt_f32_e64 s[8:9], |v19|, s45
                                        ; implicit-def: $vgpr33
	s_and_saveexec_b64 s[12:13], s[8:9]
	s_xor_b64 s[8:9], exec, s[12:13]
	s_cbranch_execz .LBB25_186
; %bb.185:                              ;   in Loop: Header=BB25_180 Depth=2
	v_add_f32_e64 v33, |v19|, |v19|
	v_mul_f32_e32 v36, 0x3fb8aa3b, v33
	v_rndne_f32_e32 v37, v36
	v_sub_f32_e32 v40, v36, v37
	v_fma_f32 v36, v33, s67, -v36
	v_fmac_f32_e32 v36, 0x32a5705f, v33
	v_add_f32_e32 v36, v40, v36
	v_cvt_i32_f32_e32 v37, v37
	v_exp_f32_e32 v36, v36
	v_cmp_ngt_f32_e32 vcc, s33, v33
	v_ldexp_f32 v36, v36, v37
	s_nop 0
	v_cndmask_b32_e32 v36, 0, v36, vcc
	v_cmp_nlt_f32_e32 vcc, s87, v33
	s_nop 1
	v_cndmask_b32_e32 v33, v189, v36, vcc
	v_add_f32_e32 v33, 1.0, v33
	v_rcp_f32_e32 v33, v33
	s_nop 0
	v_fma_f32 v33, v33, -2.0, 1.0
.LBB25_186:                             ;   in Loop: Header=BB25_180 Depth=2
	s_andn2_saveexec_b64 s[8:9], s[8:9]
; %bb.187:                              ;   in Loop: Header=BB25_180 Depth=2
	v_mul_f32_e32 v33, v19, v19
	v_fmamk_f32 v36, v33, 0xbbbac73d, v187
	v_fmaak_f32 v36, v33, v36, 0xbd5c1c4e
	v_fmaak_f32 v36, v33, v36, 0x3e088382
	;; [unrolled: 1-line block ×3, first 2 shown]
	v_mul_f32_e64 v36, |v19|, v36
	v_fma_f32 v33, v33, v36, |v19|
; %bb.188:                              ;   in Loop: Header=BB25_180 Depth=2
	s_or_b64 exec, exec, s[8:9]
	v_cmp_nlt_f32_e64 s[8:9], |v20|, s45
                                        ; implicit-def: $vgpr36
	s_and_saveexec_b64 s[12:13], s[8:9]
	s_xor_b64 s[8:9], exec, s[12:13]
	s_cbranch_execz .LBB25_190
; %bb.189:                              ;   in Loop: Header=BB25_180 Depth=2
	v_add_f32_e64 v36, |v20|, |v20|
	v_mul_f32_e32 v37, 0x3fb8aa3b, v36
	v_rndne_f32_e32 v40, v37
	v_sub_f32_e32 v41, v37, v40
	v_fma_f32 v37, v36, s67, -v37
	v_fmac_f32_e32 v37, 0x32a5705f, v36
	v_add_f32_e32 v37, v41, v37
	v_cvt_i32_f32_e32 v40, v40
	v_exp_f32_e32 v37, v37
	v_cmp_ngt_f32_e32 vcc, s33, v36
	v_ldexp_f32 v37, v37, v40
	s_nop 0
	v_cndmask_b32_e32 v37, 0, v37, vcc
	v_cmp_nlt_f32_e32 vcc, s87, v36
	s_nop 1
	v_cndmask_b32_e32 v36, v189, v37, vcc
	v_add_f32_e32 v36, 1.0, v36
	v_rcp_f32_e32 v36, v36
	s_nop 0
	v_fma_f32 v36, v36, -2.0, 1.0
.LBB25_190:                             ;   in Loop: Header=BB25_180 Depth=2
	s_andn2_saveexec_b64 s[8:9], s[8:9]
; %bb.191:                              ;   in Loop: Header=BB25_180 Depth=2
	v_mul_f32_e32 v36, v20, v20
	v_fmamk_f32 v37, v36, 0xbbbac73d, v187
	v_fmaak_f32 v37, v36, v37, 0xbd5c1c4e
	v_fmaak_f32 v37, v36, v37, 0x3e088382
	;; [unrolled: 1-line block ×3, first 2 shown]
	v_mul_f32_e64 v37, |v20|, v37
	v_fma_f32 v36, v36, v37, |v20|
; %bb.192:                              ;   in Loop: Header=BB25_180 Depth=2
	s_or_b64 exec, exec, s[8:9]
	v_cmp_nlt_f32_e64 s[8:9], |v21|, s45
                                        ; implicit-def: $vgpr37
	s_and_saveexec_b64 s[12:13], s[8:9]
	s_xor_b64 s[8:9], exec, s[12:13]
	s_cbranch_execz .LBB25_194
; %bb.193:                              ;   in Loop: Header=BB25_180 Depth=2
	v_add_f32_e64 v37, |v21|, |v21|
	v_mul_f32_e32 v40, 0x3fb8aa3b, v37
	v_rndne_f32_e32 v41, v40
	v_sub_f32_e32 v44, v40, v41
	v_fma_f32 v40, v37, s67, -v40
	v_fmac_f32_e32 v40, 0x32a5705f, v37
	v_add_f32_e32 v40, v44, v40
	v_cvt_i32_f32_e32 v41, v41
	v_exp_f32_e32 v40, v40
	v_cmp_ngt_f32_e32 vcc, s33, v37
	v_ldexp_f32 v40, v40, v41
	s_nop 0
	v_cndmask_b32_e32 v40, 0, v40, vcc
	v_cmp_nlt_f32_e32 vcc, s87, v37
	s_nop 1
	v_cndmask_b32_e32 v37, v189, v40, vcc
	v_add_f32_e32 v37, 1.0, v37
	v_rcp_f32_e32 v37, v37
	s_nop 0
	v_fma_f32 v37, v37, -2.0, 1.0
.LBB25_194:                             ;   in Loop: Header=BB25_180 Depth=2
	s_andn2_saveexec_b64 s[8:9], s[8:9]
; %bb.195:                              ;   in Loop: Header=BB25_180 Depth=2
	v_mul_f32_e32 v37, v21, v21
	v_fmamk_f32 v40, v37, 0xbbbac73d, v187
	v_fmaak_f32 v40, v37, v40, 0xbd5c1c4e
	v_fmaak_f32 v40, v37, v40, 0x3e088382
	;; [unrolled: 1-line block ×3, first 2 shown]
	v_mul_f32_e64 v40, |v21|, v40
	v_fma_f32 v37, v37, v40, |v21|
; %bb.196:                              ;   in Loop: Header=BB25_180 Depth=2
	s_or_b64 exec, exec, s[8:9]
	v_bfi_b32 v32, s2, v32, v18
	v_add_u32_e32 v18, 0x4400, v97
	v_bfi_b32 v33, s2, v33, v19
	ds_read2_b32 v[18:19], v18 offset1:1
	v_bfi_b32 v20, s2, v36, v20
	v_bfi_b32 v21, s2, v37, v21
	v_lshl_add_u64 v[40:41], v[126:127], 0, v[72:73]
	v_lshl_add_u64 v[44:45], v[128:129], 0, v[72:73]
	s_waitcnt lgkmcnt(0)
	v_fma_mix_f32 v32, s3, v32, v18 op_sel_hi:[0,0,1]
	v_fma_mix_f32 v18, s3, v33, v18 op_sel:[0,0,1] op_sel_hi:[0,0,1]
	v_fma_mix_f32 v20, s3, v20, v19 op_sel_hi:[0,0,1]
	v_fma_mix_f32 v19, s3, v21, v19 op_sel:[0,0,1] op_sel_hi:[0,0,1]
	v_add_f32_e32 v21, 0x40051340, v32
	v_add_f32_e32 v33, 0x40051340, v18
	v_max3_f32 v21, v23, v21, v33
	v_add_f32_e32 v33, 0x40051340, v20
	v_add_f32_e32 v36, 0x40051340, v19
	v_max3_f32 v21, v21, v33, v36
	ds_bpermute_b32 v33, v52, v21
	s_add_i32 s10, s10, -1
	s_mov_b64 s[8:9], 0x80
	v_lshl_add_u64 v[122:123], v[122:123], 0, s[8:9]
	v_lshl_add_u64 v[126:127], v[126:127], 0, s[68:69]
	s_waitcnt lgkmcnt(0)
	v_max_f32_e32 v33, v33, v33
	v_max_f32_e32 v21, v21, v33
	ds_bpermute_b32 v33, v191, v21
	v_lshl_add_u64 v[128:129], v[128:129], 0, s[68:69]
	v_lshl_add_u64 v[132:133], v[132:133], 0, s[70:71]
	;; [unrolled: 1-line block ×4, first 2 shown]
	s_waitcnt lgkmcnt(0)
	v_max_f32_e32 v33, v33, v33
	v_max_f32_e32 v101, v21, v33
	v_sub_f32_e32 v21, v32, v101
	v_mul_f32_e32 v32, 0x3fb8aa3b, v21
	v_fma_f32 v33, v21, s67, -v32
	v_rndne_f32_e32 v36, v32
	v_fmac_f32_e32 v33, 0x32a5705f, v21
	v_sub_f32_e32 v32, v32, v36
	v_add_f32_e32 v32, v32, v33
	v_exp_f32_e32 v32, v32
	v_cvt_i32_f32_e32 v33, v36
	v_cmp_ngt_f32_e32 vcc, s33, v21
	v_sub_f32_e32 v18, v18, v101
	v_sub_f32_e32 v20, v20, v101
	v_ldexp_f32 v32, v32, v33
	v_cndmask_b32_e32 v32, 0, v32, vcc
	v_cmp_nlt_f32_e32 vcc, s87, v21
	v_mul_f32_e32 v21, 0x3fb8aa3b, v18
	v_fma_f32 v33, v18, s67, -v21
	v_rndne_f32_e32 v36, v21
	v_fmac_f32_e32 v33, 0x32a5705f, v18
	v_sub_f32_e32 v21, v21, v36
	v_add_f32_e32 v21, v21, v33
	v_exp_f32_e32 v21, v21
	v_cvt_i32_f32_e32 v33, v36
	v_cndmask_b32_e32 v32, v189, v32, vcc
	v_cmp_ngt_f32_e32 vcc, s33, v18
	v_sub_f32_e32 v19, v19, v101
	v_ldexp_f32 v21, v21, v33
	v_cndmask_b32_e32 v21, 0, v21, vcc
	v_cmp_nlt_f32_e32 vcc, s87, v18
	v_lshl_add_u64 v[138:139], v[138:139], 0, s[70:71]
	s_cmp_lg_u32 s10, 0
	v_cndmask_b32_e32 v33, v189, v21, vcc
	v_mul_f32_e32 v21, 0x3fb8aa3b, v20
	v_fma_f32 v36, v20, s67, -v21
	v_rndne_f32_e32 v37, v21
	v_fmac_f32_e32 v36, 0x32a5705f, v20
	v_sub_f32_e32 v21, v21, v37
	v_add_f32_e32 v21, v21, v36
	v_exp_f32_e32 v21, v21
	v_cvt_i32_f32_e32 v36, v37
	v_cmp_ngt_f32_e32 vcc, s33, v20
	v_add_f32_e32 v18, v32, v33
	v_ldexp_f32 v21, v21, v36
	v_cndmask_b32_e32 v21, 0, v21, vcc
	v_cmp_nlt_f32_e32 vcc, s87, v20
	v_mul_f32_e32 v20, 0x3fb8aa3b, v19
	v_rndne_f32_e32 v37, v20
	v_cndmask_b32_e32 v36, v189, v21, vcc
	v_fma_f32 v21, v19, s67, -v20
	v_fmac_f32_e32 v21, 0x32a5705f, v19
	v_sub_f32_e32 v20, v20, v37
	v_add_f32_e32 v20, v20, v21
	v_exp_f32_e32 v20, v20
	v_cvt_i32_f32_e32 v21, v37
	v_cmp_ngt_f32_e32 vcc, s33, v19
	v_add_f32_e32 v18, v36, v18
	v_ldexp_f32 v20, v20, v21
	v_cndmask_b32_e32 v20, 0, v20, vcc
	v_cmp_nlt_f32_e32 vcc, s87, v19
	s_nop 1
	v_cndmask_b32_e32 v37, v189, v20, vcc
	v_add_f32_e32 v190, v37, v18
	v_sub_f32_e32 v18, v23, v101
	v_mul_f32_e32 v19, 0x3fb8aa3b, v18
	v_fma_f32 v20, v18, s67, -v19
	v_rndne_f32_e32 v21, v19
	v_fmac_f32_e32 v20, 0x32a5705f, v18
	v_sub_f32_e32 v19, v19, v21
	v_add_f32_e32 v19, v19, v20
	v_exp_f32_e32 v19, v19
	v_cvt_i32_f32_e32 v20, v21
	v_cmp_ngt_f32_e32 vcc, s33, v18
	v_ldexp_f32 v19, v19, v20
	s_nop 0
	v_cndmask_b32_e32 v19, 0, v19, vcc
	v_cmp_nlt_f32_e32 vcc, s87, v18
	s_nop 1
	v_cndmask_b32_e32 v19, v189, v19, vcc
	v_cmp_le_f32_e32 vcc, s44, v18
	s_nop 1
	v_cndmask_b32_e32 v18, 0, v19, vcc
	v_fmac_f32_e32 v190, v22, v18
	v_cvt_f16_f32_e32 v18, v18
	v_mul_u32_u24_e32 v18, 0x10001, v18
	v_pk_mul_f16 v29, v29, v18
	v_pk_mul_f16 v25, v25, v18
	v_pk_mul_f16 v23, v28, v18
	v_pk_mul_f16 v22, v24, v18
	v_pk_mul_f16 v27, v27, v18
	v_pk_mul_f16 v26, v26, v18
	v_pk_mul_f16 v31, v31, v18
	v_pk_mul_f16 v30, v30, v18
	v_pk_mul_f16 v35, v35, v18
	v_pk_mul_f16 v34, v34, v18
	v_pk_mul_f16 v39, v39, v18
	v_pk_mul_f16 v38, v38, v18
	v_pk_mul_f16 v43, v43, v18
	v_pk_mul_f16 v42, v42, v18
	v_pk_mul_f16 v193, v140, v18
	v_pk_mul_f16 v192, v141, v18
	v_lshl_add_u64 v[18:19], v[124:125], 0, v[72:73]
	global_load_dwordx4 v[18:21], v[18:19], off
	v_lshl_add_u64 v[140:141], v[130:131], 0, v[72:73]
	v_cvt_f32_f16_e32 v194, v23
	v_cvt_f32_f16_sdwa v195, v23 dst_sel:DWORD dst_unused:UNUSED_PAD src0_sel:WORD_1
	v_cvt_f32_f16_e32 v196, v22
	v_cvt_f32_f16_sdwa v197, v22 dst_sel:DWORD dst_unused:UNUSED_PAD src0_sel:WORD_1
	v_lshl_add_u64 v[124:125], v[124:125], 0, s[68:69]
	v_lshl_add_u64 v[130:131], v[130:131], 0, s[68:69]
	s_waitcnt vmcnt(0)
	ds_write_b128 v93, v[18:21]
	global_load_dwordx4 v[18:21], v[40:41], off
	s_waitcnt vmcnt(0)
	ds_write_b128 v167, v[18:21]
	global_load_dwordx4 v[18:21], v[44:45], off
	;; [unrolled: 3-line block ×3, first 2 shown]
	v_cvt_pk_f16_f32 v140, v32, v33
	v_cvt_pk_f16_f32 v141, v36, v37
	s_waitcnt vmcnt(0)
	ds_write_b128 v169, v[18:21]
	s_waitcnt lgkmcnt(0)
	s_barrier
	ds_read_u16 v18, v99 offset:272
	ds_read_u16 v19, v99 offset:544
	ds_read_u16 v20, v103
	ds_read_u16 v24, v103 offset:32
	v_cvt_f32_f16_sdwa v21, v25 dst_sel:DWORD dst_unused:UNUSED_PAD src0_sel:WORD_1
	s_waitcnt lgkmcnt(1)
	v_perm_b32 v33, v20, v19, s62
	ds_read_u16 v19, v99
	ds_read_u16 v28, v99 offset:32
	v_cvt_f32_f16_e32 v20, v25
	s_waitcnt lgkmcnt(1)
	v_perm_b32 v32, v18, v19, s62
	v_cvt_f32_f16_e32 v18, v29
	v_cvt_f32_f16_sdwa v19, v29 dst_sel:DWORD dst_unused:UNUSED_PAD src0_sel:WORD_1
	ds_read_u16 v29, v99 offset:304
	ds_read_u16 v25, v99 offset:576
	v_mfma_f32_16x16x16_f16 v[18:21], v[32:33], v[140:141], v[18:21]
	s_waitcnt lgkmcnt(0)
	v_perm_b32 v25, v24, v25, s62
	v_perm_b32 v24, v29, v28, s62
	ds_read_u16 v28, v99 offset:64
	ds_read_u16 v32, v99 offset:336
	;; [unrolled: 1-line block ×4, first 2 shown]
	v_mfma_f32_16x16x16_f16 v[22:25], v[24:25], v[140:141], v[194:197]
	s_waitcnt lgkmcnt(0)
	v_perm_b32 v29, v33, v29, s62
	v_perm_b32 v28, v32, v28, s62
	ds_read_u16 v32, v99 offset:96
	ds_read_u16 v36, v99 offset:368
	;; [unrolled: 1-line block ×4, first 2 shown]
	v_cvt_f32_f16_e32 v194, v27
	v_cvt_f32_f16_sdwa v195, v27 dst_sel:DWORD dst_unused:UNUSED_PAD src0_sel:WORD_1
	v_cvt_f32_f16_e32 v196, v26
	v_cvt_f32_f16_sdwa v197, v26 dst_sel:DWORD dst_unused:UNUSED_PAD src0_sel:WORD_1
	s_waitcnt lgkmcnt(0)
	v_perm_b32 v33, v37, v33, s62
	v_perm_b32 v32, v36, v32, s62
	ds_read_u16 v36, v99 offset:128
	ds_read_u16 v40, v99 offset:400
	;; [unrolled: 1-line block ×4, first 2 shown]
	v_mfma_f32_16x16x16_f16 v[26:29], v[28:29], v[140:141], v[194:197]
	v_cvt_pk_f16_f32 v24, v24, v25
	s_waitcnt lgkmcnt(2)
	v_perm_b32 v36, v40, v36, s62
	v_cvt_pk_f16_f32 v25, v20, v21
	v_cvt_f32_f16_e32 v194, v31
	v_cvt_f32_f16_sdwa v195, v31 dst_sel:DWORD dst_unused:UNUSED_PAD src0_sel:WORD_1
	v_cvt_f32_f16_e32 v196, v30
	v_cvt_f32_f16_sdwa v197, v30 dst_sel:DWORD dst_unused:UNUSED_PAD src0_sel:WORD_1
	s_waitcnt lgkmcnt(0)
	v_perm_b32 v37, v41, v37, s62
	ds_read_u16 v40, v99 offset:160
	ds_read_u16 v44, v99 offset:432
	;; [unrolled: 1-line block ×4, first 2 shown]
	v_mfma_f32_16x16x16_f16 v[30:33], v[32:33], v[140:141], v[194:197]
	s_waitcnt lgkmcnt(2)
	v_perm_b32 v40, v44, v40, s62
	v_cvt_pk_f16_f32 v27, v26, v27
	v_cvt_f32_f16_e32 v194, v35
	v_cvt_f32_f16_sdwa v195, v35 dst_sel:DWORD dst_unused:UNUSED_PAD src0_sel:WORD_1
	v_cvt_f32_f16_e32 v196, v34
	v_cvt_f32_f16_sdwa v197, v34 dst_sel:DWORD dst_unused:UNUSED_PAD src0_sel:WORD_1
	s_waitcnt lgkmcnt(0)
	v_perm_b32 v41, v45, v41, s62
	v_cvt_pk_f16_f32 v31, v30, v31
	v_mfma_f32_16x16x16_f16 v[34:37], v[36:37], v[140:141], v[194:197]
	v_cvt_pk_f16_f32 v30, v32, v33
	v_cvt_pk_f16_f32 v26, v28, v29
	s_nop 0
	v_cvt_f32_f16_e32 v194, v39
	v_cvt_f32_f16_sdwa v195, v39 dst_sel:DWORD dst_unused:UNUSED_PAD src0_sel:WORD_1
	v_cvt_f32_f16_e32 v196, v38
	v_cvt_f32_f16_sdwa v197, v38 dst_sel:DWORD dst_unused:UNUSED_PAD src0_sel:WORD_1
	s_nop 0
	v_cvt_pk_f16_f32 v35, v34, v35
	v_cvt_pk_f16_f32 v34, v36, v37
	v_mfma_f32_16x16x16_f16 v[38:41], v[40:41], v[140:141], v[194:197]
	ds_read_u16 v44, v99 offset:192
	s_nop 1
	ds_read_u16 v194, v99 offset:464
	ds_read_u16 v45, v99 offset:736
	;; [unrolled: 1-line block ×3, first 2 shown]
	v_cvt_f32_f16_e32 v196, v42
	v_cvt_f32_f16_sdwa v197, v42 dst_sel:DWORD dst_unused:UNUSED_PAD src0_sel:WORD_1
	s_waitcnt lgkmcnt(2)
	v_perm_b32 v44, v194, v44, s62
	v_cvt_f32_f16_e32 v194, v43
	s_waitcnt lgkmcnt(0)
	v_perm_b32 v45, v195, v45, s62
	v_cvt_f32_f16_sdwa v195, v43 dst_sel:DWORD dst_unused:UNUSED_PAD src0_sel:WORD_1
	v_cvt_pk_f16_f32 v39, v38, v39
	v_cvt_pk_f16_f32 v38, v40, v41
	v_mfma_f32_16x16x16_f16 v[42:45], v[44:45], v[140:141], v[194:197]
	s_nop 2
	ds_read_u16 v194, v99 offset:224
	ds_read_u16 v195, v99 offset:496
	;; [unrolled: 1-line block ×4, first 2 shown]
	v_cvt_pk_f16_f32 v28, v22, v23
	v_cvt_pk_f16_f32 v29, v18, v19
	s_waitcnt lgkmcnt(2)
	v_perm_b32 v198, v195, v194, s62
	v_cvt_f32_f16_e32 v194, v193
	s_waitcnt lgkmcnt(0)
	v_perm_b32 v199, v197, v196, s62
	v_cvt_f32_f16_sdwa v195, v193 dst_sel:DWORD dst_unused:UNUSED_PAD src0_sel:WORD_1
	v_cvt_f32_f16_e32 v196, v192
	v_cvt_f32_f16_sdwa v197, v192 dst_sel:DWORD dst_unused:UNUSED_PAD src0_sel:WORD_1
	v_cvt_pk_f16_f32 v43, v42, v43
	v_cvt_pk_f16_f32 v42, v44, v45
	v_mfma_f32_16x16x16_f16 v[192:195], v[198:199], v[140:141], v[194:197]
	s_barrier
	s_nop 6
	v_cvt_pk_f16_f32 v140, v192, v193
	v_cvt_pk_f16_f32 v141, v194, v195
	s_cbranch_scc0 .LBB25_199
; %bb.197:                              ;   in Loop: Header=BB25_180 Depth=2
	v_mov_b32_e32 v22, v190
	v_mov_b32_e32 v23, v101
	s_and_saveexec_b64 s[8:9], s[4:5]
	s_cbranch_execnz .LBB25_179
	s_branch .LBB25_180
.LBB25_198:                             ;   in Loop: Header=BB25_12 Depth=1
	v_mov_b32_e32 v101, 0xfeffffff
	v_mov_b32_e32 v190, 0
	s_mov_b64 s[8:9], 0
	v_mov_b32_e32 v25, 0
	v_mov_b32_e32 v29, 0
	;; [unrolled: 1-line block ×16, first 2 shown]
	s_and_saveexec_b64 s[12:13], s[4:5]
	s_cbranch_execnz .LBB25_200
	s_branch .LBB25_201
.LBB25_199:                             ;   in Loop: Header=BB25_12 Depth=1
	s_lshl_b32 s60, s11, 6
	s_mov_b64 s[8:9], s[60:61]
	s_and_saveexec_b64 s[12:13], s[4:5]
	s_cbranch_execz .LBB25_201
.LBB25_200:                             ;   in Loop: Header=BB25_12 Depth=1
	v_or_b32_e32 v18, s82, v89
	v_mul_hi_u32 v19, s34, v18
	s_lshl_b64 s[10:11], s[8:9], 1
	v_add_u32_e32 v19, v18, v19
	s_add_u32 s10, s76, s10
	v_lshrrev_b32_e32 v19, s35, v19
	s_addc_u32 s11, s77, s11
	v_mul_lo_u32 v19, v19, s36
	v_readlane_b32 s76, v200, 22
	v_sub_u32_e32 v18, v18, v19
	v_readlane_b32 s77, v200, 23
	v_mad_i64_i32 v[18:19], s[76:77], v18, s76, 0
	v_lshl_add_u64 v[18:19], v[18:19], 1, s[10:11]
	v_lshlrev_b32_e32 v52, 1, v48
	v_lshl_add_u64 v[18:19], v[18:19], 0, v[52:53]
	global_load_dword v18, v[18:19], off
	s_waitcnt vmcnt(0)
	ds_write_b32 v91, v18 offset:17408
.LBB25_201:                             ;   in Loop: Header=BB25_12 Depth=1
	s_or_b64 exec, exec, s[12:13]
	s_mul_i32 s9, s8, s39
	s_mul_hi_u32 s10, s8, s38
	s_add_i32 s11, s10, s9
	s_mul_i32 s10, s8, s38
	s_lshl_b64 s[10:11], s[10:11], 2
	s_add_u32 s10, s96, s10
	s_addc_u32 s11, s97, s11
	v_lshlrev_b32_e32 v52, 2, v50
	v_lshl_add_u64 v[20:21], v[58:59], 2, s[10:11]
	v_lshl_add_u64 v[18:19], v[56:57], 2, s[10:11]
	;; [unrolled: 1-line block ×8, first 2 shown]
	global_load_dwordx4 v[18:21], v[18:19], off
	s_waitcnt vmcnt(0)
	ds_write_b128 v93, v[18:21]
	global_load_dwordx4 v[18:21], v[22:23], off
	s_waitcnt vmcnt(0)
	ds_write_b128 v167, v[18:21]
	;; [unrolled: 3-line block ×4, first 2 shown]
	s_waitcnt lgkmcnt(0)
	s_barrier
	ds_read2_b64 v[18:21], v95 offset1:4
	s_waitcnt lgkmcnt(0)
	v_mfma_f32_16x16x16_f16 v[122:125], v[18:19], v[14:15], 0
	v_mfma_f32_16x16x16_f16 v[14:17], v[20:21], v[16:17], v[122:125]
	ds_read2_b64 v[18:21], v95 offset0:8 offset1:12
	s_waitcnt lgkmcnt(0)
	v_mfma_f32_16x16x16_f16 v[14:17], v[18:19], v[10:11], v[14:17]
	v_mfma_f32_16x16x16_f16 v[10:13], v[20:21], v[12:13], v[14:17]
	s_nop 6
	ds_read2_b64 v[14:17], v95 offset0:16 offset1:20
	s_waitcnt lgkmcnt(0)
	v_mfma_f32_16x16x16_f16 v[10:13], v[14:15], v[6:7], v[10:13]
	v_mfma_f32_16x16x16_f16 v[6:9], v[16:17], v[8:9], v[10:13]
	s_nop 6
	ds_read2_b64 v[10:13], v95 offset0:24 offset1:28
	s_waitcnt lgkmcnt(0)
	v_mfma_f32_16x16x16_f16 v[6:9], v[10:11], v[2:3], v[6:9]
	s_barrier
	v_mfma_f32_16x16x16_f16 v[2:5], v[12:13], v[4:5], v[6:9]
                                        ; implicit-def: $vgpr6
	s_nop 7
	v_cmp_nlt_f32_e64 s[10:11], |v2|, s45
	s_and_saveexec_b64 s[12:13], s[10:11]
	s_xor_b64 s[12:13], exec, s[12:13]
	s_cbranch_execz .LBB25_203
; %bb.202:                              ;   in Loop: Header=BB25_12 Depth=1
	v_add_f32_e64 v6, |v2|, |v2|
	v_mul_f32_e32 v7, 0x3fb8aa3b, v6
	v_rndne_f32_e32 v8, v7
	v_sub_f32_e32 v9, v7, v8
	v_fma_f32 v7, v6, s67, -v7
	v_fmac_f32_e32 v7, 0x32a5705f, v6
	v_add_f32_e32 v7, v9, v7
	v_cvt_i32_f32_e32 v8, v8
	v_exp_f32_e32 v7, v7
	v_cmp_ngt_f32_e32 vcc, s33, v6
	v_ldexp_f32 v7, v7, v8
	s_nop 0
	v_cndmask_b32_e32 v7, 0, v7, vcc
	v_cmp_nlt_f32_e32 vcc, s87, v6
	s_nop 1
	v_cndmask_b32_e32 v6, v189, v7, vcc
	v_add_f32_e32 v6, 1.0, v6
	v_rcp_f32_e32 v6, v6
	s_nop 0
	v_fma_f32 v6, v6, -2.0, 1.0
.LBB25_203:                             ;   in Loop: Header=BB25_12 Depth=1
	s_andn2_saveexec_b64 s[12:13], s[12:13]
; %bb.204:                              ;   in Loop: Header=BB25_12 Depth=1
	v_mul_f32_e32 v6, v2, v2
	v_fmamk_f32 v7, v6, 0xbbbac73d, v187
	v_fmaak_f32 v7, v6, v7, 0xbd5c1c4e
	v_fmaak_f32 v7, v6, v7, 0x3e088382
	v_fmaak_f32 v7, v6, v7, 0xbeaaaa99
	v_mul_f32_e64 v7, |v2|, v7
	v_fma_f32 v6, v6, v7, |v2|
; %bb.205:                              ;   in Loop: Header=BB25_12 Depth=1
	s_or_b64 exec, exec, s[12:13]
	v_cmp_nlt_f32_e64 s[10:11], |v3|, s45
                                        ; implicit-def: $vgpr7
	s_and_saveexec_b64 s[12:13], s[10:11]
	s_xor_b64 s[12:13], exec, s[12:13]
	s_cbranch_execz .LBB25_207
; %bb.206:                              ;   in Loop: Header=BB25_12 Depth=1
	v_add_f32_e64 v7, |v3|, |v3|
	v_mul_f32_e32 v8, 0x3fb8aa3b, v7
	v_rndne_f32_e32 v9, v8
	v_sub_f32_e32 v10, v8, v9
	v_fma_f32 v8, v7, s67, -v8
	v_fmac_f32_e32 v8, 0x32a5705f, v7
	v_add_f32_e32 v8, v10, v8
	v_cvt_i32_f32_e32 v9, v9
	v_exp_f32_e32 v8, v8
	v_cmp_ngt_f32_e32 vcc, s33, v7
	v_ldexp_f32 v8, v8, v9
	s_nop 0
	v_cndmask_b32_e32 v8, 0, v8, vcc
	v_cmp_nlt_f32_e32 vcc, s87, v7
	s_nop 1
	v_cndmask_b32_e32 v7, v189, v8, vcc
	v_add_f32_e32 v7, 1.0, v7
	v_rcp_f32_e32 v7, v7
	s_nop 0
	v_fma_f32 v7, v7, -2.0, 1.0
.LBB25_207:                             ;   in Loop: Header=BB25_12 Depth=1
	s_andn2_saveexec_b64 s[12:13], s[12:13]
; %bb.208:                              ;   in Loop: Header=BB25_12 Depth=1
	v_mul_f32_e32 v7, v3, v3
	v_fmamk_f32 v8, v7, 0xbbbac73d, v187
	v_fmaak_f32 v8, v7, v8, 0xbd5c1c4e
	v_fmaak_f32 v8, v7, v8, 0x3e088382
	;; [unrolled: 1-line block ×3, first 2 shown]
	v_mul_f32_e64 v8, |v3|, v8
	v_fma_f32 v7, v7, v8, |v3|
; %bb.209:                              ;   in Loop: Header=BB25_12 Depth=1
	s_or_b64 exec, exec, s[12:13]
	v_cmp_nlt_f32_e64 s[10:11], |v4|, s45
                                        ; implicit-def: $vgpr8
	s_and_saveexec_b64 s[12:13], s[10:11]
	s_xor_b64 s[12:13], exec, s[12:13]
	s_cbranch_execz .LBB25_211
; %bb.210:                              ;   in Loop: Header=BB25_12 Depth=1
	v_add_f32_e64 v8, |v4|, |v4|
	v_mul_f32_e32 v9, 0x3fb8aa3b, v8
	v_rndne_f32_e32 v10, v9
	v_sub_f32_e32 v11, v9, v10
	v_fma_f32 v9, v8, s67, -v9
	v_fmac_f32_e32 v9, 0x32a5705f, v8
	v_add_f32_e32 v9, v11, v9
	v_cvt_i32_f32_e32 v10, v10
	v_exp_f32_e32 v9, v9
	v_cmp_ngt_f32_e32 vcc, s33, v8
	v_ldexp_f32 v9, v9, v10
	s_nop 0
	v_cndmask_b32_e32 v9, 0, v9, vcc
	v_cmp_nlt_f32_e32 vcc, s87, v8
	s_nop 1
	v_cndmask_b32_e32 v8, v189, v9, vcc
	v_add_f32_e32 v8, 1.0, v8
	v_rcp_f32_e32 v8, v8
	s_nop 0
	v_fma_f32 v8, v8, -2.0, 1.0
.LBB25_211:                             ;   in Loop: Header=BB25_12 Depth=1
	s_andn2_saveexec_b64 s[12:13], s[12:13]
; %bb.212:                              ;   in Loop: Header=BB25_12 Depth=1
	v_mul_f32_e32 v8, v4, v4
	v_fmamk_f32 v9, v8, 0xbbbac73d, v187
	v_fmaak_f32 v9, v8, v9, 0xbd5c1c4e
	v_fmaak_f32 v9, v8, v9, 0x3e088382
	;; [unrolled: 1-line block ×3, first 2 shown]
	v_mul_f32_e64 v9, |v4|, v9
	v_fma_f32 v8, v8, v9, |v4|
; %bb.213:                              ;   in Loop: Header=BB25_12 Depth=1
	s_or_b64 exec, exec, s[12:13]
	v_cmp_nlt_f32_e64 s[10:11], |v5|, s45
                                        ; implicit-def: $vgpr9
	s_and_saveexec_b64 s[12:13], s[10:11]
	s_xor_b64 s[12:13], exec, s[12:13]
	s_cbranch_execz .LBB25_215
; %bb.214:                              ;   in Loop: Header=BB25_12 Depth=1
	v_add_f32_e64 v9, |v5|, |v5|
	v_mul_f32_e32 v10, 0x3fb8aa3b, v9
	v_rndne_f32_e32 v11, v10
	v_sub_f32_e32 v12, v10, v11
	v_fma_f32 v10, v9, s67, -v10
	v_fmac_f32_e32 v10, 0x32a5705f, v9
	v_add_f32_e32 v10, v12, v10
	v_cvt_i32_f32_e32 v11, v11
	v_exp_f32_e32 v10, v10
	v_cmp_ngt_f32_e32 vcc, s33, v9
	v_ldexp_f32 v10, v10, v11
	s_nop 0
	v_cndmask_b32_e32 v10, 0, v10, vcc
	v_cmp_nlt_f32_e32 vcc, s87, v9
	s_nop 1
	v_cndmask_b32_e32 v9, v189, v10, vcc
	v_add_f32_e32 v9, 1.0, v9
	v_rcp_f32_e32 v9, v9
	s_nop 0
	v_fma_f32 v9, v9, -2.0, 1.0
.LBB25_215:                             ;   in Loop: Header=BB25_12 Depth=1
	s_andn2_saveexec_b64 s[12:13], s[12:13]
; %bb.216:                              ;   in Loop: Header=BB25_12 Depth=1
	v_mul_f32_e32 v9, v5, v5
	v_fmamk_f32 v10, v9, 0xbbbac73d, v187
	v_fmaak_f32 v10, v9, v10, 0xbd5c1c4e
	v_fmaak_f32 v10, v9, v10, 0x3e088382
	;; [unrolled: 1-line block ×3, first 2 shown]
	v_mul_f32_e64 v10, |v5|, v10
	v_fma_f32 v9, v9, v10, |v5|
; %bb.217:                              ;   in Loop: Header=BB25_12 Depth=1
	s_or_b64 exec, exec, s[12:13]
	v_bfi_b32 v6, s2, v6, v2
	v_add_u32_e32 v2, 0x4400, v97
	v_bfi_b32 v7, s2, v7, v3
	ds_read2_b32 v[2:3], v2 offset1:1
	v_bfi_b32 v4, s2, v8, v4
	v_bfi_b32 v5, s2, v9, v5
	s_mul_i32 s9, s8, s15
	s_mul_hi_u32 s10, s8, s14
	s_waitcnt lgkmcnt(0)
	v_fma_mix_f32 v6, s3, v6, v2 op_sel_hi:[0,0,1]
	v_fma_mix_f32 v2, s3, v7, v2 op_sel:[0,0,1] op_sel_hi:[0,0,1]
	v_fma_mix_f32 v4, s3, v4, v3 op_sel_hi:[0,0,1]
	v_fma_mix_f32 v3, s3, v5, v3 op_sel:[0,0,1] op_sel_hi:[0,0,1]
	v_add_f32_e32 v5, 0x40051340, v6
	v_add_f32_e32 v7, 0x40051340, v2
	v_max3_f32 v5, v101, v5, v7
	v_add_f32_e32 v7, 0x40051340, v4
	v_add_f32_e32 v8, 0x40051340, v3
	v_max3_f32 v5, v5, v7, v8
	v_and_b32_e32 v7, 64, v188
	v_add_u32_e32 v7, 64, v7
	v_xor_b32_e32 v8, 32, v188
	v_cmp_lt_i32_e32 vcc, v8, v7
	s_add_i32 s9, s10, s9
	s_mul_i32 s8, s8, s14
	v_cndmask_b32_e32 v8, v188, v8, vcc
	v_lshlrev_b32_e32 v22, 2, v8
	ds_bpermute_b32 v8, v22, v5
	s_lshl_b64 s[8:9], s[8:9], 2
	s_add_u32 s8, s64, s8
	s_addc_u32 s9, s65, s9
	s_cmp_lg_u64 s[74:75], 0
	s_waitcnt lgkmcnt(0)
	v_max_f32_e32 v8, v8, v8
	v_max_f32_e32 v5, v5, v8
	v_xor_b32_e32 v8, 16, v188
	v_cmp_lt_i32_e32 vcc, v8, v7
	s_nop 1
	v_cndmask_b32_e32 v7, v188, v8, vcc
	v_lshlrev_b32_e32 v23, 2, v7
	ds_bpermute_b32 v7, v23, v5
	s_waitcnt lgkmcnt(0)
	v_max_f32_e32 v7, v7, v7
	v_max_f32_e32 v20, v5, v7
	v_sub_f32_e32 v5, v6, v20
	v_mul_f32_e32 v6, 0x3fb8aa3b, v5
	v_fma_f32 v7, v5, s67, -v6
	v_rndne_f32_e32 v8, v6
	v_fmac_f32_e32 v7, 0x32a5705f, v5
	v_sub_f32_e32 v6, v6, v8
	v_add_f32_e32 v6, v6, v7
	v_exp_f32_e32 v6, v6
	v_cvt_i32_f32_e32 v7, v8
	v_cmp_ngt_f32_e32 vcc, s33, v5
	v_sub_f32_e32 v2, v2, v20
	v_sub_f32_e32 v4, v4, v20
	v_ldexp_f32 v6, v6, v7
	v_cndmask_b32_e32 v6, 0, v6, vcc
	v_cmp_nlt_f32_e32 vcc, s87, v5
	v_mul_f32_e32 v5, 0x3fb8aa3b, v2
	v_rndne_f32_e32 v7, v5
	v_cndmask_b32_e32 v18, v189, v6, vcc
	v_fma_f32 v6, v2, s67, -v5
	v_fmac_f32_e32 v6, 0x32a5705f, v2
	v_sub_f32_e32 v5, v5, v7
	v_add_f32_e32 v5, v5, v6
	v_exp_f32_e32 v5, v5
	v_cvt_i32_f32_e32 v6, v7
	v_cmp_ngt_f32_e32 vcc, s33, v2
	v_sub_f32_e32 v3, v3, v20
	v_ldexp_f32 v5, v5, v6
	v_cndmask_b32_e32 v5, 0, v5, vcc
	v_cmp_nlt_f32_e32 vcc, s87, v2
	s_nop 1
	v_cndmask_b32_e32 v32, v189, v5, vcc
	v_mul_f32_e32 v5, 0x3fb8aa3b, v4
	v_fma_f32 v6, v4, s67, -v5
	v_rndne_f32_e32 v7, v5
	v_fmac_f32_e32 v6, 0x32a5705f, v4
	v_sub_f32_e32 v5, v5, v7
	v_add_f32_e32 v5, v5, v6
	v_exp_f32_e32 v5, v5
	v_cvt_i32_f32_e32 v6, v7
	v_cmp_ngt_f32_e32 vcc, s33, v4
	v_add_f32_e32 v2, v18, v32
	v_cvt_pk_f16_f32 v18, v18, v32
	v_ldexp_f32 v5, v5, v6
	v_cndmask_b32_e32 v5, 0, v5, vcc
	v_cmp_nlt_f32_e32 vcc, s87, v4
	v_mul_f32_e32 v4, 0x3fb8aa3b, v3
	v_rndne_f32_e32 v6, v4
	v_cndmask_b32_e32 v19, v189, v5, vcc
	v_fma_f32 v5, v3, s67, -v4
	v_fmac_f32_e32 v5, 0x32a5705f, v3
	v_sub_f32_e32 v4, v4, v6
	v_add_f32_e32 v4, v4, v5
	v_exp_f32_e32 v4, v4
	v_cvt_i32_f32_e32 v5, v6
	v_cmp_ngt_f32_e32 vcc, s33, v3
	v_add_f32_e32 v2, v19, v2
	v_ldexp_f32 v4, v4, v5
	v_cndmask_b32_e32 v4, 0, v4, vcc
	v_cmp_nlt_f32_e32 vcc, s87, v3
	s_nop 1
	v_cndmask_b32_e32 v36, v189, v4, vcc
	v_add_f32_e32 v21, v36, v2
	v_sub_f32_e32 v2, v101, v20
	v_mul_f32_e32 v3, 0x3fb8aa3b, v2
	v_fma_f32 v4, v2, s67, -v3
	v_rndne_f32_e32 v5, v3
	v_fmac_f32_e32 v4, 0x32a5705f, v2
	v_sub_f32_e32 v3, v3, v5
	v_add_f32_e32 v3, v3, v4
	v_exp_f32_e32 v3, v3
	v_cvt_i32_f32_e32 v4, v5
	v_cmp_ngt_f32_e32 vcc, s33, v2
	v_cvt_pk_f16_f32 v19, v19, v36
	v_ldexp_f32 v3, v3, v4
	v_cndmask_b32_e32 v3, 0, v3, vcc
	v_cmp_nlt_f32_e32 vcc, s87, v2
	v_lshl_add_u64 v[4:5], v[66:67], 2, s[8:9]
	s_nop 0
	v_cndmask_b32_e32 v3, v189, v3, vcc
	v_cmp_le_f32_e32 vcc, s44, v2
	s_nop 1
	v_cndmask_b32_e32 v2, 0, v3, vcc
	v_fmac_f32_e32 v21, v190, v2
	v_cvt_f16_f32_e32 v2, v2
	v_mul_u32_u24_e32 v2, 0x10001, v2
	v_pk_mul_f16 v33, v29, v2
	v_pk_mul_f16 v29, v25, v2
	;; [unrolled: 1-line block ×16, first 2 shown]
	v_lshl_add_u64 v[2:3], v[64:65], 2, s[8:9]
	v_lshl_add_u64 v[26:27], v[4:5], 0, v[52:53]
	;; [unrolled: 1-line block ×7, first 2 shown]
	global_load_dwordx4 v[2:5], v[2:3], off
	v_cvt_f32_f16_e32 v36, v9
	v_cvt_f32_f16_sdwa v37, v9 dst_sel:DWORD dst_unused:UNUSED_PAD src0_sel:WORD_1
	v_cvt_f32_f16_e32 v38, v8
	v_cvt_f32_f16_sdwa v39, v8 dst_sel:DWORD dst_unused:UNUSED_PAD src0_sel:WORD_1
	;; [unrolled: 2-line block ×7, first 2 shown]
	s_cselect_b64 s[8:9], -1, 0
	s_and_b64 s[10:11], s[0:1], s[8:9]
	s_waitcnt vmcnt(0)
	ds_write_b128 v93, v[2:5]
	global_load_dwordx4 v[2:5], v[26:27], off
	s_waitcnt vmcnt(0)
	ds_write_b128 v167, v[2:5]
	global_load_dwordx4 v[2:5], v[30:31], off
	;; [unrolled: 3-line block ×3, first 2 shown]
	v_cvt_f32_f16_e32 v34, v6
	v_cvt_f32_f16_sdwa v35, v6 dst_sel:DWORD dst_unused:UNUSED_PAD src0_sel:WORD_1
	s_waitcnt vmcnt(0)
	ds_write_b128 v169, v[2:5]
	s_waitcnt lgkmcnt(0)
	s_barrier
	ds_read_u16 v2, v99 offset:272
	ds_read_u16 v3, v99 offset:544
	ds_read_u16 v4, v103
	ds_read_u16 v28, v103 offset:32
	v_cvt_f32_f16_sdwa v5, v29 dst_sel:DWORD dst_unused:UNUSED_PAD src0_sel:WORD_1
	s_waitcnt lgkmcnt(1)
	v_perm_b32 v27, v4, v3, s62
	ds_read_u16 v3, v99
	ds_read_u16 v32, v99 offset:32
	v_cvt_f32_f16_e32 v4, v29
	s_waitcnt lgkmcnt(1)
	v_perm_b32 v26, v2, v3, s62
	v_cvt_f32_f16_e32 v2, v33
	v_cvt_f32_f16_sdwa v3, v33 dst_sel:DWORD dst_unused:UNUSED_PAD src0_sel:WORD_1
	v_cvt_f32_f16_sdwa v33, v7 dst_sel:DWORD dst_unused:UNUSED_PAD src0_sel:WORD_1
	s_nop 0
	v_mfma_f32_16x16x16_f16 v[2:5], v[26:27], v[18:19], v[2:5]
	s_nop 7
	v_cvt_f16_f32_e32 v4, v4
	v_cvt_f16_f32_e32 v5, v5
	;; [unrolled: 1-line block ×4, first 2 shown]
	v_perm_b32 v26, v5, v4, s62
	ds_read_u16 v4, v99 offset:304
	ds_read_u16 v5, v99 offset:576
	v_perm_b32 v30, v31, v30, s62
	s_waitcnt lgkmcnt(1)
	v_perm_b32 v4, v4, v32, s62
	s_waitcnt lgkmcnt(0)
	v_perm_b32 v5, v28, v5, s62
	v_cvt_f32_f16_e32 v32, v7
	s_nop 1
	v_mfma_f32_16x16x16_f16 v[4:7], v[4:5], v[18:19], v[32:35]
	s_nop 7
	v_cvt_f16_f32_e32 v6, v6
	v_cvt_f16_f32_e32 v7, v7
	;; [unrolled: 1-line block ×4, first 2 shown]
	v_perm_b32 v27, v7, v6, s62
	ds_read_u16 v6, v99 offset:64
	ds_read_u16 v28, v99 offset:336
	;; [unrolled: 1-line block ×4, first 2 shown]
	v_perm_b32 v33, v34, v33, s62
	s_waitcnt lgkmcnt(2)
	v_perm_b32 v6, v28, v6, s62
	s_waitcnt lgkmcnt(0)
	v_perm_b32 v7, v29, v7, s62
	s_nop 1
	v_mfma_f32_16x16x16_f16 v[6:9], v[6:7], v[18:19], v[36:39]
	s_nop 2
	v_cvt_f32_f16_e32 v38, v11
	v_cvt_f32_f16_sdwa v39, v11 dst_sel:DWORD dst_unused:UNUSED_PAD src0_sel:WORD_1
	s_nop 2
	v_cvt_f16_f32_e32 v8, v8
	v_cvt_f16_f32_e32 v9, v9
	v_cvt_f16_f32_e32 v36, v6
	v_cvt_f16_f32_e32 v37, v7
	v_perm_b32 v28, v9, v8, s62
	ds_read_u16 v8, v99 offset:96
	ds_read_u16 v29, v99 offset:368
	ds_read_u16 v9, v99 offset:640
	ds_read_u16 v32, v103 offset:96
	v_perm_b32 v36, v37, v36, s62
	s_waitcnt lgkmcnt(2)
	v_perm_b32 v8, v29, v8, s62
	s_waitcnt lgkmcnt(0)
	v_perm_b32 v9, v32, v9, s62
	s_nop 1
	v_mfma_f32_16x16x16_f16 v[8:11], v[8:9], v[18:19], v[38:41]
	s_nop 7
	v_cvt_f16_f32_e32 v10, v10
	v_cvt_f16_f32_e32 v11, v11
	v_cvt_f16_f32_e32 v39, v8
	v_cvt_f16_f32_e32 v40, v9
	v_perm_b32 v29, v11, v10, s62
	ds_read_u16 v10, v99 offset:128
	ds_read_u16 v32, v99 offset:400
	ds_read_u16 v11, v99 offset:672
	ds_read_u16 v35, v103 offset:128
	v_perm_b32 v39, v40, v39, s62
	s_waitcnt lgkmcnt(2)
	v_perm_b32 v10, v32, v10, s62
	s_waitcnt lgkmcnt(0)
	v_perm_b32 v11, v35, v11, s62
	s_nop 1
	v_mfma_f32_16x16x16_f16 v[10:13], v[10:11], v[18:19], v[42:45]
	;; [unrolled: 17-line block ×3, first 2 shown]
	s_nop 2
	v_cvt_f32_f16_e32 v122, v17
	v_cvt_f32_f16_sdwa v123, v17 dst_sel:DWORD dst_unused:UNUSED_PAD src0_sel:WORD_1
	v_cvt_f32_f16_e32 v124, v16
	s_nop 1
	v_cvt_f16_f32_e32 v14, v14
	v_cvt_f16_f32_e32 v15, v15
	v_cvt_f32_f16_sdwa v125, v16 dst_sel:DWORD dst_unused:UNUSED_PAD src0_sel:WORD_1
	v_cvt_f16_f32_e32 v43, v12
	v_cvt_f16_f32_e32 v44, v13
	v_perm_b32 v35, v15, v14, s62
	ds_read_u16 v14, v99 offset:192
	ds_read_u16 v38, v99 offset:464
	;; [unrolled: 1-line block ×4, first 2 shown]
	s_waitcnt lgkmcnt(2)
	v_perm_b32 v14, v38, v14, s62
	s_waitcnt lgkmcnt(0)
	v_perm_b32 v15, v45, v15, s62
	s_nop 1
	v_mfma_f32_16x16x16_f16 v[14:17], v[14:15], v[18:19], v[122:125]
	s_nop 2
	v_cvt_f32_f16_sdwa v123, v25 dst_sel:DWORD dst_unused:UNUSED_PAD src0_sel:WORD_1
	v_cvt_f32_f16_e32 v124, v24
	v_cvt_f32_f16_sdwa v125, v24 dst_sel:DWORD dst_unused:UNUSED_PAD src0_sel:WORD_1
	s_nop 1
	v_cvt_f16_f32_e32 v16, v16
	v_cvt_f16_f32_e32 v17, v17
	;; [unrolled: 1-line block ×4, first 2 shown]
	v_perm_b32 v38, v17, v16, s62
	ds_read_u16 v16, v99 offset:224
	ds_read_u16 v101, v99 offset:496
	;; [unrolled: 1-line block ×4, first 2 shown]
	s_waitcnt lgkmcnt(0)
	s_barrier
	v_perm_b32 v16, v101, v16, s62
	v_perm_b32 v17, v122, v17, s62
	v_cvt_f32_f16_e32 v122, v25
	s_nop 1
	v_mfma_f32_16x16x16_f16 v[16:19], v[16:17], v[18:19], v[122:125]
	s_nop 7
	v_cvt_f16_f32_e32 v18, v18
	v_cvt_f16_f32_e32 v19, v19
	;; [unrolled: 1-line block ×4, first 2 shown]
	v_perm_b32 v18, v19, v18, s62
	ds_bpermute_b32 v19, v22, v21
	s_waitcnt lgkmcnt(0)
	v_add_f32_e32 v19, v21, v19
	ds_bpermute_b32 v21, v23, v19
	s_waitcnt lgkmcnt(0)
	v_add_f32_e32 v21, v19, v21
	v_perm_b32 v19, v25, v24, s62
	v_perm_b32 v24, v52, v45, s62
	;; [unrolled: 1-line block ×3, first 2 shown]
	s_and_saveexec_b64 s[8:9], s[10:11]
	s_cbranch_execz .LBB25_219
; %bb.218:                              ;   in Loop: Header=BB25_12 Depth=1
	v_lshlrev_b32_e32 v19, 2, v98
	global_load_dword v19, v19, s[74:75]
	v_cvt_pk_f16_f32 v24, v2, v3
	v_max_f32_e32 v2, v20, v20
	v_cvt_pk_f16_f32 v4, v4, v5
	v_cvt_pk_f16_f32 v5, v6, v7
	v_cvt_pk_f16_f32 v6, v8, v9
	v_cvt_pk_f16_f32 v7, v10, v11
	v_cvt_pk_f16_f32 v8, v12, v13
	s_waitcnt vmcnt(0)
	v_max_f32_e32 v3, v19, v19
	v_max_f32_e32 v2, v2, v3
	v_sub_f32_e32 v3, v20, v2
	v_sub_f32_e32 v9, v19, v2
	v_mul_f32_e32 v10, 0x3fb8aa3b, v3
	v_mul_f32_e32 v11, 0x3fb8aa3b, v9
	v_fma_f32 v12, v3, s67, -v10
	v_rndne_f32_e32 v13, v10
	v_fma_f32 v19, v9, s67, -v11
	v_rndne_f32_e32 v20, v11
	v_fmac_f32_e32 v12, 0x32a5705f, v3
	v_sub_f32_e32 v10, v10, v13
	v_fmac_f32_e32 v19, 0x32a5705f, v9
	v_sub_f32_e32 v11, v11, v20
	v_add_f32_e32 v10, v10, v12
	v_cvt_i32_f32_e32 v13, v13
	v_add_f32_e32 v11, v11, v19
	v_exp_f32_e32 v10, v10
	v_cvt_i32_f32_e32 v20, v20
	v_exp_f32_e32 v11, v11
	v_cmp_ngt_f32_e32 vcc, s33, v3
	v_ldexp_f32 v10, v10, v13
	v_cvt_pk_f16_f32 v12, v14, v15
	v_ldexp_f32 v11, v11, v20
	v_cndmask_b32_e32 v10, 0, v10, vcc
	v_cmp_ngt_f32_e32 vcc, s33, v9
	v_cvt_pk_f16_f32 v14, v16, v17
	s_nop 0
	v_cndmask_b32_e32 v11, 0, v11, vcc
	v_cmp_nlt_f32_e32 vcc, s87, v3
	s_nop 1
	v_cndmask_b32_e32 v10, v189, v10, vcc
	v_cmp_le_f32_e32 vcc, s44, v3
	s_nop 1
	v_cndmask_b32_e32 v10, 0, v10, vcc
	v_cvt_f16_f32_e32 v13, v10
	v_cmp_nlt_f32_e32 vcc, s87, v9
	v_mul_u32_u24_e32 v9, 0x10001, v13
	s_nop 0
	v_cndmask_b32_e32 v3, v189, v11, vcc
	v_fmac_f32_e32 v3, v21, v10
	v_pk_mul_f16 v30, v24, v9
	v_pk_mul_f16 v26, v26, v9
	;; [unrolled: 1-line block ×16, first 2 shown]
	v_mov_b64_e32 v[20:21], v[2:3]
.LBB25_219:                             ;   in Loop: Header=BB25_12 Depth=1
	s_or_b64 exec, exec, s[8:9]
	s_and_saveexec_b64 s[8:9], s[6:7]
; %bb.220:                              ;   in Loop: Header=BB25_12 Depth=1
	v_add_u32_e32 v2, 0, v144
	ds_write2_b32 v2, v20, v21 offset0:64 offset1:65
; %bb.221:                              ;   in Loop: Header=BB25_12 Depth=1
	s_or_b64 exec, exec, s[8:9]
	s_waitcnt lgkmcnt(0)
	s_barrier
	s_mov_b64 s[8:9], exec
	v_readlane_b32 s10, v200, 5
	v_readlane_b32 s11, v200, 6
	s_and_b64 s[10:11], s[8:9], s[10:11]
	s_xor_b64 s[8:9], s[10:11], s[8:9]
	s_mov_b64 exec, s[10:11]
	s_cbranch_execz .LBB25_223
; %bb.222:                              ;   in Loop: Header=BB25_12 Depth=1
	s_barrier
                                        ; implicit-def: $vgpr22
                                        ; implicit-def: $vgpr23
.LBB25_223:                             ;   in Loop: Header=BB25_12 Depth=1
	s_andn2_saveexec_b64 s[8:9], s[8:9]
	s_cbranch_execz .LBB25_225
; %bb.224:                              ;   in Loop: Header=BB25_12 Depth=1
	v_add_u32_e32 v4, 0, v144
	ds_read_b64 v[2:3], v4 offset:256
	s_waitcnt lgkmcnt(0)
	s_barrier
	ds_bpermute_b32 v5, v22, v2
	v_max_f32_e32 v6, v2, v2
	s_waitcnt lgkmcnt(0)
	v_max_f32_e32 v5, v5, v5
	v_max_f32_e32 v5, v6, v5
	ds_bpermute_b32 v6, v23, v5
	s_waitcnt lgkmcnt(0)
	v_max_f32_e32 v6, v6, v6
	v_max_f32_e32 v5, v5, v6
	v_sub_f32_e32 v2, v2, v5
	v_mul_f32_e32 v5, 0x3fb8aa3b, v2
	v_fma_f32 v6, v2, s67, -v5
	v_rndne_f32_e32 v7, v5
	v_fmac_f32_e32 v6, 0x32a5705f, v2
	v_sub_f32_e32 v5, v5, v7
	v_add_f32_e32 v5, v5, v6
	v_cvt_i32_f32_e32 v7, v7
	v_exp_f32_e32 v5, v5
	v_cmp_ngt_f32_e32 vcc, s33, v2
	v_ldexp_f32 v5, v5, v7
	s_nop 0
	v_cndmask_b32_e32 v5, 0, v5, vcc
	v_cmp_nlt_f32_e32 vcc, s87, v2
	s_nop 1
	v_cndmask_b32_e32 v2, v189, v5, vcc
	v_mul_f32_e32 v5, v3, v2
	ds_bpermute_b32 v5, v22, v5
	s_waitcnt lgkmcnt(0)
	v_fmac_f32_e32 v5, v3, v2
	ds_bpermute_b32 v3, v23, v5
	s_waitcnt lgkmcnt(0)
	v_add_f32_e32 v3, v5, v3
	ds_write_b64 v4, v[2:3] offset:256
.LBB25_225:                             ;   in Loop: Header=BB25_12 Depth=1
	s_or_b64 exec, exec, s[8:9]
	v_add_u32_e32 v2, v145, v146
	ds_write2_b32 v2, v30, v26 offset1:1
	ds_write2_b32 v2, v33, v27 offset0:8 offset1:9
	ds_write2_b32 v2, v36, v28 offset0:16 offset1:17
	;; [unrolled: 1-line block ×7, first 2 shown]
	s_waitcnt lgkmcnt(0)
	s_barrier
	s_and_saveexec_b64 s[74:75], s[0:1]
	s_cbranch_execz .LBB25_10
; %bb.226:                              ;   in Loop: Header=BB25_12 Depth=1
	v_add_u32_e32 v3, s82, v174
	v_or_b32_e32 v2, s63, v102
	v_cmp_gt_i32_e32 vcc, s36, v3
	v_cmp_gt_i32_e64 s[8:9], s86, v2
	s_and_b64 s[10:11], vcc, s[8:9]
	v_mov_b32_e32 v2, 0x47
	s_and_saveexec_b64 s[12:13], s[10:11]
	s_cbranch_execz .LBB25_228
; %bb.227:                              ;   in Loop: Header=BB25_12 Depth=1
	v_mad_u64_u32 v[2:3], s[10:11], v3, s37, v[102:103]
	v_add_u32_e32 v12, 0, v147
	v_add_u32_e32 v3, v143, v147
	ds_read2_b32 v[4:5], v12 offset0:64 offset1:65
	ds_read2st64_b32 v[6:7], v3 offset1:17
	ds_read2st64_b32 v[8:9], v12 offset0:18 offset1:35
	ds_read2st64_b32 v[10:11], v3 offset0:34 offset1:51
	ds_read_b32 v12, v12 offset:13312
	v_lshl_add_u32 v2, v2, 6, v46
	s_waitcnt lgkmcnt(3)
	v_cvt_f32_f16_e32 v14, v6
	v_cvt_f32_f16_sdwa v15, v6 dst_sel:DWORD dst_unused:UNUSED_PAD src0_sel:WORD_1
	v_cvt_f32_f16_e32 v6, v7
	v_cvt_f32_f16_sdwa v7, v7 dst_sel:DWORD dst_unused:UNUSED_PAD src0_sel:WORD_1
	v_ashrrev_i32_e32 v3, 31, v2
	v_pk_fma_f32 v[14:15], v[4:5], v[14:15], 0 op_sel_hi:[0,1,0]
	s_waitcnt lgkmcnt(2)
	v_mov_b32_e32 v4, v9
	v_pk_fma_f32 v[6:7], v[8:9], v[6:7], v[14:15] op_sel_hi:[0,1,1]
	s_waitcnt lgkmcnt(1)
	v_cvt_f32_f16_e32 v14, v10
	v_cvt_f32_f16_sdwa v15, v10 dst_sel:DWORD dst_unused:UNUSED_PAD src0_sel:WORD_1
	v_cvt_f32_f16_e32 v8, v11
	v_cvt_f32_f16_sdwa v9, v11 dst_sel:DWORD dst_unused:UNUSED_PAD src0_sel:WORD_1
	v_lshl_add_u64 v[2:3], v[2:3], 3, s[72:73]
	v_pk_fma_f32 v[6:7], v[4:5], v[14:15], v[6:7] op_sel_hi:[0,1,1]
	s_waitcnt lgkmcnt(0)
	v_pk_fma_f32 v[6:7], v[12:13], v[8:9], v[6:7] op_sel_hi:[0,1,1]
	v_div_scale_f32 v4, s[10:11], v5, v5, v7
	v_rcp_f32_e32 v8, v4
	s_nop 0
	v_fma_f32 v9, -v4, v8, 1.0
	v_fmac_f32_e32 v8, v9, v8
	v_div_scale_f32 v9, vcc, v7, v5, v7
	v_mul_f32_e32 v10, v9, v8
	v_fma_f32 v11, -v4, v10, v9
	v_fmac_f32_e32 v10, v11, v8
	v_fma_f32 v4, -v4, v10, v9
	v_div_fmas_f32 v4, v4, v8, v10
	v_div_fixup_f32 v7, v4, v5, v7
	v_div_scale_f32 v4, s[10:11], v5, v5, v6
	v_rcp_f32_e32 v8, v4
	s_nop 0
	v_fma_f32 v9, -v4, v8, 1.0
	v_fmac_f32_e32 v8, v9, v8
	v_div_scale_f32 v9, vcc, v6, v5, v6
	v_mul_f32_e32 v10, v9, v8
	v_fma_f32 v11, -v4, v10, v9
	v_fmac_f32_e32 v10, v11, v8
	v_fma_f32 v4, -v4, v10, v9
	v_div_fmas_f32 v4, v4, v8, v10
	v_div_fixup_f32 v6, v4, v5, v6
	global_store_dwordx2 v[2:3], v[6:7], off
	v_mov_b32_e32 v2, 0
.LBB25_228:                             ;   in Loop: Header=BB25_12 Depth=1
	s_or_b64 exec, exec, s[12:13]
	s_movk_i32 s10, 0x47
	v_cmp_gt_i32_e32 vcc, s10, v2
	s_mov_b64 s[12:13], -1
	s_and_saveexec_b64 s[76:77], vcc
; %bb.229:                              ;   in Loop: Header=BB25_12 Depth=1
	v_cmp_eq_u32_e32 vcc, 0, v2
	s_orn2_b64 s[12:13], vcc, exec
; %bb.230:                              ;   in Loop: Header=BB25_12 Depth=1
	s_or_b64 exec, exec, s[76:77]
	s_and_b64 exec, exec, s[12:13]
	s_cbranch_execz .LBB25_10
; %bb.231:                              ;   in Loop: Header=BB25_12 Depth=1
	v_add_u32_e32 v3, s82, v175
	v_or_b32_e32 v2, s63, v74
	v_cmp_gt_i32_e32 vcc, s36, v3
	v_cmp_gt_i32_e64 s[12:13], s86, v2
	s_and_b64 s[10:11], vcc, s[12:13]
	v_mov_b32_e32 v2, 0x47
	s_and_saveexec_b64 s[12:13], s[10:11]
	s_cbranch_execz .LBB25_233
; %bb.232:                              ;   in Loop: Header=BB25_12 Depth=1
	v_mad_u64_u32 v[2:3], s[10:11], v3, s37, v[74:75]
	v_add_u32_e32 v12, 0, v148
	v_add_u32_e32 v3, v143, v148
	ds_read2_b32 v[4:5], v12 offset0:64 offset1:65
	ds_read2st64_b32 v[6:7], v3 offset1:17
	ds_read2st64_b32 v[8:9], v12 offset0:18 offset1:35
	ds_read2st64_b32 v[10:11], v3 offset0:34 offset1:51
	ds_read_b32 v12, v12 offset:13312
	v_lshl_add_u32 v2, v2, 6, v46
	s_waitcnt lgkmcnt(3)
	v_cvt_f32_f16_e32 v14, v6
	v_cvt_f32_f16_sdwa v15, v6 dst_sel:DWORD dst_unused:UNUSED_PAD src0_sel:WORD_1
	v_cvt_f32_f16_e32 v6, v7
	v_cvt_f32_f16_sdwa v7, v7 dst_sel:DWORD dst_unused:UNUSED_PAD src0_sel:WORD_1
	v_ashrrev_i32_e32 v3, 31, v2
	v_pk_fma_f32 v[14:15], v[4:5], v[14:15], 0 op_sel_hi:[0,1,0]
	s_waitcnt lgkmcnt(2)
	v_mov_b32_e32 v4, v9
	v_pk_fma_f32 v[6:7], v[8:9], v[6:7], v[14:15] op_sel_hi:[0,1,1]
	s_waitcnt lgkmcnt(1)
	v_cvt_f32_f16_e32 v14, v10
	v_cvt_f32_f16_sdwa v15, v10 dst_sel:DWORD dst_unused:UNUSED_PAD src0_sel:WORD_1
	v_cvt_f32_f16_e32 v8, v11
	v_cvt_f32_f16_sdwa v9, v11 dst_sel:DWORD dst_unused:UNUSED_PAD src0_sel:WORD_1
	v_lshl_add_u64 v[2:3], v[2:3], 3, s[72:73]
	v_pk_fma_f32 v[6:7], v[4:5], v[14:15], v[6:7] op_sel_hi:[0,1,1]
	s_waitcnt lgkmcnt(0)
	v_pk_fma_f32 v[6:7], v[12:13], v[8:9], v[6:7] op_sel_hi:[0,1,1]
	v_div_scale_f32 v4, s[10:11], v5, v5, v7
	v_rcp_f32_e32 v8, v4
	s_nop 0
	v_fma_f32 v9, -v4, v8, 1.0
	v_fmac_f32_e32 v8, v9, v8
	v_div_scale_f32 v9, vcc, v7, v5, v7
	v_mul_f32_e32 v10, v9, v8
	v_fma_f32 v11, -v4, v10, v9
	v_fmac_f32_e32 v10, v11, v8
	v_fma_f32 v4, -v4, v10, v9
	v_div_fmas_f32 v4, v4, v8, v10
	v_div_fixup_f32 v7, v4, v5, v7
	v_div_scale_f32 v4, s[10:11], v5, v5, v6
	v_rcp_f32_e32 v8, v4
	s_nop 0
	v_fma_f32 v9, -v4, v8, 1.0
	v_fmac_f32_e32 v8, v9, v8
	v_div_scale_f32 v9, vcc, v6, v5, v6
	v_mul_f32_e32 v10, v9, v8
	v_fma_f32 v11, -v4, v10, v9
	v_fmac_f32_e32 v10, v11, v8
	v_fma_f32 v4, -v4, v10, v9
	v_div_fmas_f32 v4, v4, v8, v10
	v_div_fixup_f32 v6, v4, v5, v6
	global_store_dwordx2 v[2:3], v[6:7], off
	v_mov_b32_e32 v2, 0
.LBB25_233:                             ;   in Loop: Header=BB25_12 Depth=1
	s_or_b64 exec, exec, s[12:13]
	s_movk_i32 s10, 0x47
	v_cmp_gt_i32_e32 vcc, s10, v2
	s_mov_b64 s[12:13], -1
	s_and_saveexec_b64 s[76:77], vcc
; %bb.234:                              ;   in Loop: Header=BB25_12 Depth=1
	v_cmp_eq_u32_e32 vcc, 0, v2
	s_orn2_b64 s[12:13], vcc, exec
; %bb.235:                              ;   in Loop: Header=BB25_12 Depth=1
	s_or_b64 exec, exec, s[76:77]
	s_and_b64 exec, exec, s[12:13]
	s_cbranch_execz .LBB25_10
; %bb.236:                              ;   in Loop: Header=BB25_12 Depth=1
	v_add_u32_e32 v3, s82, v176
	v_or_b32_e32 v2, s63, v76
	v_cmp_gt_i32_e32 vcc, s36, v3
	v_cmp_gt_i32_e64 s[12:13], s86, v2
	s_and_b64 s[10:11], vcc, s[12:13]
	v_mov_b32_e32 v2, 0x47
	s_and_saveexec_b64 s[12:13], s[10:11]
	s_cbranch_execz .LBB25_238
; %bb.237:                              ;   in Loop: Header=BB25_12 Depth=1
	v_mad_u64_u32 v[2:3], s[10:11], v3, s37, v[76:77]
	v_add_u32_e32 v12, 0, v149
	v_add_u32_e32 v3, v143, v149
	ds_read2_b32 v[4:5], v12 offset0:64 offset1:65
	ds_read2st64_b32 v[6:7], v3 offset1:17
	ds_read2st64_b32 v[8:9], v12 offset0:18 offset1:35
	ds_read2st64_b32 v[10:11], v3 offset0:34 offset1:51
	ds_read_b32 v12, v12 offset:13312
	v_lshl_add_u32 v2, v2, 6, v46
	s_waitcnt lgkmcnt(3)
	v_cvt_f32_f16_e32 v14, v6
	v_cvt_f32_f16_sdwa v15, v6 dst_sel:DWORD dst_unused:UNUSED_PAD src0_sel:WORD_1
	v_cvt_f32_f16_e32 v6, v7
	v_cvt_f32_f16_sdwa v7, v7 dst_sel:DWORD dst_unused:UNUSED_PAD src0_sel:WORD_1
	v_ashrrev_i32_e32 v3, 31, v2
	v_pk_fma_f32 v[14:15], v[4:5], v[14:15], 0 op_sel_hi:[0,1,0]
	s_waitcnt lgkmcnt(2)
	v_mov_b32_e32 v4, v9
	v_pk_fma_f32 v[6:7], v[8:9], v[6:7], v[14:15] op_sel_hi:[0,1,1]
	s_waitcnt lgkmcnt(1)
	v_cvt_f32_f16_e32 v14, v10
	v_cvt_f32_f16_sdwa v15, v10 dst_sel:DWORD dst_unused:UNUSED_PAD src0_sel:WORD_1
	v_cvt_f32_f16_e32 v8, v11
	v_cvt_f32_f16_sdwa v9, v11 dst_sel:DWORD dst_unused:UNUSED_PAD src0_sel:WORD_1
	v_lshl_add_u64 v[2:3], v[2:3], 3, s[72:73]
	v_pk_fma_f32 v[6:7], v[4:5], v[14:15], v[6:7] op_sel_hi:[0,1,1]
	s_waitcnt lgkmcnt(0)
	v_pk_fma_f32 v[6:7], v[12:13], v[8:9], v[6:7] op_sel_hi:[0,1,1]
	v_div_scale_f32 v4, s[10:11], v5, v5, v7
	v_rcp_f32_e32 v8, v4
	s_nop 0
	v_fma_f32 v9, -v4, v8, 1.0
	v_fmac_f32_e32 v8, v9, v8
	v_div_scale_f32 v9, vcc, v7, v5, v7
	v_mul_f32_e32 v10, v9, v8
	v_fma_f32 v11, -v4, v10, v9
	v_fmac_f32_e32 v10, v11, v8
	v_fma_f32 v4, -v4, v10, v9
	v_div_fmas_f32 v4, v4, v8, v10
	v_div_fixup_f32 v7, v4, v5, v7
	v_div_scale_f32 v4, s[10:11], v5, v5, v6
	v_rcp_f32_e32 v8, v4
	s_nop 0
	v_fma_f32 v9, -v4, v8, 1.0
	v_fmac_f32_e32 v8, v9, v8
	v_div_scale_f32 v9, vcc, v6, v5, v6
	v_mul_f32_e32 v10, v9, v8
	v_fma_f32 v11, -v4, v10, v9
	v_fmac_f32_e32 v10, v11, v8
	v_fma_f32 v4, -v4, v10, v9
	v_div_fmas_f32 v4, v4, v8, v10
	v_div_fixup_f32 v6, v4, v5, v6
	global_store_dwordx2 v[2:3], v[6:7], off
	v_mov_b32_e32 v2, 0
.LBB25_238:                             ;   in Loop: Header=BB25_12 Depth=1
	s_or_b64 exec, exec, s[12:13]
	s_movk_i32 s10, 0x47
	v_cmp_gt_i32_e32 vcc, s10, v2
	s_mov_b64 s[12:13], -1
	s_and_saveexec_b64 s[76:77], vcc
; %bb.239:                              ;   in Loop: Header=BB25_12 Depth=1
	v_cmp_eq_u32_e32 vcc, 0, v2
	s_orn2_b64 s[12:13], vcc, exec
; %bb.240:                              ;   in Loop: Header=BB25_12 Depth=1
	s_or_b64 exec, exec, s[76:77]
	s_and_b64 exec, exec, s[12:13]
	s_cbranch_execz .LBB25_10
; %bb.241:                              ;   in Loop: Header=BB25_12 Depth=1
	v_add_u32_e32 v3, s82, v177
	v_or_b32_e32 v2, s63, v78
	v_cmp_gt_i32_e32 vcc, s36, v3
	v_cmp_gt_i32_e64 s[12:13], s86, v2
	s_and_b64 s[10:11], vcc, s[12:13]
	v_mov_b32_e32 v2, 0x47
	s_and_saveexec_b64 s[12:13], s[10:11]
	s_cbranch_execz .LBB25_243
; %bb.242:                              ;   in Loop: Header=BB25_12 Depth=1
	v_mad_u64_u32 v[2:3], s[10:11], v3, s37, v[78:79]
	v_add_u32_e32 v12, 0, v150
	v_add_u32_e32 v3, v143, v150
	ds_read2_b32 v[4:5], v12 offset0:64 offset1:65
	ds_read2st64_b32 v[6:7], v3 offset1:17
	ds_read2st64_b32 v[8:9], v12 offset0:18 offset1:35
	ds_read2st64_b32 v[10:11], v3 offset0:34 offset1:51
	ds_read_b32 v12, v12 offset:13312
	v_lshl_add_u32 v2, v2, 6, v46
	s_waitcnt lgkmcnt(3)
	v_cvt_f32_f16_e32 v14, v6
	v_cvt_f32_f16_sdwa v15, v6 dst_sel:DWORD dst_unused:UNUSED_PAD src0_sel:WORD_1
	v_cvt_f32_f16_e32 v6, v7
	v_cvt_f32_f16_sdwa v7, v7 dst_sel:DWORD dst_unused:UNUSED_PAD src0_sel:WORD_1
	v_ashrrev_i32_e32 v3, 31, v2
	v_pk_fma_f32 v[14:15], v[4:5], v[14:15], 0 op_sel_hi:[0,1,0]
	s_waitcnt lgkmcnt(2)
	v_mov_b32_e32 v4, v9
	v_pk_fma_f32 v[6:7], v[8:9], v[6:7], v[14:15] op_sel_hi:[0,1,1]
	s_waitcnt lgkmcnt(1)
	v_cvt_f32_f16_e32 v14, v10
	v_cvt_f32_f16_sdwa v15, v10 dst_sel:DWORD dst_unused:UNUSED_PAD src0_sel:WORD_1
	v_cvt_f32_f16_e32 v8, v11
	v_cvt_f32_f16_sdwa v9, v11 dst_sel:DWORD dst_unused:UNUSED_PAD src0_sel:WORD_1
	v_lshl_add_u64 v[2:3], v[2:3], 3, s[72:73]
	v_pk_fma_f32 v[6:7], v[4:5], v[14:15], v[6:7] op_sel_hi:[0,1,1]
	s_waitcnt lgkmcnt(0)
	v_pk_fma_f32 v[6:7], v[12:13], v[8:9], v[6:7] op_sel_hi:[0,1,1]
	v_div_scale_f32 v4, s[10:11], v5, v5, v7
	v_rcp_f32_e32 v8, v4
	s_nop 0
	v_fma_f32 v9, -v4, v8, 1.0
	v_fmac_f32_e32 v8, v9, v8
	v_div_scale_f32 v9, vcc, v7, v5, v7
	v_mul_f32_e32 v10, v9, v8
	v_fma_f32 v11, -v4, v10, v9
	v_fmac_f32_e32 v10, v11, v8
	v_fma_f32 v4, -v4, v10, v9
	v_div_fmas_f32 v4, v4, v8, v10
	v_div_fixup_f32 v7, v4, v5, v7
	v_div_scale_f32 v4, s[10:11], v5, v5, v6
	v_rcp_f32_e32 v8, v4
	s_nop 0
	v_fma_f32 v9, -v4, v8, 1.0
	v_fmac_f32_e32 v8, v9, v8
	v_div_scale_f32 v9, vcc, v6, v5, v6
	v_mul_f32_e32 v10, v9, v8
	v_fma_f32 v11, -v4, v10, v9
	v_fmac_f32_e32 v10, v11, v8
	v_fma_f32 v4, -v4, v10, v9
	v_div_fmas_f32 v4, v4, v8, v10
	v_div_fixup_f32 v6, v4, v5, v6
	global_store_dwordx2 v[2:3], v[6:7], off
	v_mov_b32_e32 v2, 0
.LBB25_243:                             ;   in Loop: Header=BB25_12 Depth=1
	s_or_b64 exec, exec, s[12:13]
	s_movk_i32 s10, 0x47
	v_cmp_gt_i32_e32 vcc, s10, v2
	s_mov_b64 s[12:13], -1
	s_and_saveexec_b64 s[76:77], vcc
; %bb.244:                              ;   in Loop: Header=BB25_12 Depth=1
	v_cmp_eq_u32_e32 vcc, 0, v2
	s_orn2_b64 s[12:13], vcc, exec
; %bb.245:                              ;   in Loop: Header=BB25_12 Depth=1
	s_or_b64 exec, exec, s[76:77]
	s_and_b64 exec, exec, s[12:13]
	s_cbranch_execz .LBB25_10
; %bb.246:                              ;   in Loop: Header=BB25_12 Depth=1
	v_add_u32_e32 v3, s82, v151
	v_cmp_gt_i32_e32 vcc, s36, v3
	s_and_b64 s[10:11], vcc, s[8:9]
	v_mov_b32_e32 v2, 0x47
	s_and_saveexec_b64 s[12:13], s[10:11]
	s_cbranch_execz .LBB25_248
; %bb.247:                              ;   in Loop: Header=BB25_12 Depth=1
	v_mad_u64_u32 v[2:3], s[10:11], v3, s37, v[102:103]
	v_add_u32_e32 v12, 0, v152
	v_add_u32_e32 v3, v143, v152
	ds_read2_b32 v[4:5], v12 offset0:64 offset1:65
	ds_read2st64_b32 v[6:7], v3 offset1:17
	ds_read2st64_b32 v[8:9], v12 offset0:18 offset1:35
	ds_read2st64_b32 v[10:11], v3 offset0:34 offset1:51
	ds_read_b32 v12, v12 offset:13312
	v_lshl_add_u32 v2, v2, 6, v46
	s_waitcnt lgkmcnt(3)
	v_cvt_f32_f16_e32 v14, v6
	v_cvt_f32_f16_sdwa v15, v6 dst_sel:DWORD dst_unused:UNUSED_PAD src0_sel:WORD_1
	v_cvt_f32_f16_e32 v6, v7
	v_cvt_f32_f16_sdwa v7, v7 dst_sel:DWORD dst_unused:UNUSED_PAD src0_sel:WORD_1
	v_ashrrev_i32_e32 v3, 31, v2
	v_pk_fma_f32 v[14:15], v[4:5], v[14:15], 0 op_sel_hi:[0,1,0]
	s_waitcnt lgkmcnt(2)
	v_mov_b32_e32 v4, v9
	v_pk_fma_f32 v[6:7], v[8:9], v[6:7], v[14:15] op_sel_hi:[0,1,1]
	s_waitcnt lgkmcnt(1)
	v_cvt_f32_f16_e32 v14, v10
	v_cvt_f32_f16_sdwa v15, v10 dst_sel:DWORD dst_unused:UNUSED_PAD src0_sel:WORD_1
	v_cvt_f32_f16_e32 v8, v11
	v_cvt_f32_f16_sdwa v9, v11 dst_sel:DWORD dst_unused:UNUSED_PAD src0_sel:WORD_1
	v_lshl_add_u64 v[2:3], v[2:3], 3, s[72:73]
	v_pk_fma_f32 v[6:7], v[4:5], v[14:15], v[6:7] op_sel_hi:[0,1,1]
	s_waitcnt lgkmcnt(0)
	v_pk_fma_f32 v[6:7], v[12:13], v[8:9], v[6:7] op_sel_hi:[0,1,1]
	v_div_scale_f32 v4, s[10:11], v5, v5, v7
	v_rcp_f32_e32 v8, v4
	s_nop 0
	v_fma_f32 v9, -v4, v8, 1.0
	v_fmac_f32_e32 v8, v9, v8
	v_div_scale_f32 v9, vcc, v7, v5, v7
	v_mul_f32_e32 v10, v9, v8
	v_fma_f32 v11, -v4, v10, v9
	v_fmac_f32_e32 v10, v11, v8
	v_fma_f32 v4, -v4, v10, v9
	v_div_fmas_f32 v4, v4, v8, v10
	v_div_fixup_f32 v7, v4, v5, v7
	v_div_scale_f32 v4, s[10:11], v5, v5, v6
	v_rcp_f32_e32 v8, v4
	s_nop 0
	v_fma_f32 v9, -v4, v8, 1.0
	v_fmac_f32_e32 v8, v9, v8
	v_div_scale_f32 v9, vcc, v6, v5, v6
	v_mul_f32_e32 v10, v9, v8
	v_fma_f32 v11, -v4, v10, v9
	v_fmac_f32_e32 v10, v11, v8
	v_fma_f32 v4, -v4, v10, v9
	v_div_fmas_f32 v4, v4, v8, v10
	v_div_fixup_f32 v6, v4, v5, v6
	global_store_dwordx2 v[2:3], v[6:7], off
	v_mov_b32_e32 v2, 0
.LBB25_248:                             ;   in Loop: Header=BB25_12 Depth=1
	s_or_b64 exec, exec, s[12:13]
	s_movk_i32 s10, 0x47
	v_cmp_gt_i32_e32 vcc, s10, v2
	s_mov_b64 s[12:13], -1
	s_and_saveexec_b64 s[76:77], vcc
; %bb.249:                              ;   in Loop: Header=BB25_12 Depth=1
	v_cmp_eq_u32_e32 vcc, 0, v2
	s_orn2_b64 s[12:13], vcc, exec
; %bb.250:                              ;   in Loop: Header=BB25_12 Depth=1
	s_or_b64 exec, exec, s[76:77]
	s_and_b64 exec, exec, s[12:13]
	s_cbranch_execz .LBB25_10
; %bb.251:                              ;   in Loop: Header=BB25_12 Depth=1
	v_add_u32_e32 v3, s82, v178
	v_or_b32_e32 v2, s63, v80
	v_cmp_gt_i32_e32 vcc, s36, v3
	v_cmp_gt_i32_e64 s[12:13], s86, v2
	s_and_b64 s[10:11], vcc, s[12:13]
	v_mov_b32_e32 v2, 0x47
	s_and_saveexec_b64 s[12:13], s[10:11]
	s_cbranch_execz .LBB25_253
; %bb.252:                              ;   in Loop: Header=BB25_12 Depth=1
	v_mad_u64_u32 v[2:3], s[10:11], v3, s37, v[80:81]
	v_add_u32_e32 v12, 0, v153
	v_add_u32_e32 v3, v143, v153
	ds_read2_b32 v[4:5], v12 offset0:64 offset1:65
	ds_read2st64_b32 v[6:7], v3 offset1:17
	ds_read2st64_b32 v[8:9], v12 offset0:18 offset1:35
	ds_read2st64_b32 v[10:11], v3 offset0:34 offset1:51
	ds_read_b32 v12, v12 offset:13312
	v_lshl_add_u32 v2, v2, 6, v46
	s_waitcnt lgkmcnt(3)
	v_cvt_f32_f16_e32 v14, v6
	v_cvt_f32_f16_sdwa v15, v6 dst_sel:DWORD dst_unused:UNUSED_PAD src0_sel:WORD_1
	v_cvt_f32_f16_e32 v6, v7
	v_cvt_f32_f16_sdwa v7, v7 dst_sel:DWORD dst_unused:UNUSED_PAD src0_sel:WORD_1
	v_ashrrev_i32_e32 v3, 31, v2
	v_pk_fma_f32 v[14:15], v[4:5], v[14:15], 0 op_sel_hi:[0,1,0]
	s_waitcnt lgkmcnt(2)
	v_mov_b32_e32 v4, v9
	v_pk_fma_f32 v[6:7], v[8:9], v[6:7], v[14:15] op_sel_hi:[0,1,1]
	s_waitcnt lgkmcnt(1)
	v_cvt_f32_f16_e32 v14, v10
	v_cvt_f32_f16_sdwa v15, v10 dst_sel:DWORD dst_unused:UNUSED_PAD src0_sel:WORD_1
	v_cvt_f32_f16_e32 v8, v11
	v_cvt_f32_f16_sdwa v9, v11 dst_sel:DWORD dst_unused:UNUSED_PAD src0_sel:WORD_1
	v_lshl_add_u64 v[2:3], v[2:3], 3, s[72:73]
	v_pk_fma_f32 v[6:7], v[4:5], v[14:15], v[6:7] op_sel_hi:[0,1,1]
	s_waitcnt lgkmcnt(0)
	v_pk_fma_f32 v[6:7], v[12:13], v[8:9], v[6:7] op_sel_hi:[0,1,1]
	v_div_scale_f32 v4, s[10:11], v5, v5, v7
	v_rcp_f32_e32 v8, v4
	s_nop 0
	v_fma_f32 v9, -v4, v8, 1.0
	v_fmac_f32_e32 v8, v9, v8
	v_div_scale_f32 v9, vcc, v7, v5, v7
	v_mul_f32_e32 v10, v9, v8
	v_fma_f32 v11, -v4, v10, v9
	v_fmac_f32_e32 v10, v11, v8
	v_fma_f32 v4, -v4, v10, v9
	v_div_fmas_f32 v4, v4, v8, v10
	v_div_fixup_f32 v7, v4, v5, v7
	v_div_scale_f32 v4, s[10:11], v5, v5, v6
	v_rcp_f32_e32 v8, v4
	s_nop 0
	v_fma_f32 v9, -v4, v8, 1.0
	v_fmac_f32_e32 v8, v9, v8
	v_div_scale_f32 v9, vcc, v6, v5, v6
	v_mul_f32_e32 v10, v9, v8
	v_fma_f32 v11, -v4, v10, v9
	v_fmac_f32_e32 v10, v11, v8
	v_fma_f32 v4, -v4, v10, v9
	v_div_fmas_f32 v4, v4, v8, v10
	v_div_fixup_f32 v6, v4, v5, v6
	global_store_dwordx2 v[2:3], v[6:7], off
	v_mov_b32_e32 v2, 0
.LBB25_253:                             ;   in Loop: Header=BB25_12 Depth=1
	s_or_b64 exec, exec, s[12:13]
	s_movk_i32 s10, 0x47
	v_cmp_gt_i32_e32 vcc, s10, v2
	s_mov_b64 s[12:13], -1
	s_and_saveexec_b64 s[76:77], vcc
; %bb.254:                              ;   in Loop: Header=BB25_12 Depth=1
	v_cmp_eq_u32_e32 vcc, 0, v2
	s_orn2_b64 s[12:13], vcc, exec
; %bb.255:                              ;   in Loop: Header=BB25_12 Depth=1
	s_or_b64 exec, exec, s[76:77]
	s_and_b64 exec, exec, s[12:13]
	s_cbranch_execz .LBB25_10
; %bb.256:                              ;   in Loop: Header=BB25_12 Depth=1
	v_add_u32_e32 v3, s82, v179
	v_or_b32_e32 v2, s63, v82
	v_cmp_gt_i32_e32 vcc, s36, v3
	v_cmp_gt_i32_e64 s[12:13], s86, v2
	s_and_b64 s[10:11], vcc, s[12:13]
	v_mov_b32_e32 v2, 0x47
	s_and_saveexec_b64 s[12:13], s[10:11]
	s_cbranch_execz .LBB25_258
; %bb.257:                              ;   in Loop: Header=BB25_12 Depth=1
	v_mad_u64_u32 v[2:3], s[10:11], v3, s37, v[82:83]
	v_add_u32_e32 v12, 0, v154
	v_add_u32_e32 v3, v143, v154
	ds_read2_b32 v[4:5], v12 offset0:64 offset1:65
	ds_read2st64_b32 v[6:7], v3 offset1:17
	ds_read2st64_b32 v[8:9], v12 offset0:18 offset1:35
	ds_read2st64_b32 v[10:11], v3 offset0:34 offset1:51
	ds_read_b32 v12, v12 offset:13312
	v_lshl_add_u32 v2, v2, 6, v46
	s_waitcnt lgkmcnt(3)
	v_cvt_f32_f16_e32 v14, v6
	v_cvt_f32_f16_sdwa v15, v6 dst_sel:DWORD dst_unused:UNUSED_PAD src0_sel:WORD_1
	v_cvt_f32_f16_e32 v6, v7
	v_cvt_f32_f16_sdwa v7, v7 dst_sel:DWORD dst_unused:UNUSED_PAD src0_sel:WORD_1
	v_ashrrev_i32_e32 v3, 31, v2
	v_pk_fma_f32 v[14:15], v[4:5], v[14:15], 0 op_sel_hi:[0,1,0]
	s_waitcnt lgkmcnt(2)
	v_mov_b32_e32 v4, v9
	v_pk_fma_f32 v[6:7], v[8:9], v[6:7], v[14:15] op_sel_hi:[0,1,1]
	s_waitcnt lgkmcnt(1)
	v_cvt_f32_f16_e32 v14, v10
	v_cvt_f32_f16_sdwa v15, v10 dst_sel:DWORD dst_unused:UNUSED_PAD src0_sel:WORD_1
	v_cvt_f32_f16_e32 v8, v11
	v_cvt_f32_f16_sdwa v9, v11 dst_sel:DWORD dst_unused:UNUSED_PAD src0_sel:WORD_1
	v_lshl_add_u64 v[2:3], v[2:3], 3, s[72:73]
	v_pk_fma_f32 v[6:7], v[4:5], v[14:15], v[6:7] op_sel_hi:[0,1,1]
	s_waitcnt lgkmcnt(0)
	v_pk_fma_f32 v[6:7], v[12:13], v[8:9], v[6:7] op_sel_hi:[0,1,1]
	v_div_scale_f32 v4, s[10:11], v5, v5, v7
	v_rcp_f32_e32 v8, v4
	s_nop 0
	v_fma_f32 v9, -v4, v8, 1.0
	v_fmac_f32_e32 v8, v9, v8
	v_div_scale_f32 v9, vcc, v7, v5, v7
	v_mul_f32_e32 v10, v9, v8
	v_fma_f32 v11, -v4, v10, v9
	v_fmac_f32_e32 v10, v11, v8
	v_fma_f32 v4, -v4, v10, v9
	v_div_fmas_f32 v4, v4, v8, v10
	v_div_fixup_f32 v7, v4, v5, v7
	v_div_scale_f32 v4, s[10:11], v5, v5, v6
	v_rcp_f32_e32 v8, v4
	s_nop 0
	v_fma_f32 v9, -v4, v8, 1.0
	v_fmac_f32_e32 v8, v9, v8
	v_div_scale_f32 v9, vcc, v6, v5, v6
	v_mul_f32_e32 v10, v9, v8
	v_fma_f32 v11, -v4, v10, v9
	v_fmac_f32_e32 v10, v11, v8
	v_fma_f32 v4, -v4, v10, v9
	v_div_fmas_f32 v4, v4, v8, v10
	v_div_fixup_f32 v6, v4, v5, v6
	global_store_dwordx2 v[2:3], v[6:7], off
	v_mov_b32_e32 v2, 0
.LBB25_258:                             ;   in Loop: Header=BB25_12 Depth=1
	s_or_b64 exec, exec, s[12:13]
	s_movk_i32 s10, 0x47
	v_cmp_gt_i32_e32 vcc, s10, v2
	s_mov_b64 s[12:13], -1
	s_and_saveexec_b64 s[76:77], vcc
; %bb.259:                              ;   in Loop: Header=BB25_12 Depth=1
	v_cmp_eq_u32_e32 vcc, 0, v2
	s_orn2_b64 s[12:13], vcc, exec
; %bb.260:                              ;   in Loop: Header=BB25_12 Depth=1
	s_or_b64 exec, exec, s[76:77]
	s_and_b64 exec, exec, s[12:13]
	s_cbranch_execz .LBB25_10
; %bb.261:                              ;   in Loop: Header=BB25_12 Depth=1
	v_add_u32_e32 v3, s82, v180
	v_or_b32_e32 v2, s63, v84
	v_cmp_gt_i32_e32 vcc, s36, v3
	v_cmp_gt_i32_e64 s[12:13], s86, v2
	s_and_b64 s[10:11], vcc, s[12:13]
	v_mov_b32_e32 v2, 0x47
	s_and_saveexec_b64 s[12:13], s[10:11]
	s_cbranch_execz .LBB25_263
; %bb.262:                              ;   in Loop: Header=BB25_12 Depth=1
	v_mad_u64_u32 v[2:3], s[10:11], v3, s37, v[84:85]
	v_add_u32_e32 v12, 0, v155
	v_add_u32_e32 v3, v143, v155
	ds_read2_b32 v[4:5], v12 offset0:64 offset1:65
	ds_read2st64_b32 v[6:7], v3 offset1:17
	ds_read2st64_b32 v[8:9], v12 offset0:18 offset1:35
	ds_read2st64_b32 v[10:11], v3 offset0:34 offset1:51
	ds_read_b32 v12, v12 offset:13312
	v_lshl_add_u32 v2, v2, 6, v46
	s_waitcnt lgkmcnt(3)
	v_cvt_f32_f16_e32 v14, v6
	v_cvt_f32_f16_sdwa v15, v6 dst_sel:DWORD dst_unused:UNUSED_PAD src0_sel:WORD_1
	v_cvt_f32_f16_e32 v6, v7
	v_cvt_f32_f16_sdwa v7, v7 dst_sel:DWORD dst_unused:UNUSED_PAD src0_sel:WORD_1
	v_ashrrev_i32_e32 v3, 31, v2
	v_pk_fma_f32 v[14:15], v[4:5], v[14:15], 0 op_sel_hi:[0,1,0]
	s_waitcnt lgkmcnt(2)
	v_mov_b32_e32 v4, v9
	v_pk_fma_f32 v[6:7], v[8:9], v[6:7], v[14:15] op_sel_hi:[0,1,1]
	s_waitcnt lgkmcnt(1)
	v_cvt_f32_f16_e32 v14, v10
	v_cvt_f32_f16_sdwa v15, v10 dst_sel:DWORD dst_unused:UNUSED_PAD src0_sel:WORD_1
	v_cvt_f32_f16_e32 v8, v11
	v_cvt_f32_f16_sdwa v9, v11 dst_sel:DWORD dst_unused:UNUSED_PAD src0_sel:WORD_1
	v_lshl_add_u64 v[2:3], v[2:3], 3, s[72:73]
	v_pk_fma_f32 v[6:7], v[4:5], v[14:15], v[6:7] op_sel_hi:[0,1,1]
	s_waitcnt lgkmcnt(0)
	v_pk_fma_f32 v[6:7], v[12:13], v[8:9], v[6:7] op_sel_hi:[0,1,1]
	v_div_scale_f32 v4, s[10:11], v5, v5, v7
	v_rcp_f32_e32 v8, v4
	s_nop 0
	v_fma_f32 v9, -v4, v8, 1.0
	v_fmac_f32_e32 v8, v9, v8
	v_div_scale_f32 v9, vcc, v7, v5, v7
	v_mul_f32_e32 v10, v9, v8
	v_fma_f32 v11, -v4, v10, v9
	v_fmac_f32_e32 v10, v11, v8
	v_fma_f32 v4, -v4, v10, v9
	v_div_fmas_f32 v4, v4, v8, v10
	v_div_fixup_f32 v7, v4, v5, v7
	v_div_scale_f32 v4, s[10:11], v5, v5, v6
	v_rcp_f32_e32 v8, v4
	s_nop 0
	v_fma_f32 v9, -v4, v8, 1.0
	v_fmac_f32_e32 v8, v9, v8
	v_div_scale_f32 v9, vcc, v6, v5, v6
	v_mul_f32_e32 v10, v9, v8
	v_fma_f32 v11, -v4, v10, v9
	v_fmac_f32_e32 v10, v11, v8
	v_fma_f32 v4, -v4, v10, v9
	v_div_fmas_f32 v4, v4, v8, v10
	v_div_fixup_f32 v6, v4, v5, v6
	global_store_dwordx2 v[2:3], v[6:7], off
	v_mov_b32_e32 v2, 0
.LBB25_263:                             ;   in Loop: Header=BB25_12 Depth=1
	s_or_b64 exec, exec, s[12:13]
	s_movk_i32 s10, 0x47
	v_cmp_gt_i32_e32 vcc, s10, v2
	s_mov_b64 s[12:13], -1
	s_and_saveexec_b64 s[76:77], vcc
; %bb.264:                              ;   in Loop: Header=BB25_12 Depth=1
	v_cmp_eq_u32_e32 vcc, 0, v2
	s_orn2_b64 s[12:13], vcc, exec
; %bb.265:                              ;   in Loop: Header=BB25_12 Depth=1
	s_or_b64 exec, exec, s[76:77]
	s_and_b64 exec, exec, s[12:13]
	s_cbranch_execz .LBB25_10
; %bb.266:                              ;   in Loop: Header=BB25_12 Depth=1
	v_add_u32_e32 v3, s82, v156
	v_cmp_gt_i32_e32 vcc, s36, v3
	s_and_b64 s[10:11], vcc, s[8:9]
	v_mov_b32_e32 v2, 0x47
	s_and_saveexec_b64 s[12:13], s[10:11]
	s_cbranch_execz .LBB25_268
; %bb.267:                              ;   in Loop: Header=BB25_12 Depth=1
	v_mad_u64_u32 v[2:3], s[10:11], v3, s37, v[102:103]
	v_add_u32_e32 v12, 0, v157
	v_add_u32_e32 v3, v143, v157
	ds_read2_b32 v[4:5], v12 offset0:64 offset1:65
	ds_read2st64_b32 v[6:7], v3 offset1:17
	ds_read2st64_b32 v[8:9], v12 offset0:18 offset1:35
	ds_read2st64_b32 v[10:11], v3 offset0:34 offset1:51
	ds_read_b32 v12, v12 offset:13312
	v_lshl_add_u32 v2, v2, 6, v46
	s_waitcnt lgkmcnt(3)
	v_cvt_f32_f16_e32 v14, v6
	v_cvt_f32_f16_sdwa v15, v6 dst_sel:DWORD dst_unused:UNUSED_PAD src0_sel:WORD_1
	v_cvt_f32_f16_e32 v6, v7
	v_cvt_f32_f16_sdwa v7, v7 dst_sel:DWORD dst_unused:UNUSED_PAD src0_sel:WORD_1
	v_ashrrev_i32_e32 v3, 31, v2
	v_pk_fma_f32 v[14:15], v[4:5], v[14:15], 0 op_sel_hi:[0,1,0]
	s_waitcnt lgkmcnt(2)
	v_mov_b32_e32 v4, v9
	v_pk_fma_f32 v[6:7], v[8:9], v[6:7], v[14:15] op_sel_hi:[0,1,1]
	s_waitcnt lgkmcnt(1)
	v_cvt_f32_f16_e32 v14, v10
	v_cvt_f32_f16_sdwa v15, v10 dst_sel:DWORD dst_unused:UNUSED_PAD src0_sel:WORD_1
	v_cvt_f32_f16_e32 v8, v11
	v_cvt_f32_f16_sdwa v9, v11 dst_sel:DWORD dst_unused:UNUSED_PAD src0_sel:WORD_1
	v_lshl_add_u64 v[2:3], v[2:3], 3, s[72:73]
	v_pk_fma_f32 v[6:7], v[4:5], v[14:15], v[6:7] op_sel_hi:[0,1,1]
	s_waitcnt lgkmcnt(0)
	v_pk_fma_f32 v[6:7], v[12:13], v[8:9], v[6:7] op_sel_hi:[0,1,1]
	v_div_scale_f32 v4, s[10:11], v5, v5, v7
	v_rcp_f32_e32 v8, v4
	s_nop 0
	v_fma_f32 v9, -v4, v8, 1.0
	v_fmac_f32_e32 v8, v9, v8
	v_div_scale_f32 v9, vcc, v7, v5, v7
	v_mul_f32_e32 v10, v9, v8
	v_fma_f32 v11, -v4, v10, v9
	v_fmac_f32_e32 v10, v11, v8
	v_fma_f32 v4, -v4, v10, v9
	v_div_fmas_f32 v4, v4, v8, v10
	v_div_fixup_f32 v7, v4, v5, v7
	v_div_scale_f32 v4, s[10:11], v5, v5, v6
	v_rcp_f32_e32 v8, v4
	s_nop 0
	v_fma_f32 v9, -v4, v8, 1.0
	v_fmac_f32_e32 v8, v9, v8
	v_div_scale_f32 v9, vcc, v6, v5, v6
	v_mul_f32_e32 v10, v9, v8
	v_fma_f32 v11, -v4, v10, v9
	v_fmac_f32_e32 v10, v11, v8
	v_fma_f32 v4, -v4, v10, v9
	v_div_fmas_f32 v4, v4, v8, v10
	v_div_fixup_f32 v6, v4, v5, v6
	global_store_dwordx2 v[2:3], v[6:7], off
	v_mov_b32_e32 v2, 0
.LBB25_268:                             ;   in Loop: Header=BB25_12 Depth=1
	s_or_b64 exec, exec, s[12:13]
	s_movk_i32 s10, 0x47
	v_cmp_gt_i32_e32 vcc, s10, v2
	s_mov_b64 s[12:13], -1
	s_and_saveexec_b64 s[76:77], vcc
; %bb.269:                              ;   in Loop: Header=BB25_12 Depth=1
	v_cmp_eq_u32_e32 vcc, 0, v2
	s_orn2_b64 s[12:13], vcc, exec
; %bb.270:                              ;   in Loop: Header=BB25_12 Depth=1
	s_or_b64 exec, exec, s[76:77]
	s_and_b64 exec, exec, s[12:13]
	s_cbranch_execz .LBB25_10
; %bb.271:                              ;   in Loop: Header=BB25_12 Depth=1
	v_add_u32_e32 v3, s82, v181
	v_or_b32_e32 v2, s63, v86
	v_cmp_gt_i32_e32 vcc, s36, v3
	v_cmp_gt_i32_e64 s[12:13], s86, v2
	s_and_b64 s[10:11], vcc, s[12:13]
	v_mov_b32_e32 v2, 0x47
	s_and_saveexec_b64 s[12:13], s[10:11]
	s_cbranch_execz .LBB25_273
; %bb.272:                              ;   in Loop: Header=BB25_12 Depth=1
	v_mad_u64_u32 v[2:3], s[10:11], v3, s37, v[86:87]
	v_add_u32_e32 v12, 0, v158
	v_add_u32_e32 v3, v143, v158
	ds_read2_b32 v[4:5], v12 offset0:64 offset1:65
	ds_read2st64_b32 v[6:7], v3 offset1:17
	ds_read2st64_b32 v[8:9], v12 offset0:18 offset1:35
	ds_read2st64_b32 v[10:11], v3 offset0:34 offset1:51
	ds_read_b32 v12, v12 offset:13312
	v_lshl_add_u32 v2, v2, 6, v46
	s_waitcnt lgkmcnt(3)
	v_cvt_f32_f16_e32 v14, v6
	v_cvt_f32_f16_sdwa v15, v6 dst_sel:DWORD dst_unused:UNUSED_PAD src0_sel:WORD_1
	v_cvt_f32_f16_e32 v6, v7
	v_cvt_f32_f16_sdwa v7, v7 dst_sel:DWORD dst_unused:UNUSED_PAD src0_sel:WORD_1
	v_ashrrev_i32_e32 v3, 31, v2
	v_pk_fma_f32 v[14:15], v[4:5], v[14:15], 0 op_sel_hi:[0,1,0]
	s_waitcnt lgkmcnt(2)
	v_mov_b32_e32 v4, v9
	v_pk_fma_f32 v[6:7], v[8:9], v[6:7], v[14:15] op_sel_hi:[0,1,1]
	s_waitcnt lgkmcnt(1)
	v_cvt_f32_f16_e32 v14, v10
	v_cvt_f32_f16_sdwa v15, v10 dst_sel:DWORD dst_unused:UNUSED_PAD src0_sel:WORD_1
	v_cvt_f32_f16_e32 v8, v11
	v_cvt_f32_f16_sdwa v9, v11 dst_sel:DWORD dst_unused:UNUSED_PAD src0_sel:WORD_1
	v_lshl_add_u64 v[2:3], v[2:3], 3, s[72:73]
	v_pk_fma_f32 v[6:7], v[4:5], v[14:15], v[6:7] op_sel_hi:[0,1,1]
	s_waitcnt lgkmcnt(0)
	v_pk_fma_f32 v[6:7], v[12:13], v[8:9], v[6:7] op_sel_hi:[0,1,1]
	v_div_scale_f32 v4, s[10:11], v5, v5, v7
	v_rcp_f32_e32 v8, v4
	s_nop 0
	v_fma_f32 v9, -v4, v8, 1.0
	v_fmac_f32_e32 v8, v9, v8
	v_div_scale_f32 v9, vcc, v7, v5, v7
	v_mul_f32_e32 v10, v9, v8
	v_fma_f32 v11, -v4, v10, v9
	v_fmac_f32_e32 v10, v11, v8
	v_fma_f32 v4, -v4, v10, v9
	v_div_fmas_f32 v4, v4, v8, v10
	v_div_fixup_f32 v7, v4, v5, v7
	v_div_scale_f32 v4, s[10:11], v5, v5, v6
	v_rcp_f32_e32 v8, v4
	s_nop 0
	v_fma_f32 v9, -v4, v8, 1.0
	v_fmac_f32_e32 v8, v9, v8
	v_div_scale_f32 v9, vcc, v6, v5, v6
	v_mul_f32_e32 v10, v9, v8
	v_fma_f32 v11, -v4, v10, v9
	v_fmac_f32_e32 v10, v11, v8
	v_fma_f32 v4, -v4, v10, v9
	v_div_fmas_f32 v4, v4, v8, v10
	v_div_fixup_f32 v6, v4, v5, v6
	global_store_dwordx2 v[2:3], v[6:7], off
	v_mov_b32_e32 v2, 0
.LBB25_273:                             ;   in Loop: Header=BB25_12 Depth=1
	s_or_b64 exec, exec, s[12:13]
	s_movk_i32 s10, 0x47
	v_cmp_gt_i32_e32 vcc, s10, v2
	s_mov_b64 s[12:13], -1
	s_and_saveexec_b64 s[76:77], vcc
; %bb.274:                              ;   in Loop: Header=BB25_12 Depth=1
	v_cmp_eq_u32_e32 vcc, 0, v2
	s_orn2_b64 s[12:13], vcc, exec
; %bb.275:                              ;   in Loop: Header=BB25_12 Depth=1
	s_or_b64 exec, exec, s[76:77]
	s_and_b64 exec, exec, s[12:13]
	s_cbranch_execz .LBB25_10
; %bb.276:                              ;   in Loop: Header=BB25_12 Depth=1
	v_add_u32_e32 v3, s82, v182
	v_or_b32_e32 v2, s63, v88
	v_cmp_gt_i32_e32 vcc, s36, v3
	v_cmp_gt_i32_e64 s[12:13], s86, v2
	s_and_b64 s[10:11], vcc, s[12:13]
	v_mov_b32_e32 v2, 0x47
	s_and_saveexec_b64 s[12:13], s[10:11]
	s_cbranch_execz .LBB25_278
; %bb.277:                              ;   in Loop: Header=BB25_12 Depth=1
	v_mad_u64_u32 v[2:3], s[10:11], v3, s37, v[88:89]
	v_add_u32_e32 v12, 0, v159
	v_add_u32_e32 v3, v143, v159
	ds_read2_b32 v[4:5], v12 offset0:64 offset1:65
	ds_read2st64_b32 v[6:7], v3 offset1:17
	ds_read2st64_b32 v[8:9], v12 offset0:18 offset1:35
	ds_read2st64_b32 v[10:11], v3 offset0:34 offset1:51
	ds_read_b32 v12, v12 offset:13312
	v_lshl_add_u32 v2, v2, 6, v46
	s_waitcnt lgkmcnt(3)
	v_cvt_f32_f16_e32 v14, v6
	v_cvt_f32_f16_sdwa v15, v6 dst_sel:DWORD dst_unused:UNUSED_PAD src0_sel:WORD_1
	v_cvt_f32_f16_e32 v6, v7
	v_cvt_f32_f16_sdwa v7, v7 dst_sel:DWORD dst_unused:UNUSED_PAD src0_sel:WORD_1
	v_ashrrev_i32_e32 v3, 31, v2
	v_pk_fma_f32 v[14:15], v[4:5], v[14:15], 0 op_sel_hi:[0,1,0]
	s_waitcnt lgkmcnt(2)
	v_mov_b32_e32 v4, v9
	v_pk_fma_f32 v[6:7], v[8:9], v[6:7], v[14:15] op_sel_hi:[0,1,1]
	s_waitcnt lgkmcnt(1)
	v_cvt_f32_f16_e32 v14, v10
	v_cvt_f32_f16_sdwa v15, v10 dst_sel:DWORD dst_unused:UNUSED_PAD src0_sel:WORD_1
	v_cvt_f32_f16_e32 v8, v11
	v_cvt_f32_f16_sdwa v9, v11 dst_sel:DWORD dst_unused:UNUSED_PAD src0_sel:WORD_1
	v_lshl_add_u64 v[2:3], v[2:3], 3, s[72:73]
	v_pk_fma_f32 v[6:7], v[4:5], v[14:15], v[6:7] op_sel_hi:[0,1,1]
	s_waitcnt lgkmcnt(0)
	v_pk_fma_f32 v[6:7], v[12:13], v[8:9], v[6:7] op_sel_hi:[0,1,1]
	v_div_scale_f32 v4, s[10:11], v5, v5, v7
	v_rcp_f32_e32 v8, v4
	s_nop 0
	v_fma_f32 v9, -v4, v8, 1.0
	v_fmac_f32_e32 v8, v9, v8
	v_div_scale_f32 v9, vcc, v7, v5, v7
	v_mul_f32_e32 v10, v9, v8
	v_fma_f32 v11, -v4, v10, v9
	v_fmac_f32_e32 v10, v11, v8
	v_fma_f32 v4, -v4, v10, v9
	v_div_fmas_f32 v4, v4, v8, v10
	v_div_fixup_f32 v7, v4, v5, v7
	v_div_scale_f32 v4, s[10:11], v5, v5, v6
	v_rcp_f32_e32 v8, v4
	s_nop 0
	v_fma_f32 v9, -v4, v8, 1.0
	v_fmac_f32_e32 v8, v9, v8
	v_div_scale_f32 v9, vcc, v6, v5, v6
	v_mul_f32_e32 v10, v9, v8
	v_fma_f32 v11, -v4, v10, v9
	v_fmac_f32_e32 v10, v11, v8
	v_fma_f32 v4, -v4, v10, v9
	v_div_fmas_f32 v4, v4, v8, v10
	v_div_fixup_f32 v6, v4, v5, v6
	global_store_dwordx2 v[2:3], v[6:7], off
	v_mov_b32_e32 v2, 0
.LBB25_278:                             ;   in Loop: Header=BB25_12 Depth=1
	s_or_b64 exec, exec, s[12:13]
	s_movk_i32 s10, 0x47
	v_cmp_gt_i32_e32 vcc, s10, v2
	s_mov_b64 s[12:13], -1
	s_and_saveexec_b64 s[76:77], vcc
; %bb.279:                              ;   in Loop: Header=BB25_12 Depth=1
	v_cmp_eq_u32_e32 vcc, 0, v2
	s_orn2_b64 s[12:13], vcc, exec
; %bb.280:                              ;   in Loop: Header=BB25_12 Depth=1
	s_or_b64 exec, exec, s[76:77]
	s_and_b64 exec, exec, s[12:13]
	s_cbranch_execz .LBB25_10
; %bb.281:                              ;   in Loop: Header=BB25_12 Depth=1
	v_add_u32_e32 v3, s82, v183
	v_or_b32_e32 v2, s63, v90
	v_cmp_gt_i32_e32 vcc, s36, v3
	v_cmp_gt_i32_e64 s[12:13], s86, v2
	s_and_b64 s[10:11], vcc, s[12:13]
	v_mov_b32_e32 v2, 0x47
	s_and_saveexec_b64 s[12:13], s[10:11]
	s_cbranch_execz .LBB25_283
; %bb.282:                              ;   in Loop: Header=BB25_12 Depth=1
	v_mad_u64_u32 v[2:3], s[10:11], v3, s37, v[90:91]
	v_add_u32_e32 v12, 0, v160
	v_add_u32_e32 v3, v143, v160
	ds_read2_b32 v[4:5], v12 offset0:64 offset1:65
	ds_read2st64_b32 v[6:7], v3 offset1:17
	ds_read2st64_b32 v[8:9], v12 offset0:18 offset1:35
	ds_read2st64_b32 v[10:11], v3 offset0:34 offset1:51
	ds_read_b32 v12, v12 offset:13312
	v_lshl_add_u32 v2, v2, 6, v46
	s_waitcnt lgkmcnt(3)
	v_cvt_f32_f16_e32 v14, v6
	v_cvt_f32_f16_sdwa v15, v6 dst_sel:DWORD dst_unused:UNUSED_PAD src0_sel:WORD_1
	v_cvt_f32_f16_e32 v6, v7
	v_cvt_f32_f16_sdwa v7, v7 dst_sel:DWORD dst_unused:UNUSED_PAD src0_sel:WORD_1
	v_ashrrev_i32_e32 v3, 31, v2
	v_pk_fma_f32 v[14:15], v[4:5], v[14:15], 0 op_sel_hi:[0,1,0]
	s_waitcnt lgkmcnt(2)
	v_mov_b32_e32 v4, v9
	v_pk_fma_f32 v[6:7], v[8:9], v[6:7], v[14:15] op_sel_hi:[0,1,1]
	s_waitcnt lgkmcnt(1)
	v_cvt_f32_f16_e32 v14, v10
	v_cvt_f32_f16_sdwa v15, v10 dst_sel:DWORD dst_unused:UNUSED_PAD src0_sel:WORD_1
	v_cvt_f32_f16_e32 v8, v11
	v_cvt_f32_f16_sdwa v9, v11 dst_sel:DWORD dst_unused:UNUSED_PAD src0_sel:WORD_1
	v_lshl_add_u64 v[2:3], v[2:3], 3, s[72:73]
	v_pk_fma_f32 v[6:7], v[4:5], v[14:15], v[6:7] op_sel_hi:[0,1,1]
	s_waitcnt lgkmcnt(0)
	v_pk_fma_f32 v[6:7], v[12:13], v[8:9], v[6:7] op_sel_hi:[0,1,1]
	v_div_scale_f32 v4, s[10:11], v5, v5, v7
	v_rcp_f32_e32 v8, v4
	s_nop 0
	v_fma_f32 v9, -v4, v8, 1.0
	v_fmac_f32_e32 v8, v9, v8
	v_div_scale_f32 v9, vcc, v7, v5, v7
	v_mul_f32_e32 v10, v9, v8
	v_fma_f32 v11, -v4, v10, v9
	v_fmac_f32_e32 v10, v11, v8
	v_fma_f32 v4, -v4, v10, v9
	v_div_fmas_f32 v4, v4, v8, v10
	v_div_fixup_f32 v7, v4, v5, v7
	v_div_scale_f32 v4, s[10:11], v5, v5, v6
	v_rcp_f32_e32 v8, v4
	s_nop 0
	v_fma_f32 v9, -v4, v8, 1.0
	v_fmac_f32_e32 v8, v9, v8
	v_div_scale_f32 v9, vcc, v6, v5, v6
	v_mul_f32_e32 v10, v9, v8
	v_fma_f32 v11, -v4, v10, v9
	v_fmac_f32_e32 v10, v11, v8
	v_fma_f32 v4, -v4, v10, v9
	v_div_fmas_f32 v4, v4, v8, v10
	v_div_fixup_f32 v6, v4, v5, v6
	global_store_dwordx2 v[2:3], v[6:7], off
	v_mov_b32_e32 v2, 0
.LBB25_283:                             ;   in Loop: Header=BB25_12 Depth=1
	s_or_b64 exec, exec, s[12:13]
	s_movk_i32 s10, 0x47
	v_cmp_gt_i32_e32 vcc, s10, v2
	s_mov_b64 s[12:13], -1
	s_and_saveexec_b64 s[76:77], vcc
; %bb.284:                              ;   in Loop: Header=BB25_12 Depth=1
	v_cmp_eq_u32_e32 vcc, 0, v2
	s_orn2_b64 s[12:13], vcc, exec
; %bb.285:                              ;   in Loop: Header=BB25_12 Depth=1
	s_or_b64 exec, exec, s[76:77]
	s_and_b64 exec, exec, s[12:13]
	s_cbranch_execz .LBB25_10
; %bb.286:                              ;   in Loop: Header=BB25_12 Depth=1
	v_add_u32_e32 v3, s82, v161
	v_cmp_gt_i32_e32 vcc, s36, v3
	s_and_b64 s[10:11], vcc, s[8:9]
	v_mov_b32_e32 v2, 0x47
	s_and_saveexec_b64 s[8:9], s[10:11]
	s_cbranch_execz .LBB25_288
; %bb.287:                              ;   in Loop: Header=BB25_12 Depth=1
	v_mad_u64_u32 v[2:3], s[10:11], v3, s37, v[102:103]
	v_add_u32_e32 v12, 0, v162
	v_add_u32_e32 v3, v143, v162
	ds_read2_b32 v[4:5], v12 offset0:64 offset1:65
	ds_read2st64_b32 v[6:7], v3 offset1:17
	ds_read2st64_b32 v[8:9], v12 offset0:18 offset1:35
	ds_read2st64_b32 v[10:11], v3 offset0:34 offset1:51
	ds_read_b32 v12, v12 offset:13312
	v_lshl_add_u32 v2, v2, 6, v46
	s_waitcnt lgkmcnt(3)
	v_cvt_f32_f16_e32 v14, v6
	v_cvt_f32_f16_sdwa v15, v6 dst_sel:DWORD dst_unused:UNUSED_PAD src0_sel:WORD_1
	v_cvt_f32_f16_e32 v6, v7
	v_cvt_f32_f16_sdwa v7, v7 dst_sel:DWORD dst_unused:UNUSED_PAD src0_sel:WORD_1
	v_ashrrev_i32_e32 v3, 31, v2
	v_pk_fma_f32 v[14:15], v[4:5], v[14:15], 0 op_sel_hi:[0,1,0]
	s_waitcnt lgkmcnt(2)
	v_mov_b32_e32 v4, v9
	v_pk_fma_f32 v[6:7], v[8:9], v[6:7], v[14:15] op_sel_hi:[0,1,1]
	s_waitcnt lgkmcnt(1)
	v_cvt_f32_f16_e32 v14, v10
	v_cvt_f32_f16_sdwa v15, v10 dst_sel:DWORD dst_unused:UNUSED_PAD src0_sel:WORD_1
	v_cvt_f32_f16_e32 v8, v11
	v_cvt_f32_f16_sdwa v9, v11 dst_sel:DWORD dst_unused:UNUSED_PAD src0_sel:WORD_1
	v_lshl_add_u64 v[2:3], v[2:3], 3, s[72:73]
	v_pk_fma_f32 v[6:7], v[4:5], v[14:15], v[6:7] op_sel_hi:[0,1,1]
	s_waitcnt lgkmcnt(0)
	v_pk_fma_f32 v[6:7], v[12:13], v[8:9], v[6:7] op_sel_hi:[0,1,1]
	v_div_scale_f32 v4, s[10:11], v5, v5, v7
	v_rcp_f32_e32 v8, v4
	s_nop 0
	v_fma_f32 v9, -v4, v8, 1.0
	v_fmac_f32_e32 v8, v9, v8
	v_div_scale_f32 v9, vcc, v7, v5, v7
	v_mul_f32_e32 v10, v9, v8
	v_fma_f32 v11, -v4, v10, v9
	v_fmac_f32_e32 v10, v11, v8
	v_fma_f32 v4, -v4, v10, v9
	v_div_fmas_f32 v4, v4, v8, v10
	v_div_fixup_f32 v7, v4, v5, v7
	v_div_scale_f32 v4, s[10:11], v5, v5, v6
	v_rcp_f32_e32 v8, v4
	s_nop 0
	v_fma_f32 v9, -v4, v8, 1.0
	v_fmac_f32_e32 v8, v9, v8
	v_div_scale_f32 v9, vcc, v6, v5, v6
	v_mul_f32_e32 v10, v9, v8
	v_fma_f32 v11, -v4, v10, v9
	v_fmac_f32_e32 v10, v11, v8
	v_fma_f32 v4, -v4, v10, v9
	v_div_fmas_f32 v4, v4, v8, v10
	v_div_fixup_f32 v6, v4, v5, v6
	global_store_dwordx2 v[2:3], v[6:7], off
	v_mov_b32_e32 v2, 0
.LBB25_288:                             ;   in Loop: Header=BB25_12 Depth=1
	s_or_b64 exec, exec, s[8:9]
	s_movk_i32 s8, 0x47
	v_cmp_gt_i32_e32 vcc, s8, v2
	s_mov_b64 s[8:9], -1
	s_and_saveexec_b64 s[12:13], vcc
; %bb.289:                              ;   in Loop: Header=BB25_12 Depth=1
	v_cmp_eq_u32_e32 vcc, 0, v2
	s_orn2_b64 s[8:9], vcc, exec
; %bb.290:                              ;   in Loop: Header=BB25_12 Depth=1
	s_or_b64 exec, exec, s[12:13]
	s_and_b64 exec, exec, s[8:9]
	s_cbranch_execz .LBB25_10
; %bb.291:                              ;   in Loop: Header=BB25_12 Depth=1
	v_add_u32_e32 v3, s82, v184
	v_or_b32_e32 v2, s63, v92
	v_cmp_gt_i32_e32 vcc, s36, v3
	v_cmp_gt_i32_e64 s[8:9], s86, v2
	s_and_b64 s[10:11], vcc, s[8:9]
	v_mov_b32_e32 v2, 0x47
	s_and_saveexec_b64 s[8:9], s[10:11]
	s_cbranch_execz .LBB25_293
; %bb.292:                              ;   in Loop: Header=BB25_12 Depth=1
	v_mad_u64_u32 v[2:3], s[10:11], v3, s37, v[92:93]
	v_add_u32_e32 v12, 0, v163
	v_add_u32_e32 v3, v143, v163
	ds_read2_b32 v[4:5], v12 offset0:64 offset1:65
	ds_read2st64_b32 v[6:7], v3 offset1:17
	ds_read2st64_b32 v[8:9], v12 offset0:18 offset1:35
	ds_read2st64_b32 v[10:11], v3 offset0:34 offset1:51
	ds_read_b32 v12, v12 offset:13312
	v_lshl_add_u32 v2, v2, 6, v46
	s_waitcnt lgkmcnt(3)
	v_cvt_f32_f16_e32 v14, v6
	v_cvt_f32_f16_sdwa v15, v6 dst_sel:DWORD dst_unused:UNUSED_PAD src0_sel:WORD_1
	v_cvt_f32_f16_e32 v6, v7
	v_cvt_f32_f16_sdwa v7, v7 dst_sel:DWORD dst_unused:UNUSED_PAD src0_sel:WORD_1
	v_ashrrev_i32_e32 v3, 31, v2
	v_pk_fma_f32 v[14:15], v[4:5], v[14:15], 0 op_sel_hi:[0,1,0]
	s_waitcnt lgkmcnt(2)
	v_mov_b32_e32 v4, v9
	v_pk_fma_f32 v[6:7], v[8:9], v[6:7], v[14:15] op_sel_hi:[0,1,1]
	s_waitcnt lgkmcnt(1)
	v_cvt_f32_f16_e32 v14, v10
	v_cvt_f32_f16_sdwa v15, v10 dst_sel:DWORD dst_unused:UNUSED_PAD src0_sel:WORD_1
	v_cvt_f32_f16_e32 v8, v11
	v_cvt_f32_f16_sdwa v9, v11 dst_sel:DWORD dst_unused:UNUSED_PAD src0_sel:WORD_1
	v_lshl_add_u64 v[2:3], v[2:3], 3, s[72:73]
	v_pk_fma_f32 v[6:7], v[4:5], v[14:15], v[6:7] op_sel_hi:[0,1,1]
	s_waitcnt lgkmcnt(0)
	v_pk_fma_f32 v[6:7], v[12:13], v[8:9], v[6:7] op_sel_hi:[0,1,1]
	v_div_scale_f32 v4, s[10:11], v5, v5, v7
	v_rcp_f32_e32 v8, v4
	s_nop 0
	v_fma_f32 v9, -v4, v8, 1.0
	v_fmac_f32_e32 v8, v9, v8
	v_div_scale_f32 v9, vcc, v7, v5, v7
	v_mul_f32_e32 v10, v9, v8
	v_fma_f32 v11, -v4, v10, v9
	v_fmac_f32_e32 v10, v11, v8
	v_fma_f32 v4, -v4, v10, v9
	v_div_fmas_f32 v4, v4, v8, v10
	v_div_fixup_f32 v7, v4, v5, v7
	v_div_scale_f32 v4, s[10:11], v5, v5, v6
	v_rcp_f32_e32 v8, v4
	s_nop 0
	v_fma_f32 v9, -v4, v8, 1.0
	v_fmac_f32_e32 v8, v9, v8
	v_div_scale_f32 v9, vcc, v6, v5, v6
	v_mul_f32_e32 v10, v9, v8
	v_fma_f32 v11, -v4, v10, v9
	v_fmac_f32_e32 v10, v11, v8
	v_fma_f32 v4, -v4, v10, v9
	v_div_fmas_f32 v4, v4, v8, v10
	v_div_fixup_f32 v6, v4, v5, v6
	global_store_dwordx2 v[2:3], v[6:7], off
	v_mov_b32_e32 v2, 0
.LBB25_293:                             ;   in Loop: Header=BB25_12 Depth=1
	s_or_b64 exec, exec, s[8:9]
	s_movk_i32 s8, 0x47
	v_cmp_gt_i32_e32 vcc, s8, v2
	s_mov_b64 s[8:9], -1
	s_and_saveexec_b64 s[12:13], vcc
; %bb.294:                              ;   in Loop: Header=BB25_12 Depth=1
	v_cmp_eq_u32_e32 vcc, 0, v2
	s_orn2_b64 s[8:9], vcc, exec
; %bb.295:                              ;   in Loop: Header=BB25_12 Depth=1
	s_or_b64 exec, exec, s[12:13]
	s_and_b64 exec, exec, s[8:9]
	s_cbranch_execz .LBB25_10
; %bb.296:                              ;   in Loop: Header=BB25_12 Depth=1
	v_add_u32_e32 v3, s82, v185
	v_or_b32_e32 v2, s63, v94
	v_cmp_gt_i32_e32 vcc, s36, v3
	v_cmp_gt_i32_e64 s[8:9], s86, v2
	s_and_b64 s[10:11], vcc, s[8:9]
	v_mov_b32_e32 v2, 0x47
	s_and_saveexec_b64 s[8:9], s[10:11]
	s_cbranch_execz .LBB25_298
; %bb.297:                              ;   in Loop: Header=BB25_12 Depth=1
	v_mad_u64_u32 v[2:3], s[10:11], v3, s37, v[94:95]
	v_add_u32_e32 v12, 0, v164
	v_add_u32_e32 v3, v143, v164
	ds_read2_b32 v[4:5], v12 offset0:64 offset1:65
	ds_read2st64_b32 v[6:7], v3 offset1:17
	ds_read2st64_b32 v[8:9], v12 offset0:18 offset1:35
	ds_read2st64_b32 v[10:11], v3 offset0:34 offset1:51
	ds_read_b32 v12, v12 offset:13312
	v_lshl_add_u32 v2, v2, 6, v46
	s_waitcnt lgkmcnt(3)
	v_cvt_f32_f16_e32 v14, v6
	v_cvt_f32_f16_sdwa v15, v6 dst_sel:DWORD dst_unused:UNUSED_PAD src0_sel:WORD_1
	v_cvt_f32_f16_e32 v6, v7
	v_cvt_f32_f16_sdwa v7, v7 dst_sel:DWORD dst_unused:UNUSED_PAD src0_sel:WORD_1
	v_ashrrev_i32_e32 v3, 31, v2
	v_pk_fma_f32 v[14:15], v[4:5], v[14:15], 0 op_sel_hi:[0,1,0]
	s_waitcnt lgkmcnt(2)
	v_mov_b32_e32 v4, v9
	v_pk_fma_f32 v[6:7], v[8:9], v[6:7], v[14:15] op_sel_hi:[0,1,1]
	s_waitcnt lgkmcnt(1)
	v_cvt_f32_f16_e32 v14, v10
	v_cvt_f32_f16_sdwa v15, v10 dst_sel:DWORD dst_unused:UNUSED_PAD src0_sel:WORD_1
	v_cvt_f32_f16_e32 v8, v11
	v_cvt_f32_f16_sdwa v9, v11 dst_sel:DWORD dst_unused:UNUSED_PAD src0_sel:WORD_1
	v_lshl_add_u64 v[2:3], v[2:3], 3, s[72:73]
	v_pk_fma_f32 v[6:7], v[4:5], v[14:15], v[6:7] op_sel_hi:[0,1,1]
	s_waitcnt lgkmcnt(0)
	v_pk_fma_f32 v[6:7], v[12:13], v[8:9], v[6:7] op_sel_hi:[0,1,1]
	v_div_scale_f32 v4, s[10:11], v5, v5, v7
	v_rcp_f32_e32 v8, v4
	s_nop 0
	v_fma_f32 v9, -v4, v8, 1.0
	v_fmac_f32_e32 v8, v9, v8
	v_div_scale_f32 v9, vcc, v7, v5, v7
	v_mul_f32_e32 v10, v9, v8
	v_fma_f32 v11, -v4, v10, v9
	v_fmac_f32_e32 v10, v11, v8
	v_fma_f32 v4, -v4, v10, v9
	v_div_fmas_f32 v4, v4, v8, v10
	v_div_fixup_f32 v7, v4, v5, v7
	v_div_scale_f32 v4, s[10:11], v5, v5, v6
	v_rcp_f32_e32 v8, v4
	s_nop 0
	v_fma_f32 v9, -v4, v8, 1.0
	v_fmac_f32_e32 v8, v9, v8
	v_div_scale_f32 v9, vcc, v6, v5, v6
	v_mul_f32_e32 v10, v9, v8
	v_fma_f32 v11, -v4, v10, v9
	v_fmac_f32_e32 v10, v11, v8
	v_fma_f32 v4, -v4, v10, v9
	v_div_fmas_f32 v4, v4, v8, v10
	v_div_fixup_f32 v6, v4, v5, v6
	global_store_dwordx2 v[2:3], v[6:7], off
	v_mov_b32_e32 v2, 0
.LBB25_298:                             ;   in Loop: Header=BB25_12 Depth=1
	s_or_b64 exec, exec, s[8:9]
	s_movk_i32 s8, 0x47
	v_cmp_gt_i32_e32 vcc, s8, v2
	s_mov_b64 s[8:9], -1
	s_and_saveexec_b64 s[12:13], vcc
; %bb.299:                              ;   in Loop: Header=BB25_12 Depth=1
	v_cmp_eq_u32_e32 vcc, 0, v2
	s_orn2_b64 s[8:9], vcc, exec
; %bb.300:                              ;   in Loop: Header=BB25_12 Depth=1
	s_or_b64 exec, exec, s[12:13]
	s_and_b64 exec, exec, s[8:9]
	s_cbranch_execz .LBB25_10
; %bb.301:                              ;   in Loop: Header=BB25_12 Depth=1
	v_add_u32_e32 v2, s82, v186
	v_or_b32_e32 v3, s63, v96
	v_cmp_gt_i32_e32 vcc, s36, v2
	v_cmp_gt_i32_e64 s[8:9], s86, v3
	s_and_b64 s[8:9], vcc, s[8:9]
	s_and_b64 exec, exec, s[8:9]
	s_cbranch_execz .LBB25_10
; %bb.302:                              ;   in Loop: Header=BB25_12 Depth=1
	v_add_u32_e32 v12, v143, v165
	ds_read2st64_b32 v[4:5], v12 offset1:17
	v_add_u32_e32 v14, 0, v165
	ds_read2_b32 v[6:7], v14 offset0:64 offset1:65
	v_mad_u64_u32 v[2:3], s[8:9], v2, s37, v[96:97]
	s_waitcnt lgkmcnt(1)
	v_cvt_f32_f16_e32 v8, v4
	v_cvt_f32_f16_sdwa v9, v4 dst_sel:DWORD dst_unused:UNUSED_PAD src0_sel:WORD_1
	ds_read2st64_b32 v[10:11], v14 offset0:18 offset1:35
	ds_read2st64_b32 v[12:13], v12 offset0:34 offset1:51
	ds_read_b32 v4, v14 offset:13312
	v_cvt_f32_f16_e32 v14, v5
	v_cvt_f32_f16_sdwa v15, v5 dst_sel:DWORD dst_unused:UNUSED_PAD src0_sel:WORD_1
	s_waitcnt lgkmcnt(3)
	v_pk_fma_f32 v[8:9], v[6:7], v[8:9], 0 op_sel_hi:[0,1,0]
	s_waitcnt lgkmcnt(1)
	v_cvt_f32_f16_e32 v16, v12
	v_cvt_f32_f16_sdwa v17, v12 dst_sel:DWORD dst_unused:UNUSED_PAD src0_sel:WORD_1
	v_cvt_f32_f16_e32 v12, v13
	v_cvt_f32_f16_sdwa v13, v13 dst_sel:DWORD dst_unused:UNUSED_PAD src0_sel:WORD_1
	v_pk_fma_f32 v[8:9], v[10:11], v[14:15], v[8:9] op_sel_hi:[0,1,1]
	v_mov_b32_e32 v6, v11
	v_pk_fma_f32 v[8:9], v[6:7], v[16:17], v[8:9] op_sel_hi:[0,1,1]
	s_waitcnt lgkmcnt(0)
	v_pk_fma_f32 v[4:5], v[4:5], v[12:13], v[8:9] op_sel_hi:[0,1,1]
	v_div_scale_f32 v6, s[8:9], v7, v7, v5
	v_rcp_f32_e32 v8, v6
	v_lshl_add_u32 v2, v2, 6, v46
	v_ashrrev_i32_e32 v3, 31, v2
	v_lshl_add_u64 v[2:3], v[2:3], 3, s[72:73]
	v_fma_f32 v9, -v6, v8, 1.0
	v_fmac_f32_e32 v8, v9, v8
	v_div_scale_f32 v9, vcc, v5, v7, v5
	v_mul_f32_e32 v10, v9, v8
	v_fma_f32 v11, -v6, v10, v9
	v_fmac_f32_e32 v10, v11, v8
	v_fma_f32 v6, -v6, v10, v9
	v_div_scale_f32 v9, s[8:9], v7, v7, v4
	v_rcp_f32_e32 v11, v9
	v_div_fmas_f32 v6, v6, v8, v10
	v_div_fixup_f32 v5, v6, v7, v5
	v_fma_f32 v6, -v9, v11, 1.0
	v_fmac_f32_e32 v11, v6, v11
	v_div_scale_f32 v6, vcc, v4, v7, v4
	v_mul_f32_e32 v8, v6, v11
	v_fma_f32 v10, -v9, v8, v6
	v_fmac_f32_e32 v8, v10, v11
	v_fma_f32 v6, -v9, v8, v6
	v_div_fmas_f32 v6, v6, v11, v8
	v_div_fixup_f32 v4, v6, v7, v4
	global_store_dwordx2 v[2:3], v[4:5], off
	s_branch .LBB25_10
.LBB25_303:
	v_readlane_b32 s33, v200, 12
	v_readlane_b32 s44, v200, 7
	;; [unrolled: 1-line block ×7, first 2 shown]
	s_andn2_b64 vcc, exec, s[8:9]
	s_cbranch_vccnz .LBB25_8
.LBB25_304:
	s_abs_i32 s0, s90
	v_cvt_f32_u32_e32 v2, s0
	s_sub_i32 s4, 0, s0
	s_abs_i32 s2, s54
	s_xor_b32 s1, s54, s90
	v_rcp_iflag_f32_e32 v2, v2
	s_ashr_i32 s1, s1, 31
	v_readlane_b32 s10, v200, 1
	v_mov_b32_e32 v16, s98
	v_mul_f32_e32 v2, 0x4f7ffffe, v2
	v_cvt_u32_f32_e32 v2, v2
	s_nop 0
	v_readfirstlane_b32 s5, v2
	s_mul_i32 s4, s4, s5
	s_mul_hi_u32 s4, s5, s4
	s_add_i32 s5, s5, s4
	s_mul_hi_u32 s4, s2, s5
	s_mul_i32 s5, s4, s0
	s_sub_i32 s2, s2, s5
	s_add_i32 s6, s4, 1
	s_sub_i32 s5, s2, s0
	s_cmp_ge_u32 s2, s0
	s_cselect_b32 s4, s6, s4
	s_cselect_b32 s2, s5, s2
	s_add_i32 s5, s4, 1
	s_cmp_ge_u32 s2, s0
	s_cselect_b32 s0, s5, s4
	s_abs_i32 s4, s89
	v_cvt_f32_u32_e32 v2, s4
	s_xor_b32 s0, s0, s1
	s_sub_i32 s5, 0, s4
	s_sub_i32 s2, s0, s1
	v_rcp_iflag_f32_e32 v2, v2
	s_mul_i32 s0, s2, s90
	s_sub_i32 s0, s54, s0
	s_abs_i32 s6, s0
	v_mul_f32_e32 v2, 0x4f7ffffe, v2
	v_cvt_u32_f32_e32 v2, v2
	s_xor_b32 s1, s0, s89
	s_ashr_i32 s1, s1, 31
	v_readfirstlane_b32 s7, v2
	s_mul_i32 s5, s5, s7
	s_mul_hi_u32 s5, s7, s5
	s_add_i32 s7, s7, s5
	s_mul_hi_u32 s5, s6, s7
	s_mul_i32 s7, s5, s4
	s_sub_i32 s6, s6, s7
	s_add_i32 s8, s5, 1
	s_sub_i32 s7, s6, s4
	s_cmp_ge_u32 s6, s4
	s_cselect_b32 s5, s8, s5
	s_cselect_b32 s6, s7, s6
	s_add_i32 s7, s5, 1
	s_cmp_ge_u32 s6, s4
	s_cselect_b32 s4, s7, s5
	s_abs_i32 s5, s10
	v_cvt_f32_u32_e32 v2, s5
	s_xor_b32 s4, s4, s1
	s_sub_i32 s6, 0, s5
	s_sub_i32 s8, s4, s1
	v_rcp_iflag_f32_e32 v2, v2
	s_mul_i32 s1, s8, s89
	s_sub_i32 s1, s0, s1
	s_abs_i32 s4, s1
	v_mul_f32_e32 v2, 0x4f7ffffe, v2
	v_cvt_u32_f32_e32 v2, v2
	s_xor_b32 s0, s1, s10
	s_ashr_i32 s0, s0, 31
	v_readfirstlane_b32 s7, v2
	s_mul_i32 s6, s6, s7
	s_mul_hi_u32 s6, s7, s6
	s_add_i32 s7, s7, s6
	s_mul_hi_u32 s6, s4, s7
	s_mul_i32 s7, s6, s5
	s_sub_i32 s4, s4, s7
	s_add_i32 s9, s6, 1
	s_sub_i32 s7, s4, s5
	s_cmp_ge_u32 s4, s5
	s_cselect_b32 s6, s9, s6
	s_cselect_b32 s4, s7, s4
	s_add_i32 s7, s6, 1
	s_cmp_ge_u32 s4, s5
	s_cselect_b32 s4, s7, s6
	s_xor_b32 s4, s4, s0
	s_sub_i32 s0, s4, s0
	s_mul_i32 s4, s0, s10
	s_sub_i32 s1, s1, s4
	s_ashr_i32 s4, s1, 31
	v_readlane_b32 s5, v200, 4
	s_abs_i32 s1, s1
	s_xor_b32 s4, s4, s5
	s_mul_hi_u32 s5, s1, s52
	s_mul_i32 s6, s5, s92
	s_sub_i32 s1, s1, s6
	s_add_i32 s6, s5, 1
	s_sub_i32 s7, s1, s92
	s_cmp_ge_u32 s1, s92
	s_cselect_b32 s5, s6, s5
	s_cselect_b32 s1, s7, s1
	s_add_i32 s6, s5, 1
	s_cmp_ge_u32 s1, s92
	s_cselect_b32 s1, s6, s5
	s_abs_i32 s9, s12
	v_cvt_f32_u32_e32 v2, s9
	s_xor_b32 s1, s1, s4
	s_sub_i32 s1, s1, s4
	s_cmp_eq_u64 s[26:27], 0
	v_rcp_iflag_f32_e32 v2, v2
	s_nop 0
	v_mul_f32_e32 v2, 0x4f7ffffe, v2
	v_cvt_u32_f32_e32 v2, v2
	s_nop 0
	v_readfirstlane_b32 s10, v2
	s_cbranch_scc1 .LBB25_306
; %bb.305:
	v_readlane_b32 s4, v200, 0
	s_mul_i32 s4, s2, s4
	s_add_i32 s4, s1, s4
	s_ashr_i32 s5, s4, 31
	s_lshl_b64 s[4:5], s[4:5], 2
	s_add_u32 s4, s26, s4
	s_addc_u32 s5, s27, s5
	v_mov_b32_e32 v2, 0
	global_load_dword v2, v2, s[4:5]
	s_waitcnt vmcnt(0)
	v_ashrrev_i32_e32 v3, 31, v2
	v_lshrrev_b32_e32 v3, 26, v3
	v_add_u32_e32 v2, v2, v3
	v_ashrrev_i32_e32 v2, 6, v2
	v_min_i32_e32 v16, s98, v2
.LBB25_306:
	s_mul_i32 s4, s8, s86
	s_lshl_b32 s5, s0, 2
	s_add_i32 s0, s5, s4
	s_mul_i32 s4, s2, s47
	s_ashr_i32 s6, s4, 31
	s_add_u32 s4, s16, s4
	s_mul_i32 s0, s0, s46
	s_addc_u32 s7, s17, s6
	s_ashr_i32 s11, s0, 31
	s_add_u32 s6, s4, s0
	s_addc_u32 s7, s7, s11
	s_lshl_b32 s11, s1, 2
	v_bfe_u32 v42, v85, 2, 8
	v_and_b32_e32 v40, 0x3ff, v0
	v_add_u32_e32 v2, s11, v42
	v_or_b32_e32 v0, s5, v75
	v_cmp_le_i32_e64 s[0:1], s36, v2
	v_cmp_le_i32_e64 s[4:5], s86, v0
	s_mov_b32 s12, 0x10001
	v_lshl_add_u32 v41, v40, 2, 0
	v_cmp_gt_i32_e32 vcc, s86, v0
	s_or_b64 s[0:1], s[0:1], s[4:5]
	s_and_saveexec_b64 s[4:5], s[0:1]
	s_xor_b64 s[0:1], exec, s[4:5]
; %bb.307:
	s_movk_i32 s4, 0x110
	v_mad_u32_u24 v0, v49, s4, v41
	v_mov_b32_e32 v2, 0
	ds_write_b32 v0, v2
                                        ; implicit-def: $vgpr2
; %bb.308:
	s_or_saveexec_b64 s[0:1], s[0:1]
	v_mul_lo_u32 v0, v83, s12
	s_xor_b64 exec, exec, s[0:1]
	s_cbranch_execz .LBB25_310
; %bb.309:
	v_mul_lo_u32 v2, v2, s55
	v_mul_lo_u32 v3, v75, s53
	v_add3_u32 v2, v3, v40, v2
	v_ashrrev_i32_e32 v3, 31, v2
	v_lshl_add_u64 v[2:3], v[2:3], 3, s[6:7]
	global_load_dwordx2 v[2:3], v[2:3], off
	s_movk_i32 s4, 0x110
	s_waitcnt vmcnt(0)
	v_cvt_pk_f16_f32 v2, v2, v3
	v_pk_mul_f16 v2, v2, v0
	v_mad_u32_u24 v3, v49, s4, v41
	ds_write_b32 v3, v2
.LBB25_310:
	s_or_b64 exec, exec, s[0:1]
	v_lshrrev_b32_e32 v2, 2, v81
	v_add_u32_e32 v2, s11, v2
	v_cmp_le_i32_e64 s[0:1], s36, v2
	s_xor_b64 s[4:5], vcc, -1
	s_sub_i32 s12, 0, s9
	s_or_b64 s[0:1], s[0:1], s[4:5]
	s_and_saveexec_b64 s[16:17], s[0:1]
	s_xor_b64 s[0:1], exec, s[16:17]
; %bb.311:
	s_movk_i32 s13, 0x110
	v_mad_u32_u24 v2, v81, s13, v41
	v_mov_b32_e32 v3, 0
	ds_write_b32 v2, v3
                                        ; implicit-def: $vgpr2
                                        ; implicit-def: $vgpr81
; %bb.312:
	s_or_saveexec_b64 s[0:1], s[0:1]
	s_mul_i32 s12, s12, s10
	s_xor_b64 exec, exec, s[0:1]
	s_cbranch_execz .LBB25_314
; %bb.313:
	v_mul_lo_u32 v2, v2, s55
	v_mul_lo_u32 v3, v75, s53
	v_add3_u32 v2, v3, v40, v2
	v_ashrrev_i32_e32 v3, 31, v2
	v_lshl_add_u64 v[2:3], v[2:3], 3, s[6:7]
	global_load_dwordx2 v[2:3], v[2:3], off
	s_movk_i32 s13, 0x110
	s_waitcnt vmcnt(0)
	v_cvt_pk_f16_f32 v2, v2, v3
	v_pk_mul_f16 v2, v2, v0
	v_mad_u32_u24 v3, v81, s13, v41
	ds_write_b32 v3, v2
.LBB25_314:
	s_or_b64 exec, exec, s[0:1]
	v_lshrrev_b32_e32 v2, 2, v79
	v_add_u32_e32 v2, s11, v2
	v_cmp_le_i32_e32 vcc, s36, v2
	s_mul_hi_u32 s12, s10, s12
	s_or_b64 s[0:1], vcc, s[4:5]
	s_and_saveexec_b64 s[16:17], s[0:1]
	s_xor_b64 s[0:1], exec, s[16:17]
; %bb.315:
	s_movk_i32 s13, 0x110
	v_mad_u32_u24 v2, v79, s13, v41
	v_mov_b32_e32 v3, 0
	ds_write_b32 v2, v3
                                        ; implicit-def: $vgpr2
                                        ; implicit-def: $vgpr79
; %bb.316:
	s_or_saveexec_b64 s[0:1], s[0:1]
	s_abs_i32 s15, s2
	s_add_i32 s10, s10, s12
	s_xor_b64 exec, exec, s[0:1]
	s_cbranch_execz .LBB25_318
; %bb.317:
	v_mul_lo_u32 v2, v2, s55
	v_mul_lo_u32 v3, v75, s53
	v_add3_u32 v2, v3, v40, v2
	v_ashrrev_i32_e32 v3, 31, v2
	v_lshl_add_u64 v[2:3], v[2:3], 3, s[6:7]
	global_load_dwordx2 v[2:3], v[2:3], off
	s_movk_i32 s12, 0x110
	s_waitcnt vmcnt(0)
	v_cvt_pk_f16_f32 v2, v2, v3
	v_pk_mul_f16 v2, v2, v0
	v_mad_u32_u24 v3, v79, s12, v41
	ds_write_b32 v3, v2
.LBB25_318:
	s_or_b64 exec, exec, s[0:1]
	v_lshrrev_b32_e32 v2, 2, v1
	v_add_u32_e32 v2, s11, v2
	v_cmp_le_i32_e32 vcc, s36, v2
	s_mul_hi_u32 s10, s15, s10
	s_or_b64 s[0:1], vcc, s[4:5]
	s_and_saveexec_b64 s[4:5], s[0:1]
	s_xor_b64 s[0:1], exec, s[4:5]
; %bb.319:
	s_movk_i32 s4, 0x110
	v_mad_u32_u24 v0, v1, s4, v41
	v_mov_b32_e32 v1, 0
	ds_write_b32 v0, v1
                                        ; implicit-def: $vgpr2
                                        ; implicit-def: $vgpr0
                                        ; implicit-def: $vgpr1
; %bb.320:
	s_or_saveexec_b64 s[0:1], s[0:1]
	s_ashr_i32 s16, s2, 31
	s_xor_b64 exec, exec, s[0:1]
	s_cbranch_execz .LBB25_322
; %bb.321:
	v_mul_lo_u32 v2, v2, s55
	v_mul_lo_u32 v3, v75, s53
	v_add3_u32 v2, v3, v40, v2
	v_ashrrev_i32_e32 v3, 31, v2
	v_lshl_add_u64 v[2:3], v[2:3], 3, s[6:7]
	global_load_dwordx2 v[2:3], v[2:3], off
	s_movk_i32 s4, 0x110
	v_mad_u32_u24 v1, v1, s4, v41
	s_waitcnt vmcnt(0)
	v_cvt_pk_f16_f32 v2, v2, v3
	v_pk_mul_f16 v0, v2, v0
	ds_write_b32 v1, v0
.LBB25_322:
	s_or_b64 exec, exec, s[0:1]
	s_mul_hi_u32 s0, s40, s2
	s_mul_i32 s1, s40, s16
	s_add_i32 s0, s0, s1
	s_mul_i32 s1, s41, s2
	v_readlane_b32 s4, v200, 2
	s_add_i32 s0, s0, s1
	s_mul_i32 s1, s40, s2
	v_readlane_b32 s5, v200, 3
	s_add_u32 s1, s18, s1
	s_mul_i32 s4, s8, s5
	s_addc_u32 s0, s19, s0
	s_ashr_i32 s5, s4, 31
	s_add_u32 s12, s1, s4
	s_mul_i32 s10, s10, s9
	s_addc_u32 s13, s0, s5
	s_sub_i32 s0, s15, s10
	s_sub_i32 s1, s0, s9
	s_cmp_ge_u32 s0, s9
	s_cselect_b32 s0, s1, s0
	s_sub_i32 s1, s0, s9
	s_cmp_ge_u32 s0, s9
	s_cselect_b32 s0, s1, s0
	s_xor_b32 s0, s0, s16
	s_sub_i32 s0, s0, s16
	s_ashr_i32 s1, s0, 31
	s_mul_i32 s1, s50, s1
	s_mul_hi_u32 s4, s50, s0
	s_add_i32 s1, s4, s1
	s_mul_i32 s4, s51, s0
	s_add_i32 s1, s1, s4
	s_mul_i32 s0, s50, s0
	s_add_u32 s4, s22, s0
	s_addc_u32 s5, s23, s1
	s_mul_hi_u32 s0, s48, s2
	s_mul_i32 s1, s48, s16
	s_add_i32 s0, s0, s1
	s_mul_i32 s1, s49, s2
	s_add_i32 s0, s0, s1
	s_mul_i32 s1, s48, s2
	s_add_u32 s1, s20, s1
	s_mul_i32 s8, s8, s43
	s_addc_u32 s0, s21, s0
	s_ashr_i32 s6, s8, 31
	s_add_u32 s2, s1, s8
	v_lshrrev_b32_e32 v1, 3, v40
	s_addc_u32 s10, s0, s6
	v_and_b32_e32 v17, 0xff0, v51
	s_movk_i32 s6, 0x110
	v_and_b32_e32 v43, 15, v40
	v_and_b32_e32 v1, 0x7e, v1
	v_mad_u32_u24 v0, v17, s6, 0
	v_mul_u32_u24_e32 v67, 0x110, v43
	v_lshlrev_b32_e32 v44, 2, v1
	v_add3_u32 v0, v0, v67, v44
	s_waitcnt lgkmcnt(0)
	s_barrier
	ds_read2_b64 v[12:15], v0 offset1:4
	ds_read2_b64 v[8:11], v0 offset0:8 offset1:12
	ds_read2_b64 v[4:7], v0 offset0:16 offset1:20
	;; [unrolled: 1-line block ×3, first 2 shown]
	v_add_u32_e32 v72, -1, v16
	v_lshrrev_b32_e32 v16, 5, v40
	v_cmp_ge_i32_e32 vcc, s82, v72
	v_lshl_add_u32 v70, v49, 1, v16
	s_and_b64 vcc, exec, vcc
	v_cmp_gt_u32_e64 s[0:1], 4, v70
	v_lshlrev_b32_e32 v68, 2, v40
	v_lshrrev_b32_e32 v69, 4, v40
	v_lshrrev_b32_e32 v57, 2, v40
	v_and_or_b32 v63, v40, 12, v17
	v_lshlrev_b32_e32 v54, 1, v43
	s_waitcnt lgkmcnt(0)
	s_barrier
	s_cbranch_vccnz .LBB25_345
; %bb.323:
	v_add_u32_e32 v16, s11, v70
	v_mul_hi_u32 v17, s34, v16
	v_add_u32_e32 v17, v16, v17
	v_lshrrev_b32_e32 v17, s35, v17
	v_mul_lo_u32 v17, v17, s36
	v_sub_u32_e32 v16, v16, v17
	v_mul_u32_u24_e32 v17, 0x90, v70
	v_and_b32_e32 v20, 0x7c, v68
	v_add3_u32 v73, 0, v17, v20
	v_mad_i64_i32 v[16:17], s[8:9], v16, s62, 0
	v_lshl_add_u64 v[16:17], v[16:17], 1, s[4:5]
	v_mov_b32_e32 v21, 0
	v_lshl_add_u64 v[22:23], v[16:17], 0, v[20:21]
	v_add_u32_e32 v17, v51, v69
	v_and_b32_e32 v16, 60, v68
	v_mul_u32_u24_e32 v18, 0x110, v17
	v_lshlrev_b32_e32 v19, 2, v16
	v_add3_u32 v74, 0, v18, v19
	v_and_b32_e32 v18, 48, v47
	v_and_b32_e32 v20, 0xfc, v57
	v_mad_u32_u24 v19, v18, s6, 0
	v_add_u16_e32 v18, v18, v20
	v_lshrrev_b32_e32 v32, 2, v63
	v_lshrrev_b16_e32 v18, 1, v18
	v_mul_u32_u24_e32 v32, 0x90, v32
	v_lshlrev_b32_e32 v18, 2, v18
	v_add3_u32 v18, 0, v32, v18
	v_mbcnt_hi_u32_b32 v32, -1, v77
	v_and_b32_e32 v33, 64, v32
	v_add_u32_e32 v33, 64, v33
	v_xor_b32_e32 v34, 32, v32
	v_cmp_lt_i32_e32 vcc, v34, v33
	v_mul_lo_u32 v24, s38, v17
	s_lshl_b32 s7, s38, 4
	v_cndmask_b32_e32 v34, v32, v34, vcc
	v_lshlrev_b32_e32 v81, 2, v34
	v_xor_b32_e32 v34, 16, v32
	v_cmp_lt_i32_e32 vcc, v34, v33
	s_lshl_b32 s6, s14, 4
	v_add_u32_e32 v26, s7, v24
	v_cndmask_b32_e32 v32, v32, v34, vcc
	v_lshlrev_b32_e32 v82, 2, v32
	v_mul_lo_u32 v32, s14, v17
	v_add_u32_e32 v34, s6, v32
	v_add_u32_e32 v28, s7, v26
	;; [unrolled: 1-line block ×3, first 2 shown]
	v_mul_u32_u24_e32 v17, 0x110, v20
	v_or_b32_e32 v20, 3, v57
	v_add_u32_e32 v30, s7, v28
	v_add_u32_e32 v38, s6, v36
	v_mul_u32_u24_e32 v20, 0x110, v20
	v_ashrrev_i32_e32 v25, 31, v24
	v_add_u32_e32 v76, 0x1100, v74
	v_ashrrev_i32_e32 v27, 31, v26
	v_add_u32_e32 v78, 0x2200, v74
	;; [unrolled: 2-line block ×3, first 2 shown]
	v_ashrrev_i32_e32 v31, 31, v30
	v_add3_u32 v80, v19, v67, v44
	v_ashrrev_i32_e32 v33, 31, v32
	v_ashrrev_i32_e32 v35, 31, v34
	;; [unrolled: 1-line block ×4, first 2 shown]
	v_add3_u32 v83, v19, v17, v54
	v_add3_u32 v84, v19, v20, v54
	s_lshl_b32 s6, s82, 6
	v_mov_b32_e32 v71, 0xfeffffff
	v_lshlrev_b32_e32 v20, 2, v16
	s_mov_b32 s15, 0x3f200000
	s_mov_b32 s16, 0x3fb8aa3b
	;; [unrolled: 1-line block ×4, first 2 shown]
	v_mov_b32_e32 v85, 0x3ca908c9
	s_brev_b32 s19, -2
	v_add_u32_e32 v86, 0x4400, v18
	s_mov_b32 s20, 0xc1a00000
	s_mov_b32 s21, 0x5040100
	v_mov_b32_e32 v87, 0x7f800000
	v_mov_b32_e32 v88, v21
	;; [unrolled: 1-line block ×18, first 2 shown]
                                        ; implicit-def: $vgpr16
                                        ; implicit-def: $vgpr16
	;; [unrolled: 1-line block ×3, first 2 shown]
	s_ashr_i32 s7, s6, 31
	s_and_saveexec_b64 s[8:9], s[0:1]
	s_cbranch_execz .LBB25_325
.LBB25_324:
	v_lshl_add_u64 v[16:17], s[6:7], 1, v[22:23]
	global_load_dword v16, v[16:17], off
	s_waitcnt vmcnt(0)
	ds_write_b32 v73, v16 offset:17408
.LBB25_325:                             ; =>This Inner Loop Header: Depth=1
	s_or_b64 exec, exec, s[8:9]
	s_mul_hi_i32 s9, s6, s38
	s_mul_i32 s8, s6, s38
	s_lshl_b64 s[8:9], s[8:9], 2
	s_add_u32 s8, s12, s8
	s_addc_u32 s9, s13, s9
	v_lshl_add_u64 v[16:17], v[24:25], 2, s[8:9]
	v_lshl_add_u64 v[102:103], v[16:17], 0, v[20:21]
	;; [unrolled: 1-line block ×8, first 2 shown]
	global_load_dwordx4 v[16:19], v[102:103], off
	global_load_dwordx4 v[90:93], v[104:105], off
	;; [unrolled: 1-line block ×4, first 2 shown]
                                        ; implicit-def: $vgpr89
	s_waitcnt vmcnt(3)
	ds_write_b128 v74, v[16:19]
	s_waitcnt vmcnt(2)
	ds_write_b128 v76, v[90:93]
	s_waitcnt vmcnt(1)
	ds_write_b128 v78, v[94:97]
	s_waitcnt vmcnt(0)
	ds_write_b128 v79, v[98:101]
	s_waitcnt lgkmcnt(0)
	s_barrier
	ds_read2_b64 v[16:19], v80 offset1:4
	s_waitcnt lgkmcnt(0)
	v_mfma_f32_16x16x16_f16 v[90:93], v[16:17], v[12:13], 0
	v_mfma_f32_16x16x16_f16 v[16:19], v[18:19], v[14:15], v[90:93]
	s_nop 6
	ds_read2_b64 v[90:93], v80 offset0:8 offset1:12
	s_waitcnt lgkmcnt(0)
	v_mfma_f32_16x16x16_f16 v[16:19], v[90:91], v[8:9], v[16:19]
	v_mfma_f32_16x16x16_f16 v[16:19], v[92:93], v[10:11], v[16:19]
	ds_read2_b64 v[90:93], v80 offset0:16 offset1:20
	s_waitcnt lgkmcnt(0)
	v_mfma_f32_16x16x16_f16 v[16:19], v[90:91], v[4:5], v[16:19]
	v_mfma_f32_16x16x16_f16 v[16:19], v[92:93], v[6:7], v[16:19]
	ds_read2_b64 v[90:93], v80 offset0:24 offset1:28
	s_waitcnt lgkmcnt(0)
	s_barrier
	v_mfma_f32_16x16x16_f16 v[16:19], v[90:91], v[0:1], v[16:19]
	v_mfma_f32_16x16x16_f16 v[16:19], v[92:93], v[2:3], v[16:19]
	s_nop 7
	v_cmp_nlt_f32_e64 s[8:9], |v16|, s15
	s_and_saveexec_b64 s[22:23], s[8:9]
	s_xor_b64 s[8:9], exec, s[22:23]
	s_cbranch_execz .LBB25_327
; %bb.326:                              ;   in Loop: Header=BB25_325 Depth=1
	v_add_f32_e64 v89, |v16|, |v16|
	v_mul_f32_e32 v90, 0x3fb8aa3b, v89
	v_rndne_f32_e32 v91, v90
	v_sub_f32_e32 v92, v90, v91
	v_fma_f32 v90, v89, s16, -v90
	v_fmac_f32_e32 v90, 0x32a5705f, v89
	v_add_f32_e32 v90, v92, v90
	v_cvt_i32_f32_e32 v91, v91
	v_exp_f32_e32 v90, v90
	v_cmp_ngt_f32_e32 vcc, s17, v89
	v_ldexp_f32 v90, v90, v91
	s_nop 0
	v_cndmask_b32_e32 v90, 0, v90, vcc
	v_cmp_nlt_f32_e32 vcc, s18, v89
	s_nop 1
	v_cndmask_b32_e32 v89, v87, v90, vcc
	v_add_f32_e32 v89, 1.0, v89
	v_rcp_f32_e32 v89, v89
	s_nop 0
	v_fma_f32 v89, v89, -2.0, 1.0
.LBB25_327:                             ;   in Loop: Header=BB25_325 Depth=1
	s_andn2_saveexec_b64 s[8:9], s[8:9]
; %bb.328:                              ;   in Loop: Header=BB25_325 Depth=1
	v_mul_f32_e32 v89, v16, v16
	v_fmamk_f32 v90, v89, 0xbbbac73d, v85
	v_fmaak_f32 v90, v89, v90, 0xbd5c1c4e
	v_fmaak_f32 v90, v89, v90, 0x3e088382
	;; [unrolled: 1-line block ×3, first 2 shown]
	v_mul_f32_e64 v90, |v16|, v90
	v_fma_f32 v89, v89, v90, |v16|
; %bb.329:                              ;   in Loop: Header=BB25_325 Depth=1
	s_or_b64 exec, exec, s[8:9]
	v_cmp_nlt_f32_e64 s[8:9], |v17|, s15
                                        ; implicit-def: $vgpr90
	s_and_saveexec_b64 s[22:23], s[8:9]
	s_xor_b64 s[8:9], exec, s[22:23]
	s_cbranch_execz .LBB25_331
; %bb.330:                              ;   in Loop: Header=BB25_325 Depth=1
	v_add_f32_e64 v90, |v17|, |v17|
	v_mul_f32_e32 v91, 0x3fb8aa3b, v90
	v_rndne_f32_e32 v92, v91
	v_sub_f32_e32 v93, v91, v92
	v_fma_f32 v91, v90, s16, -v91
	v_fmac_f32_e32 v91, 0x32a5705f, v90
	v_add_f32_e32 v91, v93, v91
	v_cvt_i32_f32_e32 v92, v92
	v_exp_f32_e32 v91, v91
	v_cmp_ngt_f32_e32 vcc, s17, v90
	v_ldexp_f32 v91, v91, v92
	s_nop 0
	v_cndmask_b32_e32 v91, 0, v91, vcc
	v_cmp_nlt_f32_e32 vcc, s18, v90
	s_nop 1
	v_cndmask_b32_e32 v90, v87, v91, vcc
	v_add_f32_e32 v90, 1.0, v90
	v_rcp_f32_e32 v90, v90
	s_nop 0
	v_fma_f32 v90, v90, -2.0, 1.0
.LBB25_331:                             ;   in Loop: Header=BB25_325 Depth=1
	s_andn2_saveexec_b64 s[8:9], s[8:9]
; %bb.332:                              ;   in Loop: Header=BB25_325 Depth=1
	v_mul_f32_e32 v90, v17, v17
	v_fmamk_f32 v91, v90, 0xbbbac73d, v85
	v_fmaak_f32 v91, v90, v91, 0xbd5c1c4e
	v_fmaak_f32 v91, v90, v91, 0x3e088382
	;; [unrolled: 1-line block ×3, first 2 shown]
	v_mul_f32_e64 v91, |v17|, v91
	v_fma_f32 v90, v90, v91, |v17|
; %bb.333:                              ;   in Loop: Header=BB25_325 Depth=1
	s_or_b64 exec, exec, s[8:9]
	v_cmp_nlt_f32_e64 s[8:9], |v18|, s15
                                        ; implicit-def: $vgpr91
	s_and_saveexec_b64 s[22:23], s[8:9]
	s_xor_b64 s[8:9], exec, s[22:23]
	s_cbranch_execz .LBB25_335
; %bb.334:                              ;   in Loop: Header=BB25_325 Depth=1
	v_add_f32_e64 v91, |v18|, |v18|
	v_mul_f32_e32 v92, 0x3fb8aa3b, v91
	v_rndne_f32_e32 v93, v92
	v_sub_f32_e32 v94, v92, v93
	v_fma_f32 v92, v91, s16, -v92
	v_fmac_f32_e32 v92, 0x32a5705f, v91
	v_add_f32_e32 v92, v94, v92
	v_cvt_i32_f32_e32 v93, v93
	v_exp_f32_e32 v92, v92
	v_cmp_ngt_f32_e32 vcc, s17, v91
	v_ldexp_f32 v92, v92, v93
	s_nop 0
	v_cndmask_b32_e32 v92, 0, v92, vcc
	v_cmp_nlt_f32_e32 vcc, s18, v91
	s_nop 1
	v_cndmask_b32_e32 v91, v87, v92, vcc
	v_add_f32_e32 v91, 1.0, v91
	v_rcp_f32_e32 v91, v91
	s_nop 0
	v_fma_f32 v91, v91, -2.0, 1.0
.LBB25_335:                             ;   in Loop: Header=BB25_325 Depth=1
	s_andn2_saveexec_b64 s[8:9], s[8:9]
; %bb.336:                              ;   in Loop: Header=BB25_325 Depth=1
	v_mul_f32_e32 v91, v18, v18
	v_fmamk_f32 v92, v91, 0xbbbac73d, v85
	v_fmaak_f32 v92, v91, v92, 0xbd5c1c4e
	v_fmaak_f32 v92, v91, v92, 0x3e088382
	;; [unrolled: 1-line block ×3, first 2 shown]
	v_mul_f32_e64 v92, |v18|, v92
	v_fma_f32 v91, v91, v92, |v18|
; %bb.337:                              ;   in Loop: Header=BB25_325 Depth=1
	s_or_b64 exec, exec, s[8:9]
	v_cmp_nlt_f32_e64 s[8:9], |v19|, s15
                                        ; implicit-def: $vgpr92
	s_and_saveexec_b64 s[22:23], s[8:9]
	s_xor_b64 s[8:9], exec, s[22:23]
	s_cbranch_execz .LBB25_339
; %bb.338:                              ;   in Loop: Header=BB25_325 Depth=1
	v_add_f32_e64 v92, |v19|, |v19|
	v_mul_f32_e32 v93, 0x3fb8aa3b, v92
	v_rndne_f32_e32 v94, v93
	v_sub_f32_e32 v95, v93, v94
	v_fma_f32 v93, v92, s16, -v93
	v_fmac_f32_e32 v93, 0x32a5705f, v92
	v_add_f32_e32 v93, v95, v93
	v_cvt_i32_f32_e32 v94, v94
	v_exp_f32_e32 v93, v93
	v_cmp_ngt_f32_e32 vcc, s17, v92
	v_ldexp_f32 v93, v93, v94
	s_nop 0
	v_cndmask_b32_e32 v93, 0, v93, vcc
	v_cmp_nlt_f32_e32 vcc, s18, v92
	s_nop 1
	v_cndmask_b32_e32 v92, v87, v93, vcc
	v_add_f32_e32 v92, 1.0, v92
	v_rcp_f32_e32 v92, v92
	s_nop 0
	v_fma_f32 v92, v92, -2.0, 1.0
.LBB25_339:                             ;   in Loop: Header=BB25_325 Depth=1
	s_andn2_saveexec_b64 s[8:9], s[8:9]
; %bb.340:                              ;   in Loop: Header=BB25_325 Depth=1
	v_mul_f32_e32 v92, v19, v19
	v_fmamk_f32 v93, v92, 0xbbbac73d, v85
	v_fmaak_f32 v93, v92, v93, 0xbd5c1c4e
	v_fmaak_f32 v93, v92, v93, 0x3e088382
	;; [unrolled: 1-line block ×3, first 2 shown]
	v_mul_f32_e64 v93, |v19|, v93
	v_fma_f32 v92, v92, v93, |v19|
; %bb.341:                              ;   in Loop: Header=BB25_325 Depth=1
	s_or_b64 exec, exec, s[8:9]
	ds_read2_b32 v[94:95], v86 offset1:1
	v_bfi_b32 v16, s19, v89, v16
	v_bfi_b32 v17, s19, v90, v17
	;; [unrolled: 1-line block ×4, first 2 shown]
	s_waitcnt lgkmcnt(0)
	v_fma_mix_f32 v16, s3, v16, v94 op_sel_hi:[0,0,1]
	v_fma_mix_f32 v89, s3, v17, v94 op_sel:[0,0,1] op_sel_hi:[0,0,1]
	v_fma_mix_f32 v112, s3, v18, v95 op_sel_hi:[0,0,1]
	v_fma_mix_f32 v19, s3, v19, v95 op_sel:[0,0,1] op_sel_hi:[0,0,1]
	v_add_f32_e32 v17, 0x40051340, v16
	v_add_f32_e32 v18, 0x40051340, v89
	v_max3_f32 v17, v71, v17, v18
	v_add_f32_e32 v18, 0x40051340, v112
	v_add_f32_e32 v90, 0x40051340, v19
	v_max3_f32 v17, v17, v18, v90
	ds_bpermute_b32 v18, v81, v17
	s_mul_hi_i32 s9, s6, s14
	s_mul_i32 s8, s6, s14
	s_lshl_b64 s[8:9], s[8:9], 2
	s_add_u32 s8, s2, s8
	s_waitcnt lgkmcnt(0)
	v_max_f32_e32 v18, v18, v18
	v_max_f32_e32 v17, v17, v18
	ds_bpermute_b32 v18, v82, v17
	s_addc_u32 s9, s10, s9
	v_lshl_add_u64 v[90:91], v[34:35], 2, s[8:9]
	v_lshl_add_u64 v[106:107], v[90:91], 0, v[20:21]
	;; [unrolled: 1-line block ×3, first 2 shown]
	s_waitcnt lgkmcnt(0)
	v_max_f32_e32 v18, v18, v18
	v_max_f32_e32 v18, v17, v18
	v_sub_f32_e32 v113, v16, v18
	v_lshl_add_u64 v[16:17], v[32:33], 2, s[8:9]
	v_lshl_add_u64 v[16:17], v[16:17], 0, v[20:21]
	;; [unrolled: 1-line block ×5, first 2 shown]
	global_load_dwordx4 v[90:93], v[16:17], off
	global_load_dwordx4 v[94:97], v[106:107], off
	;; [unrolled: 1-line block ×4, first 2 shown]
	v_mul_f32_e32 v114, 0x3fb8aa3b, v113
	v_fma_f32 v115, v113, s16, -v114
	v_rndne_f32_e32 v16, v114
	v_fmac_f32_e32 v115, 0x32a5705f, v113
	v_sub_f32_e32 v17, v114, v16
	v_add_f32_e32 v17, v17, v115
	v_exp_f32_e32 v17, v17
	v_cvt_i32_f32_e32 v16, v16
	v_cmp_ngt_f32_e32 vcc, s17, v113
	v_sub_f32_e32 v71, v71, v18
	s_add_i32 s82, s82, 1
	v_ldexp_f32 v16, v17, v16
	v_sub_f32_e32 v17, v89, v18
	v_mul_f32_e32 v89, 0x3fb8aa3b, v17
	v_fma_f32 v106, v17, s16, -v89
	v_rndne_f32_e32 v107, v89
	v_fmac_f32_e32 v106, 0x32a5705f, v17
	v_sub_f32_e32 v89, v89, v107
	v_add_f32_e32 v89, v89, v106
	v_exp_f32_e32 v89, v89
	v_cvt_i32_f32_e32 v106, v107
	v_cndmask_b32_e32 v16, 0, v16, vcc
	v_cmp_nlt_f32_e32 vcc, s18, v113
	s_add_i32 s6, s6, 64
	s_waitcnt vmcnt(3)
	ds_write_b128 v74, v[90:93]
	s_waitcnt vmcnt(2)
	ds_write_b128 v76, v[94:97]
	;; [unrolled: 2-line block ×4, first 2 shown]
	v_cndmask_b32_e32 v114, v87, v16, vcc
	v_ldexp_f32 v16, v89, v106
	v_sub_f32_e32 v89, v112, v18
	v_mul_f32_e32 v106, 0x3fb8aa3b, v89
	v_fma_f32 v107, v89, s16, -v106
	v_rndne_f32_e32 v108, v106
	v_fmac_f32_e32 v107, 0x32a5705f, v89
	v_sub_f32_e32 v106, v106, v108
	v_add_f32_e32 v106, v106, v107
	v_exp_f32_e32 v106, v106
	v_cvt_i32_f32_e32 v107, v108
	v_cmp_ngt_f32_e32 vcc, s17, v17
	s_waitcnt lgkmcnt(0)
	s_barrier
	v_cndmask_b32_e32 v16, 0, v16, vcc
	v_cmp_nlt_f32_e32 vcc, s18, v17
	v_sub_f32_e32 v17, v19, v18
	v_mul_f32_e32 v19, 0x3fb8aa3b, v17
	v_cndmask_b32_e32 v115, v87, v16, vcc
	v_ldexp_f32 v16, v106, v107
	v_fma_f32 v106, v17, s16, -v19
	v_rndne_f32_e32 v107, v19
	v_fmac_f32_e32 v106, 0x32a5705f, v17
	v_sub_f32_e32 v19, v19, v107
	v_add_f32_e32 v19, v19, v106
	v_cvt_i32_f32_e32 v106, v107
	v_mul_f32_e32 v107, 0x3fb8aa3b, v71
	v_fma_f32 v108, v71, s16, -v107
	v_rndne_f32_e32 v109, v107
	v_fmac_f32_e32 v108, 0x32a5705f, v71
	v_sub_f32_e32 v107, v107, v109
	v_add_f32_e32 v107, v107, v108
	v_exp_f32_e32 v19, v19
	v_exp_f32_e32 v107, v107
	v_cvt_i32_f32_e32 v108, v109
	v_cmp_ngt_f32_e32 vcc, s17, v89
	s_nop 1
	v_cndmask_b32_e32 v16, 0, v16, vcc
	v_cmp_nlt_f32_e32 vcc, s18, v89
	s_nop 1
	v_cndmask_b32_e32 v89, v87, v16, vcc
	v_ldexp_f32 v16, v19, v106
	v_ldexp_f32 v19, v107, v108
	v_cmp_ngt_f32_e32 vcc, s17, v71
	s_nop 1
	v_cndmask_b32_e32 v19, 0, v19, vcc
	v_cmp_nlt_f32_e32 vcc, s18, v71
	s_nop 1
	v_cndmask_b32_e32 v19, v87, v19, vcc
	v_cmp_le_f32_e32 vcc, s20, v71
	s_nop 1
	v_cndmask_b32_e32 v19, 0, v19, vcc
	v_cvt_f16_f32_e32 v71, v19
	v_cmp_ngt_f32_e32 vcc, s17, v17
	v_mul_u32_u24_e32 v71, 0x10001, v71
	s_nop 0
	v_cndmask_b32_e32 v16, 0, v16, vcc
	v_cmp_nlt_f32_e32 vcc, s18, v17
	v_pk_mul_f16 v106, v64, v71
	v_pk_mul_f16 v66, v66, v71
	v_cndmask_b32_e32 v118, v87, v16, vcc
	ds_read_u16 v16, v83 offset:544
	ds_read_u16 v94, v83 offset:576
	;; [unrolled: 1-line block ×8, first 2 shown]
	ds_read_u16 v17, v84
	ds_read_u16 v95, v84 offset:32
	ds_read_u16 v99, v84 offset:64
	;; [unrolled: 1-line block ×7, first 2 shown]
	s_waitcnt lgkmcnt(7)
	v_perm_b32 v17, v17, v16, s21
	ds_read_u16 v16, v83
	ds_read_u16 v96, v83 offset:32
	ds_read_u16 v100, v83 offset:64
	;; [unrolled: 1-line block ×15, first 2 shown]
	v_pk_mul_f16 v65, v65, v71
	s_waitcnt lgkmcnt(7)
	v_perm_b32 v16, v64, v16, s21
	v_cvt_f32_f16_e32 v90, v66
	v_cvt_f32_f16_sdwa v91, v66 dst_sel:DWORD dst_unused:UNUSED_PAD src0_sel:WORD_1
	v_cvt_f32_f16_e32 v92, v65
	v_cvt_f32_f16_sdwa v93, v65 dst_sel:DWORD dst_unused:UNUSED_PAD src0_sel:WORD_1
	v_cvt_pk_f16_f32 v65, v89, v118
	v_cvt_pk_f16_f32 v64, v114, v115
	v_pk_mul_f16 v62, v62, v71
	v_pk_mul_f16 v61, v61, v71
	v_mfma_f32_16x16x16_f16 v[90:93], v[16:17], v[64:65], v[90:93]
	v_perm_b32 v17, v95, v94, s21
	s_waitcnt lgkmcnt(6)
	v_perm_b32 v16, v97, v96, s21
	v_cvt_f32_f16_e32 v94, v106
	v_cvt_f32_f16_sdwa v95, v106 dst_sel:DWORD dst_unused:UNUSED_PAD src0_sel:WORD_1
	v_cvt_f32_f16_e32 v96, v62
	v_cvt_f32_f16_sdwa v97, v62 dst_sel:DWORD dst_unused:UNUSED_PAD src0_sel:WORD_1
	v_pk_mul_f16 v60, v60, v71
	v_pk_mul_f16 v59, v59, v71
	v_mfma_f32_16x16x16_f16 v[94:97], v[16:17], v[64:65], v[94:97]
	v_perm_b32 v17, v99, v98, s21
	s_waitcnt lgkmcnt(5)
	v_perm_b32 v16, v101, v100, s21
	v_cvt_f32_f16_e32 v98, v61
	v_cvt_f32_f16_sdwa v99, v61 dst_sel:DWORD dst_unused:UNUSED_PAD src0_sel:WORD_1
	v_cvt_f32_f16_e32 v100, v60
	v_cvt_f32_f16_sdwa v101, v60 dst_sel:DWORD dst_unused:UNUSED_PAD src0_sel:WORD_1
	v_pk_mul_f16 v61, v58, v71
	v_cvt_f32_f16_e32 v58, v59
	v_mfma_f32_16x16x16_f16 v[98:101], v[16:17], v[64:65], v[98:101]
	v_perm_b32 v17, v104, v102, s21
	s_waitcnt lgkmcnt(4)
	v_perm_b32 v16, v121, v109, s21
	v_cvt_f32_f16_sdwa v59, v59 dst_sel:DWORD dst_unused:UNUSED_PAD src0_sel:WORD_1
	v_cvt_f32_f16_e32 v60, v61
	v_cvt_f32_f16_sdwa v61, v61 dst_sel:DWORD dst_unused:UNUSED_PAD src0_sel:WORD_1
	v_pk_mul_f16 v56, v56, v71
	v_pk_mul_f16 v55, v55, v71
	v_mfma_f32_16x16x16_f16 v[58:61], v[16:17], v[64:65], v[58:61]
	v_perm_b32 v17, v105, v103, s21
	s_waitcnt lgkmcnt(3)
	v_perm_b32 v16, v122, v112, s21
	v_cvt_f32_f16_e32 v102, v56
	v_cvt_f32_f16_sdwa v103, v56 dst_sel:DWORD dst_unused:UNUSED_PAD src0_sel:WORD_1
	v_cvt_f32_f16_e32 v104, v55
	v_cvt_f32_f16_sdwa v105, v55 dst_sel:DWORD dst_unused:UNUSED_PAD src0_sel:WORD_1
	v_pk_mul_f16 v53, v53, v71
	v_pk_mul_f16 v52, v52, v71
	v_mfma_f32_16x16x16_f16 v[102:105], v[16:17], v[64:65], v[102:105]
	v_perm_b32 v17, v108, v107, s21
	s_waitcnt lgkmcnt(2)
	v_perm_b32 v16, v123, v113, s21
	v_cvt_f32_f16_e32 v106, v53
	;; [unrolled: 10-line block ×3, first 2 shown]
	v_cvt_f32_f16_sdwa v111, v50 dst_sel:DWORD dst_unused:UNUSED_PAD src0_sel:WORD_1
	v_cvt_f32_f16_e32 v112, v48
	v_cvt_f32_f16_sdwa v113, v48 dst_sel:DWORD dst_unused:UNUSED_PAD src0_sel:WORD_1
	v_pk_mul_f16 v46, v46, v71
	v_pk_mul_f16 v45, v45, v71
	v_mfma_f32_16x16x16_f16 v[110:113], v[16:17], v[64:65], v[110:113]
	v_perm_b32 v17, v117, v116, s21
	s_waitcnt lgkmcnt(0)
	v_perm_b32 v16, v125, v120, s21
	v_add_f32_e32 v48, v114, v115
	v_cvt_f32_f16_e32 v114, v46
	v_cvt_f32_f16_sdwa v115, v46 dst_sel:DWORD dst_unused:UNUSED_PAD src0_sel:WORD_1
	v_cvt_f32_f16_e32 v116, v45
	v_cvt_f32_f16_sdwa v117, v45 dst_sel:DWORD dst_unused:UNUSED_PAD src0_sel:WORD_1
	v_add_f32_e32 v45, v89, v48
	v_add_f32_e32 v71, v118, v45
	v_mfma_f32_16x16x16_f16 v[114:117], v[16:17], v[64:65], v[114:117]
	v_cmp_lt_i32_e32 vcc, s82, v72
	v_fmac_f32_e32 v71, v88, v19
	v_cvt_pk_f16_f32 v50, v110, v111
	v_cvt_pk_f16_f32 v48, v112, v113
	s_nop 3
	v_cvt_pk_f16_f32 v46, v114, v115
	v_cvt_pk_f16_f32 v45, v116, v117
	;; [unrolled: 1-line block ×14, first 2 shown]
	s_barrier
	s_cbranch_vccz .LBB25_346
; %bb.342:                              ;   in Loop: Header=BB25_325 Depth=1
	v_mov_b32_e32 v88, v71
	v_mov_b32_e32 v71, v18
	s_ashr_i32 s7, s6, 31
	s_and_saveexec_b64 s[8:9], s[0:1]
	s_cbranch_execnz .LBB25_324
	s_branch .LBB25_325
.LBB25_343:
                                        ; implicit-def: $sgpr54_sgpr55
	s_load_dwordx2 s[46:47], s[0:1], 0x74
	v_cvt_f32_u32_e32 v1, s44
	s_branch .LBB25_2
.LBB25_344:
                                        ; implicit-def: $sgpr58_sgpr59
	s_load_dwordx2 s[34:35], s[0:1], 0x5c
	s_branch .LBB25_5
.LBB25_345:
	v_mov_b32_e32 v18, 0xfeffffff
	v_mov_b32_e32 v71, 0
	;; [unrolled: 1-line block ×18, first 2 shown]
.LBB25_346:
	s_lshl_b32 s0, s82, 6
	s_ashr_i32 s1, s0, 31
	v_cmp_gt_u32_e32 vcc, 4, v70
	s_and_saveexec_b64 s[6:7], vcc
	s_cbranch_execz .LBB25_348
; %bb.347:
	v_or_b32_e32 v16, s11, v70
	v_mul_hi_u32 v17, s34, v16
	v_add_u32_e32 v17, v16, v17
	v_lshrrev_b32_e32 v17, s35, v17
	s_lshl_b64 s[8:9], s[0:1], 1
	v_mul_lo_u32 v17, v17, s36
	s_add_u32 s4, s4, s8
	v_sub_u32_e32 v17, v16, v17
	s_addc_u32 s5, s5, s9
	v_mad_i64_i32 v[20:21], s[8:9], v17, s62, 0
	v_and_b32_e32 v16, 0x7c, v68
	v_lshl_add_u64 v[20:21], v[20:21], 1, s[4:5]
	v_mov_b32_e32 v17, 0
	v_lshl_add_u64 v[20:21], v[20:21], 0, v[16:17]
	global_load_dword v17, v[20:21], off
	v_mul_u32_u24_e32 v19, 0x90, v70
	v_add3_u32 v16, 0, v19, v16
	s_waitcnt vmcnt(0)
	ds_write_b32 v16, v17 offset:17408
.LBB25_348:
	s_or_b64 exec, exec, s[6:7]
	s_mul_hi_i32 s5, s0, s38
	s_mul_i32 s4, s0, s38
	s_lshl_b64 s[4:5], s[4:5], 2
	v_add_u32_e32 v21, v51, v69
	s_add_u32 s4, s12, s4
	v_mul_lo_u32 v22, s38, v21
	s_addc_u32 s5, s13, s5
	v_ashrrev_i32_e32 v23, 31, v22
	s_lshl_b32 s1, s38, 4
	v_and_b32_e32 v16, 60, v68
	v_lshl_add_u64 v[24:25], v[22:23], 2, s[4:5]
	v_add_u32_e32 v22, s1, v22
	v_mov_b32_e32 v17, 0
	v_lshlrev_b32_e32 v16, 2, v16
	v_ashrrev_i32_e32 v23, 31, v22
	v_lshl_add_u64 v[38:39], v[24:25], 0, v[16:17]
	v_lshl_add_u64 v[24:25], v[22:23], 2, s[4:5]
	v_add_u32_e32 v22, s1, v22
	v_ashrrev_i32_e32 v23, 31, v22
	v_lshl_add_u64 v[68:69], v[24:25], 0, v[16:17]
	v_lshl_add_u64 v[24:25], v[22:23], 2, s[4:5]
	v_add_u32_e32 v22, s1, v22
	v_ashrrev_i32_e32 v23, 31, v22
	v_lshl_add_u64 v[22:23], v[22:23], 2, s[4:5]
	v_lshl_add_u64 v[72:73], v[24:25], 0, v[16:17]
	;; [unrolled: 1-line block ×3, first 2 shown]
	global_load_dwordx4 v[22:25], v[38:39], off
	global_load_dwordx4 v[26:29], v[68:69], off
	global_load_dwordx4 v[30:33], v[72:73], off
	global_load_dwordx4 v[34:37], v[78:79], off
	s_movk_i32 s1, 0x110
	v_and_b32_e32 v17, 48, v47
	v_mul_u32_u24_e32 v20, 0x110, v21
	v_mad_u32_u24 v19, v17, s1, 0
	v_add3_u32 v20, 0, v20, v16
	v_add3_u32 v38, v19, v67, v44
	s_mov_b32 s1, 0x3f200000
	s_waitcnt vmcnt(3)
	ds_write_b128 v20, v[22:25]
	s_waitcnt vmcnt(2)
	ds_write_b128 v20, v[26:29] offset:4352
	s_waitcnt vmcnt(1)
	ds_write_b128 v20, v[30:33] offset:8704
	;; [unrolled: 2-line block ×3, first 2 shown]
	s_waitcnt lgkmcnt(0)
	s_barrier
	ds_read2_b64 v[22:25], v38 offset1:4
	s_waitcnt lgkmcnt(0)
	v_mfma_f32_16x16x16_f16 v[26:29], v[22:23], v[12:13], 0
	v_mfma_f32_16x16x16_f16 v[12:15], v[24:25], v[14:15], v[26:29]
	ds_read2_b64 v[22:25], v38 offset0:8 offset1:12
	s_waitcnt lgkmcnt(0)
	v_mfma_f32_16x16x16_f16 v[12:15], v[22:23], v[8:9], v[12:15]
	v_mfma_f32_16x16x16_f16 v[8:11], v[24:25], v[10:11], v[12:15]
	s_nop 6
	ds_read2_b64 v[12:15], v38 offset0:16 offset1:20
	s_waitcnt lgkmcnt(0)
	v_mfma_f32_16x16x16_f16 v[8:11], v[12:13], v[4:5], v[8:11]
	v_mfma_f32_16x16x16_f16 v[4:7], v[14:15], v[6:7], v[8:11]
	s_nop 6
	ds_read2_b64 v[8:11], v38 offset0:24 offset1:28
	s_waitcnt lgkmcnt(0)
	v_mfma_f32_16x16x16_f16 v[4:7], v[8:9], v[0:1], v[4:7]
	s_barrier
	v_mfma_f32_16x16x16_f16 v[0:3], v[10:11], v[2:3], v[4:7]
                                        ; implicit-def: $vgpr7
	s_nop 7
	v_cmp_nlt_f32_e64 s[4:5], |v0|, s1
	s_and_saveexec_b64 s[6:7], s[4:5]
	s_xor_b64 s[4:5], exec, s[6:7]
	s_cbranch_execz .LBB25_350
; %bb.349:
	v_add_f32_e64 v4, |v0|, |v0|
	v_mul_f32_e32 v5, 0x3fb8aa3b, v4
	s_mov_b32 s1, 0x3fb8aa3b
	v_rndne_f32_e32 v6, v5
	v_sub_f32_e32 v7, v5, v6
	v_fma_f32 v5, v4, s1, -v5
	v_fmamk_f32 v5, v4, 0x32a5705f, v5
	v_add_f32_e32 v5, v7, v5
	v_exp_f32_e32 v5, v5
	v_cvt_i32_f32_e32 v6, v6
	s_mov_b32 s1, 0xc2ce8ed0
	v_cmp_ngt_f32_e32 vcc, s1, v4
	s_mov_b32 s1, 0x42b17218
	v_ldexp_f32 v5, v5, v6
	v_cndmask_b32_e32 v5, 0, v5, vcc
	v_mov_b32_e32 v6, 0x7f800000
	v_cmp_nlt_f32_e32 vcc, s1, v4
	s_nop 1
	v_cndmask_b32_e32 v4, v6, v5, vcc
	v_add_f32_e32 v4, 1.0, v4
	v_rcp_f32_e32 v4, v4
	s_nop 0
	v_fma_f32 v7, v4, -2.0, 1.0
.LBB25_350:
	s_andn2_saveexec_b64 s[4:5], s[4:5]
; %bb.351:
	v_mul_f32_e32 v4, v0, v0
	v_mov_b32_e32 v5, 0x3ca908c9
	v_fmac_f32_e32 v5, 0xbbbac73d, v4
	v_fmaak_f32 v5, v4, v5, 0xbd5c1c4e
	v_fmaak_f32 v5, v4, v5, 0x3e088382
	v_fmaak_f32 v5, v4, v5, 0xbeaaaa99
	v_mul_f32_e64 v5, |v0|, v5
	v_fma_f32 v7, v4, v5, |v0|
; %bb.352:
	s_or_b64 exec, exec, s[4:5]
	s_mov_b32 s1, 0x3f200000
	v_cmp_nlt_f32_e64 s[4:5], |v1|, s1
                                        ; implicit-def: $vgpr8
	s_and_saveexec_b64 s[6:7], s[4:5]
	s_xor_b64 s[4:5], exec, s[6:7]
	s_cbranch_execz .LBB25_354
; %bb.353:
	v_add_f32_e64 v4, |v1|, |v1|
	v_mul_f32_e32 v5, 0x3fb8aa3b, v4
	s_mov_b32 s1, 0x3fb8aa3b
	v_rndne_f32_e32 v6, v5
	v_sub_f32_e32 v8, v5, v6
	v_fma_f32 v5, v4, s1, -v5
	v_fmamk_f32 v5, v4, 0x32a5705f, v5
	v_add_f32_e32 v5, v8, v5
	v_exp_f32_e32 v5, v5
	v_cvt_i32_f32_e32 v6, v6
	s_mov_b32 s1, 0xc2ce8ed0
	v_cmp_ngt_f32_e32 vcc, s1, v4
	s_mov_b32 s1, 0x42b17218
	v_ldexp_f32 v5, v5, v6
	v_cndmask_b32_e32 v5, 0, v5, vcc
	v_mov_b32_e32 v6, 0x7f800000
	v_cmp_nlt_f32_e32 vcc, s1, v4
	s_nop 1
	v_cndmask_b32_e32 v4, v6, v5, vcc
	v_add_f32_e32 v4, 1.0, v4
	v_rcp_f32_e32 v4, v4
	s_nop 0
	v_fma_f32 v8, v4, -2.0, 1.0
.LBB25_354:
	s_andn2_saveexec_b64 s[4:5], s[4:5]
; %bb.355:
	v_mul_f32_e32 v4, v1, v1
	v_mov_b32_e32 v5, 0x3ca908c9
	v_fmac_f32_e32 v5, 0xbbbac73d, v4
	v_fmaak_f32 v5, v4, v5, 0xbd5c1c4e
	v_fmaak_f32 v5, v4, v5, 0x3e088382
	;; [unrolled: 1-line block ×3, first 2 shown]
	v_mul_f32_e64 v5, |v1|, v5
	v_fma_f32 v8, v4, v5, |v1|
; %bb.356:
	s_or_b64 exec, exec, s[4:5]
	s_mov_b32 s1, 0x3f200000
	v_cmp_nlt_f32_e64 s[4:5], |v2|, s1
                                        ; implicit-def: $vgpr9
	s_and_saveexec_b64 s[6:7], s[4:5]
	s_xor_b64 s[4:5], exec, s[6:7]
	s_cbranch_execz .LBB25_358
; %bb.357:
	v_add_f32_e64 v4, |v2|, |v2|
	v_mul_f32_e32 v5, 0x3fb8aa3b, v4
	s_mov_b32 s1, 0x3fb8aa3b
	v_rndne_f32_e32 v6, v5
	v_sub_f32_e32 v9, v5, v6
	v_fma_f32 v5, v4, s1, -v5
	v_fmamk_f32 v5, v4, 0x32a5705f, v5
	v_add_f32_e32 v5, v9, v5
	v_exp_f32_e32 v5, v5
	v_cvt_i32_f32_e32 v6, v6
	s_mov_b32 s1, 0xc2ce8ed0
	v_cmp_ngt_f32_e32 vcc, s1, v4
	s_mov_b32 s1, 0x42b17218
	v_ldexp_f32 v5, v5, v6
	v_cndmask_b32_e32 v5, 0, v5, vcc
	v_mov_b32_e32 v6, 0x7f800000
	v_cmp_nlt_f32_e32 vcc, s1, v4
	s_nop 1
	v_cndmask_b32_e32 v4, v6, v5, vcc
	v_add_f32_e32 v4, 1.0, v4
	v_rcp_f32_e32 v4, v4
	s_nop 0
	v_fma_f32 v9, v4, -2.0, 1.0
.LBB25_358:
	s_andn2_saveexec_b64 s[4:5], s[4:5]
; %bb.359:
	v_mul_f32_e32 v4, v2, v2
	v_mov_b32_e32 v5, 0x3ca908c9
	v_fmac_f32_e32 v5, 0xbbbac73d, v4
	v_fmaak_f32 v5, v4, v5, 0xbd5c1c4e
	v_fmaak_f32 v5, v4, v5, 0x3e088382
	;; [unrolled: 1-line block ×3, first 2 shown]
	v_mul_f32_e64 v5, |v2|, v5
	v_fma_f32 v9, v4, v5, |v2|
; %bb.360:
	s_or_b64 exec, exec, s[4:5]
	s_mov_b32 s1, 0x3f200000
	v_cmp_nlt_f32_e64 s[4:5], |v3|, s1
                                        ; implicit-def: $vgpr10
	s_and_saveexec_b64 s[6:7], s[4:5]
	s_xor_b64 s[4:5], exec, s[6:7]
	s_cbranch_execz .LBB25_362
; %bb.361:
	v_add_f32_e64 v4, |v3|, |v3|
	v_mul_f32_e32 v5, 0x3fb8aa3b, v4
	s_mov_b32 s1, 0x3fb8aa3b
	v_rndne_f32_e32 v6, v5
	v_sub_f32_e32 v10, v5, v6
	v_fma_f32 v5, v4, s1, -v5
	v_fmamk_f32 v5, v4, 0x32a5705f, v5
	v_add_f32_e32 v5, v10, v5
	v_exp_f32_e32 v5, v5
	v_cvt_i32_f32_e32 v6, v6
	s_mov_b32 s1, 0xc2ce8ed0
	v_cmp_ngt_f32_e32 vcc, s1, v4
	s_mov_b32 s1, 0x42b17218
	v_ldexp_f32 v5, v5, v6
	v_cndmask_b32_e32 v5, 0, v5, vcc
	v_mov_b32_e32 v6, 0x7f800000
	v_cmp_nlt_f32_e32 vcc, s1, v4
	s_nop 1
	v_cndmask_b32_e32 v4, v6, v5, vcc
	v_add_f32_e32 v4, 1.0, v4
	v_rcp_f32_e32 v4, v4
	s_nop 0
	v_fma_f32 v10, v4, -2.0, 1.0
.LBB25_362:
	s_or_saveexec_b64 s[4:5], s[4:5]
	v_add_u32_e32 v4, 0x1100, v20
	v_add_u32_e32 v5, 0x2200, v20
	;; [unrolled: 1-line block ×3, first 2 shown]
	s_xor_b64 exec, exec, s[4:5]
; %bb.363:
	v_mul_f32_e32 v10, v3, v3
	v_mov_b32_e32 v11, 0x3ca908c9
	v_fmac_f32_e32 v11, 0xbbbac73d, v10
	v_fmaak_f32 v11, v10, v11, 0xbd5c1c4e
	v_fmaak_f32 v11, v10, v11, 0x3e088382
	;; [unrolled: 1-line block ×3, first 2 shown]
	v_mul_f32_e64 v11, |v3|, v11
	v_fma_f32 v10, v10, v11, |v3|
; %bb.364:
	s_or_b64 exec, exec, s[4:5]
	v_and_b32_e32 v34, 0xfc, v57
	v_add_u16_e32 v12, v17, v34
	v_lshrrev_b32_e32 v11, 2, v63
	s_movk_i32 s4, 0x90
	v_lshrrev_b16_e32 v12, 1, v12
	v_mad_u32_u24 v11, v11, s4, 0
	v_lshlrev_b32_e32 v12, 2, v12
	s_movk_i32 s4, 0x4400
	v_add3_u32 v11, v11, v12, s4
	ds_read2_b32 v[12:13], v11 offset1:1
	s_brev_b32 s1, -2
	v_bfi_b32 v0, s1, v7, v0
	v_bfi_b32 v1, s1, v8, v1
	;; [unrolled: 1-line block ×4, first 2 shown]
	s_waitcnt lgkmcnt(0)
	v_fma_mix_f32 v0, s3, v0, v12 op_sel_hi:[0,0,1]
	v_fma_mix_f32 v7, s3, v1, v12 op_sel:[0,0,1] op_sel_hi:[0,0,1]
	v_fma_mix_f32 v36, s3, v2, v13 op_sel_hi:[0,0,1]
	v_fma_mix_f32 v37, s3, v3, v13 op_sel:[0,0,1] op_sel_hi:[0,0,1]
	v_add_f32_e32 v1, 0x40051340, v0
	v_add_f32_e32 v2, 0x40051340, v7
	v_max3_f32 v1, v18, v1, v2
	v_add_f32_e32 v2, 0x40051340, v36
	v_add_f32_e32 v3, 0x40051340, v37
	v_max3_f32 v1, v1, v2, v3
	v_mbcnt_hi_u32_b32 v2, -1, v77
	v_and_b32_e32 v3, 64, v2
	v_add_u32_e32 v3, 64, v3
	v_xor_b32_e32 v8, 32, v2
	v_cmp_lt_i32_e32 vcc, v8, v3
	s_mov_b32 s1, 0x3fb8aa3b
	s_mul_hi_i32 s5, s0, s14
	v_cndmask_b32_e32 v8, v2, v8, vcc
	v_lshlrev_b32_e32 v33, 2, v8
	ds_bpermute_b32 v8, v33, v1
	s_mul_i32 s4, s0, s14
	s_lshl_b64 s[4:5], s[4:5], 2
	s_add_u32 s2, s2, s4
	s_addc_u32 s3, s10, s5
	s_waitcnt lgkmcnt(0)
	v_max_f32_e32 v8, v8, v8
	v_max_f32_e32 v1, v1, v8
	v_xor_b32_e32 v8, 16, v2
	v_cmp_lt_i32_e32 vcc, v8, v3
	s_lshl_b32 s0, s14, 4
	v_mov_b32_e32 v17, 0
	v_cndmask_b32_e32 v2, v2, v8, vcc
	v_lshlrev_b32_e32 v35, 2, v2
	ds_bpermute_b32 v2, v35, v1
	s_waitcnt lgkmcnt(0)
	v_max_f32_e32 v2, v2, v2
	v_max_f32_e32 v32, v1, v2
	v_sub_f32_e32 v38, v0, v32
	v_mul_f32_e32 v0, 0x3fb8aa3b, v38
	v_fma_f32 v1, v38, s1, -v0
	v_rndne_f32_e32 v2, v0
	v_fmac_f32_e32 v1, 0x32a5705f, v38
	v_sub_f32_e32 v0, v0, v2
	v_add_f32_e32 v0, v0, v1
	v_exp_f32_e32 v39, v0
	v_mul_lo_u32 v0, s14, v21
	v_ashrrev_i32_e32 v1, 31, v0
	v_cvt_i32_f32_e32 v63, v2
	v_lshl_add_u64 v[2:3], v[0:1], 2, s[2:3]
	v_add_u32_e32 v0, s0, v0
	v_ashrrev_i32_e32 v1, 31, v0
	v_lshl_add_u64 v[26:27], v[2:3], 0, v[16:17]
	v_lshl_add_u64 v[2:3], v[0:1], 2, s[2:3]
	v_add_u32_e32 v0, s0, v0
	v_ashrrev_i32_e32 v1, 31, v0
	v_lshl_add_u64 v[28:29], v[2:3], 0, v[16:17]
	;; [unrolled: 4-line block ×3, first 2 shown]
	v_lshl_add_u64 v[30:31], v[2:3], 0, v[16:17]
	v_lshl_add_u64 v[16:17], v[0:1], 0, v[16:17]
	global_load_dwordx4 v[0:3], v[26:27], off
	global_load_dwordx4 v[8:11], v[28:29], off
	;; [unrolled: 1-line block ×4, first 2 shown]
	v_sub_f32_e32 v7, v7, v32
	v_mul_f32_e32 v17, 0x3fb8aa3b, v7
	v_fma_f32 v21, v7, s1, -v17
	v_rndne_f32_e32 v26, v17
	v_fmac_f32_e32 v21, 0x32a5705f, v7
	v_sub_f32_e32 v17, v17, v26
	v_add_f32_e32 v17, v17, v21
	v_exp_f32_e32 v17, v17
	v_cvt_i32_f32_e32 v21, v26
	s_mov_b32 s0, 0xc2ce8ed0
	v_ldexp_f32 v16, v39, v63
	v_cmp_ngt_f32_e32 vcc, s0, v38
	s_mov_b32 s2, 0x42b17218
	v_mov_b32_e32 v26, 0x7f800000
	v_cndmask_b32_e32 v16, 0, v16, vcc
	v_cmp_nlt_f32_e32 vcc, s2, v38
	v_sub_f32_e32 v18, v18, v32
	s_waitcnt vmcnt(3)
	ds_write_b128 v20, v[0:3]
	s_waitcnt vmcnt(2)
	ds_write_b128 v4, v[8:11]
	;; [unrolled: 2-line block ×4, first 2 shown]
	v_cndmask_b32_e32 v27, v26, v16, vcc
	v_ldexp_f32 v16, v17, v21
	v_sub_f32_e32 v17, v36, v32
	v_mul_f32_e32 v21, 0x3fb8aa3b, v17
	v_fma_f32 v28, v17, s1, -v21
	v_rndne_f32_e32 v29, v21
	v_fmac_f32_e32 v28, 0x32a5705f, v17
	v_sub_f32_e32 v21, v21, v29
	v_add_f32_e32 v21, v21, v28
	v_exp_f32_e32 v21, v21
	v_cvt_i32_f32_e32 v28, v29
	v_cmp_ngt_f32_e32 vcc, s0, v7
	s_waitcnt lgkmcnt(0)
	s_barrier
	v_cndmask_b32_e32 v16, 0, v16, vcc
	v_cmp_nlt_f32_e32 vcc, s2, v7
	v_ldexp_f32 v7, v21, v28
	s_nop 0
	v_cndmask_b32_e32 v29, v26, v16, vcc
	v_sub_f32_e32 v16, v37, v32
	v_mul_f32_e32 v21, 0x3fb8aa3b, v16
	v_fma_f32 v28, v16, s1, -v21
	v_rndne_f32_e32 v30, v21
	v_fmac_f32_e32 v28, 0x32a5705f, v16
	v_sub_f32_e32 v21, v21, v30
	v_add_f32_e32 v21, v21, v28
	v_cvt_i32_f32_e32 v28, v30
	v_mul_f32_e32 v30, 0x3fb8aa3b, v18
	v_fma_f32 v31, v18, s1, -v30
	v_rndne_f32_e32 v36, v30
	v_fmac_f32_e32 v31, 0x32a5705f, v18
	v_sub_f32_e32 v30, v30, v36
	v_add_f32_e32 v30, v30, v31
	v_exp_f32_e32 v30, v30
	v_cvt_i32_f32_e32 v31, v36
	v_cmp_ngt_f32_e32 vcc, s0, v17
	s_mov_b32 s1, 0xc1a00000
	v_exp_f32_e32 v21, v21
	v_cndmask_b32_e32 v7, 0, v7, vcc
	v_cmp_nlt_f32_e32 vcc, s2, v17
	v_ldexp_f32 v17, v30, v31
	v_cvt_pk_f16_f32 v36, v27, v29
	v_cndmask_b32_e32 v38, v26, v7, vcc
	v_cmp_ngt_f32_e32 vcc, s0, v18
	v_ldexp_f32 v7, v21, v28
	v_or_b32_e32 v21, 3, v57
	v_cndmask_b32_e32 v17, 0, v17, vcc
	v_cmp_nlt_f32_e32 vcc, s2, v18
	v_mul_u32_u24_e32 v21, 0x110, v21
	v_add3_u32 v1, v19, v21, v54
	v_cndmask_b32_e32 v17, v26, v17, vcc
	v_cmp_le_f32_e32 vcc, s1, v18
	v_mul_u32_u24_e32 v18, 0x110, v34
	v_add3_u32 v0, v19, v18, v54
	v_cndmask_b32_e32 v30, 0, v17, vcc
	v_cvt_f16_f32_e32 v17, v30
	v_cmp_ngt_f32_e32 vcc, s0, v16
	s_mov_b32 s0, 0x5040100
	ds_read_u16 v2, v0 offset:544
	ds_read_u16 v6, v0 offset:576
	;; [unrolled: 1-line block ×8, first 2 shown]
	ds_read_u16 v3, v1
	ds_read_u16 v8, v1 offset:32
	ds_read_u16 v11, v1 offset:64
	;; [unrolled: 1-line block ×7, first 2 shown]
	v_cndmask_b32_e32 v7, 0, v7, vcc
	v_cmp_nlt_f32_e32 vcc, s2, v16
	v_mul_u32_u24_e32 v31, 0x10001, v17
	v_pk_mul_f16 v16, v65, v31
	v_cndmask_b32_e32 v26, v26, v7, vcc
	v_pk_mul_f16 v7, v66, v31
	v_pk_mul_f16 v17, v64, v31
	s_waitcnt lgkmcnt(7)
	v_perm_b32 v5, v3, v2, s0
	ds_read_u16 v1, v0
	ds_read_u16 v12, v0 offset:32
	ds_read_u16 v20, v0 offset:64
	;; [unrolled: 1-line block ×15, first 2 shown]
	s_waitcnt lgkmcnt(7)
	v_perm_b32 v4, v2, v1, s0
	v_cvt_f32_f16_e32 v0, v7
	v_cvt_f32_f16_sdwa v1, v7 dst_sel:DWORD dst_unused:UNUSED_PAD src0_sel:WORD_1
	v_cvt_f32_f16_e32 v2, v16
	v_cvt_f32_f16_sdwa v3, v16 dst_sel:DWORD dst_unused:UNUSED_PAD src0_sel:WORD_1
	v_pk_mul_f16 v7, v62, v31
	v_cvt_pk_f16_f32 v37, v38, v26
	v_perm_b32 v9, v8, v6, s0
	s_waitcnt lgkmcnt(6)
	v_perm_b32 v8, v13, v12, s0
	v_mfma_f32_16x16x16_f16 v[0:3], v[4:5], v[36:37], v[0:3]
	v_cvt_f32_f16_e32 v4, v17
	v_cvt_f32_f16_sdwa v5, v17 dst_sel:DWORD dst_unused:UNUSED_PAD src0_sel:WORD_1
	v_cvt_f32_f16_e32 v6, v7
	v_cvt_f32_f16_sdwa v7, v7 dst_sel:DWORD dst_unused:UNUSED_PAD src0_sel:WORD_1
	v_pk_mul_f16 v16, v61, v31
	v_pk_mul_f16 v17, v60, v31
	v_perm_b32 v13, v11, v10, s0
	s_waitcnt lgkmcnt(5)
	v_perm_b32 v12, v25, v20, s0
	v_mfma_f32_16x16x16_f16 v[4:7], v[8:9], v[36:37], v[4:7]
	v_cvt_f32_f16_e32 v8, v16
	v_cvt_f32_f16_sdwa v9, v16 dst_sel:DWORD dst_unused:UNUSED_PAD src0_sel:WORD_1
	v_cvt_f32_f16_e32 v10, v17
	v_cvt_f32_f16_sdwa v11, v17 dst_sel:DWORD dst_unused:UNUSED_PAD src0_sel:WORD_1
	v_pk_mul_f16 v20, v59, v31
	v_pk_mul_f16 v25, v58, v31
	v_perm_b32 v17, v15, v14, s0
	s_waitcnt lgkmcnt(4)
	v_perm_b32 v16, v65, v21, s0
	v_mfma_f32_16x16x16_f16 v[8:11], v[12:13], v[36:37], v[8:11]
	v_cvt_f32_f16_e32 v12, v20
	v_cvt_f32_f16_sdwa v13, v20 dst_sel:DWORD dst_unused:UNUSED_PAD src0_sel:WORD_1
	v_cvt_f32_f16_e32 v14, v25
	v_cvt_f32_f16_sdwa v15, v25 dst_sel:DWORD dst_unused:UNUSED_PAD src0_sel:WORD_1
	v_add_f32_e32 v25, v27, v29
	v_pk_mul_f16 v27, v56, v31
	v_pk_mul_f16 v29, v55, v31
	v_perm_b32 v21, v19, v18, s0
	s_waitcnt lgkmcnt(3)
	v_perm_b32 v20, v66, v24, s0
	v_mfma_f32_16x16x16_f16 v[12:15], v[16:17], v[36:37], v[12:15]
	v_cvt_f32_f16_e32 v16, v27
	v_cvt_f32_f16_sdwa v17, v27 dst_sel:DWORD dst_unused:UNUSED_PAD src0_sel:WORD_1
	v_cvt_f32_f16_e32 v18, v29
	v_cvt_f32_f16_sdwa v19, v29 dst_sel:DWORD dst_unused:UNUSED_PAD src0_sel:WORD_1
	v_add_f32_e32 v27, v38, v25
	v_pk_mul_f16 v29, v53, v31
	v_pk_mul_f16 v38, v52, v31
	v_perm_b32 v25, v23, v22, s0
	s_waitcnt lgkmcnt(2)
	v_perm_b32 v24, v67, v57, s0
	v_mfma_f32_16x16x16_f16 v[16:19], v[20:21], v[36:37], v[16:19]
	v_cvt_f32_f16_e32 v20, v29
	v_cvt_f32_f16_sdwa v21, v29 dst_sel:DWORD dst_unused:UNUSED_PAD src0_sel:WORD_1
	v_cvt_f32_f16_e32 v22, v38
	v_cvt_f32_f16_sdwa v23, v38 dst_sel:DWORD dst_unused:UNUSED_PAD src0_sel:WORD_1
	v_add_f32_e32 v52, v26, v27
	v_pk_mul_f16 v26, v50, v31
	v_pk_mul_f16 v27, v48, v31
	v_perm_b32 v29, v39, v28, s0
	s_waitcnt lgkmcnt(1)
	v_perm_b32 v28, v68, v63, s0
	v_mfma_f32_16x16x16_f16 v[20:23], v[24:25], v[36:37], v[20:23]
	v_cvt_f32_f16_e32 v24, v26
	v_cvt_f32_f16_sdwa v25, v26 dst_sel:DWORD dst_unused:UNUSED_PAD src0_sel:WORD_1
	v_cvt_f32_f16_e32 v26, v27
	v_cvt_f32_f16_sdwa v27, v27 dst_sel:DWORD dst_unused:UNUSED_PAD src0_sel:WORD_1
	v_fmac_f32_e32 v52, v71, v30
	v_perm_b32 v39, v54, v34, s0
	ds_bpermute_b32 v34, v33, v52
	v_pk_mul_f16 v30, v46, v31
	v_pk_mul_f16 v31, v45, v31
	s_waitcnt lgkmcnt(1)
	v_perm_b32 v38, v69, v64, s0
	v_mfma_f32_16x16x16_f16 v[24:27], v[28:29], v[36:37], v[24:27]
	v_cvt_f32_f16_e32 v28, v30
	v_cvt_f32_f16_sdwa v29, v30 dst_sel:DWORD dst_unused:UNUSED_PAD src0_sel:WORD_1
	v_cvt_f32_f16_e32 v30, v31
	v_cvt_f32_f16_sdwa v31, v31 dst_sel:DWORD dst_unused:UNUSED_PAD src0_sel:WORD_1
	s_waitcnt lgkmcnt(0)
	v_add_f32_e32 v34, v52, v34
	s_movk_i32 s2, 0x110
	v_mfma_f32_16x16x16_f16 v[28:31], v[38:39], v[36:37], v[28:31]
	ds_bpermute_b32 v36, v35, v34
	v_cmp_gt_u32_e64 s[0:1], 16, v40
	s_waitcnt lgkmcnt(0)
	s_barrier
	s_and_saveexec_b64 s[4:5], s[0:1]
; %bb.365:
	v_add_f32_e32 v34, v34, v36
	v_or_b32_e32 v36, v47, v40
	v_mad_u32_u24 v36, v36, s2, 0
	ds_write2_b32 v36, v32, v34 offset0:64 offset1:65
; %bb.366:
	s_or_b64 exec, exec, s[4:5]
	v_cmp_eq_u32_e32 vcc, 0, v75
	v_cmp_ne_u32_e64 s[4:5], 0, v75
	s_waitcnt lgkmcnt(0)
	s_barrier
	s_and_saveexec_b64 s[2:3], s[4:5]
	s_xor_b64 s[4:5], exec, s[2:3]
	s_cbranch_execz .LBB25_368
; %bb.367:
	s_barrier
                                        ; implicit-def: $vgpr33
                                        ; implicit-def: $vgpr35
                                        ; implicit-def: $vgpr51
.LBB25_368:
	s_andn2_saveexec_b64 s[6:7], s[4:5]
	s_cbranch_execz .LBB25_372
; %bb.369:
	v_add_u32_e32 v32, v47, v40
	s_movk_i32 s2, 0x110
	v_mad_u32_u24 v38, v32, s2, 0
	ds_read_b64 v[36:37], v38 offset:256
	s_mov_b32 s2, 0x3fb8aa3b
	s_mov_b32 s3, 0x42b17218
	;; [unrolled: 1-line block ×3, first 2 shown]
	s_waitcnt lgkmcnt(0)
	ds_bpermute_b32 v32, v33, v36
	v_max_f32_e32 v34, v36, v36
	s_barrier
	s_waitcnt lgkmcnt(0)
	v_max_f32_e32 v32, v32, v32
	v_max_f32_e32 v32, v34, v32
	ds_bpermute_b32 v34, v35, v32
	s_waitcnt lgkmcnt(0)
	v_max_f32_e32 v34, v34, v34
	v_max_f32_e32 v32, v32, v34
	v_sub_f32_e32 v34, v36, v32
	v_mul_f32_e32 v36, 0x3fb8aa3b, v34
	v_fma_f32 v39, v34, s2, -v36
	v_rndne_f32_e32 v45, v36
	v_fmamk_f32 v39, v34, 0x32a5705f, v39
	v_sub_f32_e32 v36, v36, v45
	v_add_f32_e32 v36, v36, v39
	v_cvt_i32_f32_e32 v45, v45
	v_exp_f32_e32 v36, v36
	s_mov_b32 s2, 0xc2ce8ed0
	v_cmp_ngt_f32_e64 s[4:5], s2, v34
	v_mov_b32_e32 v39, 0x7f800000
	v_ldexp_f32 v36, v36, v45
	v_cndmask_b32_e64 v36, 0, v36, s[4:5]
	v_cmp_nlt_f32_e64 s[4:5], s3, v34
	s_nop 1
	v_cndmask_b32_e64 v34, v39, v36, s[4:5]
	v_mul_f32_e32 v36, v37, v34
	ds_bpermute_b32 v33, v33, v36
	s_waitcnt lgkmcnt(0)
	v_fmac_f32_e32 v33, v37, v34
	ds_bpermute_b32 v35, v35, v33
	s_waitcnt lgkmcnt(0)
	v_add_f32_e32 v35, v33, v35
	ds_write_b64 v38, v[34:35] offset:256
	s_and_saveexec_b64 s[4:5], s[0:1]
	s_cbranch_execz .LBB25_371
; %bb.370:
	s_add_i32 s0, s44, s33
	s_lshl_b32 s8, s0, 4
	s_lshl_b64 s[0:1], s[8:9], 3
	s_add_u32 s0, s30, s0
	v_or_b32_e32 v33, v51, v40
	s_addc_u32 s1, s31, s1
	v_lshlrev_b32_e32 v34, 3, v33
	v_mov_b32_e32 v33, v35
	global_store_dwordx2 v34, v[32:33], s[0:1]
.LBB25_371:
	s_or_b64 exec, exec, s[4:5]
.LBB25_372:
	s_or_b64 exec, exec, s[6:7]
	v_cvt_pk_f16_f32 v2, v2, v3
	v_cvt_pk_f16_f32 v3, v4, v5
	v_cvt_pk_f16_f32 v5, v8, v9
	v_cvt_pk_f16_f32 v9, v16, v17
	v_or_b32_e32 v16, v47, v43
	v_mul_u32_u24_e32 v16, 0x110, v16
	v_cvt_pk_f16_f32 v0, v0, v1
	s_mov_b32 s3, 0
	s_movk_i32 s4, 0x110
	v_add3_u32 v16, 0, v44, v16
	v_cvt_pk_f16_f32 v1, v6, v7
	v_cvt_pk_f16_f32 v4, v10, v11
	;; [unrolled: 1-line block ×11, first 2 shown]
	ds_write2_b32 v16, v0, v2 offset1:1
	ds_write2_b32 v16, v3, v1 offset0:8 offset1:9
	ds_write2_b32 v16, v5, v4 offset0:16 offset1:17
	;; [unrolled: 1-line block ×7, first 2 shown]
	s_waitcnt lgkmcnt(0)
	s_barrier
	s_and_saveexec_b64 s[0:1], vcc
	s_cbranch_execz .LBB25_374
; %bb.373:
	s_lshl_b32 s2, s33, 10
	s_lshl_b64 s[6:7], s[2:3], 3
	s_add_u32 s5, s30, s6
	s_addc_u32 s6, s31, s7
	v_bfe_u32 v0, v49, 2, 4
	s_movk_i32 s7, 0x3c0
	v_and_or_b32 v2, v49, s7, v0
	v_mad_u32_u24 v8, v2, s4, v41
	ds_read2st64_b32 v[0:1], v8 offset1:17
	v_mad_u32_u24 v6, v2, s4, 0
	ds_read2st64_b32 v[2:3], v6 offset0:1 offset1:18
	ds_read2st64_b32 v[6:7], v6 offset0:35 offset1:52
	;; [unrolled: 1-line block ×3, first 2 shown]
	s_lshl_b32 s2, s44, 5
	s_waitcnt lgkmcnt(3)
	v_cvt_f32_f16_e32 v4, v0
	v_cvt_f32_f16_sdwa v5, v0 dst_sel:DWORD dst_unused:UNUSED_PAD src0_sel:WORD_1
	v_cvt_f32_f16_e32 v0, v1
	v_cvt_f32_f16_sdwa v1, v1 dst_sel:DWORD dst_unused:UNUSED_PAD src0_sel:WORD_1
	s_waitcnt lgkmcnt(0)
	v_cvt_f32_f16_e32 v10, v8
	v_cvt_f32_f16_sdwa v11, v8 dst_sel:DWORD dst_unused:UNUSED_PAD src0_sel:WORD_1
	v_cvt_f32_f16_e32 v8, v9
	v_cvt_f32_f16_sdwa v9, v9 dst_sel:DWORD dst_unused:UNUSED_PAD src0_sel:WORD_1
	v_pk_fma_f32 v[4:5], v[2:3], v[4:5], 0 op_sel_hi:[0,1,0]
	v_mov_b32_e32 v2, v3
	v_pk_fma_f32 v[0:1], v[2:3], v[0:1], v[4:5] op_sel_hi:[0,1,1]
	s_lshl_b64 s[2:3], s[2:3], 3
	v_pk_fma_f32 v[0:1], v[6:7], v[10:11], v[0:1] op_sel_hi:[0,1,1]
	v_mov_b32_e32 v2, v7
	v_add_u32_e32 v4, 1, v42
	s_add_u32 s2, s5, s2
	v_pk_fma_f32 v[0:1], v[2:3], v[8:9], v[0:1] op_sel_hi:[0,1,1]
	v_lshlrev_b32_e32 v2, 2, v4
	v_and_b32_e32 v3, 15, v4
	s_movk_i32 s5, 0x7c0
	v_and_or_b32 v5, v2, s5, v3
	v_mad_u32_u24 v8, v5, s4, v41
	s_addc_u32 s3, s6, s3
	v_add_lshl_u32 v12, v47, v40, 3
	ds_read2st64_b32 v[2:3], v8 offset1:17
	global_store_dwordx2 v12, v[0:1], s[2:3]
	v_mad_u32_u24 v6, v5, s4, 0
	ds_read2st64_b32 v[0:1], v6 offset0:1 offset1:18
	ds_read2st64_b32 v[6:7], v6 offset0:35 offset1:52
	ds_read2st64_b32 v[8:9], v8 offset0:34 offset1:51
	v_lshlrev_b32_e32 v10, 6, v4
	s_waitcnt lgkmcnt(3)
	v_cvt_f32_f16_e32 v4, v2
	v_cvt_f32_f16_sdwa v5, v2 dst_sel:DWORD dst_unused:UNUSED_PAD src0_sel:WORD_1
	v_cvt_f32_f16_e32 v2, v3
	v_cvt_f32_f16_sdwa v3, v3 dst_sel:DWORD dst_unused:UNUSED_PAD src0_sel:WORD_1
	v_add_lshl_u32 v12, v10, v40, 3
	s_waitcnt lgkmcnt(0)
	v_cvt_f32_f16_e32 v10, v8
	v_cvt_f32_f16_sdwa v11, v8 dst_sel:DWORD dst_unused:UNUSED_PAD src0_sel:WORD_1
	v_cvt_f32_f16_e32 v8, v9
	v_cvt_f32_f16_sdwa v9, v9 dst_sel:DWORD dst_unused:UNUSED_PAD src0_sel:WORD_1
	v_pk_fma_f32 v[4:5], v[0:1], v[4:5], 0 op_sel_hi:[0,1,0]
	v_mov_b32_e32 v0, v1
	v_pk_fma_f32 v[0:1], v[0:1], v[2:3], v[4:5] op_sel_hi:[0,1,1]
	v_pk_fma_f32 v[0:1], v[6:7], v[10:11], v[0:1] op_sel_hi:[0,1,1]
	v_mov_b32_e32 v2, v7
	v_add_u32_e32 v4, 2, v42
	v_pk_fma_f32 v[0:1], v[2:3], v[8:9], v[0:1] op_sel_hi:[0,1,1]
	v_lshlrev_b32_e32 v2, 2, v4
	v_and_b32_e32 v3, 15, v4
	v_and_or_b32 v5, v2, s5, v3
	v_mad_u32_u24 v8, v5, s4, v41
	ds_read2st64_b32 v[2:3], v8 offset1:17
	global_store_dwordx2 v12, v[0:1], s[2:3]
	v_mad_u32_u24 v6, v5, s4, 0
	ds_read2st64_b32 v[0:1], v6 offset0:1 offset1:18
	ds_read2st64_b32 v[6:7], v6 offset0:35 offset1:52
	ds_read2st64_b32 v[8:9], v8 offset0:34 offset1:51
	v_lshlrev_b32_e32 v10, 6, v4
	s_waitcnt lgkmcnt(3)
	v_cvt_f32_f16_e32 v4, v2
	v_cvt_f32_f16_sdwa v5, v2 dst_sel:DWORD dst_unused:UNUSED_PAD src0_sel:WORD_1
	v_cvt_f32_f16_e32 v2, v3
	v_cvt_f32_f16_sdwa v3, v3 dst_sel:DWORD dst_unused:UNUSED_PAD src0_sel:WORD_1
	v_add_lshl_u32 v12, v10, v40, 3
	s_waitcnt lgkmcnt(0)
	v_cvt_f32_f16_e32 v10, v8
	v_cvt_f32_f16_sdwa v11, v8 dst_sel:DWORD dst_unused:UNUSED_PAD src0_sel:WORD_1
	v_cvt_f32_f16_e32 v8, v9
	v_cvt_f32_f16_sdwa v9, v9 dst_sel:DWORD dst_unused:UNUSED_PAD src0_sel:WORD_1
	v_pk_fma_f32 v[4:5], v[0:1], v[4:5], 0 op_sel_hi:[0,1,0]
	v_mov_b32_e32 v0, v1
	v_pk_fma_f32 v[0:1], v[0:1], v[2:3], v[4:5] op_sel_hi:[0,1,1]
	v_pk_fma_f32 v[0:1], v[6:7], v[10:11], v[0:1] op_sel_hi:[0,1,1]
	v_mov_b32_e32 v2, v7
	v_add_u32_e32 v4, 3, v42
	v_pk_fma_f32 v[0:1], v[2:3], v[8:9], v[0:1] op_sel_hi:[0,1,1]
	v_lshlrev_b32_e32 v2, 2, v4
	v_and_b32_e32 v3, 15, v4
	v_and_or_b32 v5, v2, s5, v3
	v_mad_u32_u24 v8, v5, s4, v41
	;; [unrolled: 29-line block ×14, first 2 shown]
	ds_read2st64_b32 v[2:3], v8 offset1:17
	global_store_dwordx2 v12, v[0:1], s[2:3]
	v_mad_u32_u24 v6, v5, s4, 0
	ds_read2st64_b32 v[0:1], v6 offset0:1 offset1:18
	ds_read2st64_b32 v[6:7], v6 offset0:35 offset1:52
	;; [unrolled: 1-line block ×3, first 2 shown]
	v_lshlrev_b32_e32 v10, 6, v4
	s_waitcnt lgkmcnt(3)
	v_cvt_f32_f16_e32 v4, v2
	v_cvt_f32_f16_sdwa v5, v2 dst_sel:DWORD dst_unused:UNUSED_PAD src0_sel:WORD_1
	v_cvt_f32_f16_e32 v2, v3
	v_cvt_f32_f16_sdwa v3, v3 dst_sel:DWORD dst_unused:UNUSED_PAD src0_sel:WORD_1
	v_add_lshl_u32 v12, v10, v40, 3
	s_waitcnt lgkmcnt(0)
	v_cvt_f32_f16_e32 v10, v8
	v_cvt_f32_f16_sdwa v11, v8 dst_sel:DWORD dst_unused:UNUSED_PAD src0_sel:WORD_1
	v_cvt_f32_f16_e32 v8, v9
	v_cvt_f32_f16_sdwa v9, v9 dst_sel:DWORD dst_unused:UNUSED_PAD src0_sel:WORD_1
	v_pk_fma_f32 v[4:5], v[0:1], v[4:5], 0 op_sel_hi:[0,1,0]
	v_mov_b32_e32 v0, v1
	v_pk_fma_f32 v[0:1], v[0:1], v[2:3], v[4:5] op_sel_hi:[0,1,1]
	v_pk_fma_f32 v[0:1], v[6:7], v[10:11], v[0:1] op_sel_hi:[0,1,1]
	v_mov_b32_e32 v2, v7
	v_pk_fma_f32 v[0:1], v[2:3], v[8:9], v[0:1] op_sel_hi:[0,1,1]
	global_store_dwordx2 v12, v[0:1], s[2:3]
.LBB25_374:
	s_or_b64 exec, exec, s[0:1]
	s_barrier
	s_endpgm
	.section	.rodata,"a",@progbits
	.p2align	6, 0x0
	.amdhsa_kernel _ZL18flash_attn_ext_f16ILi128ELi128ELi4ELi4ELb1ELb0EEvPKcS1_S1_S1_S1_PKiPfP15HIP_vector_typeIfLj2EEffffjfiS5_IjLj3EEiiiiiiiiiiiliiliiiiil
		.amdhsa_group_segment_fixed_size 0
		.amdhsa_private_segment_fixed_size 0
		.amdhsa_kernarg_size 464
		.amdhsa_user_sgpr_count 2
		.amdhsa_user_sgpr_dispatch_ptr 0
		.amdhsa_user_sgpr_queue_ptr 0
		.amdhsa_user_sgpr_kernarg_segment_ptr 1
		.amdhsa_user_sgpr_dispatch_id 0
		.amdhsa_user_sgpr_kernarg_preload_length 0
		.amdhsa_user_sgpr_kernarg_preload_offset 0
		.amdhsa_user_sgpr_private_segment_size 0
		.amdhsa_uses_dynamic_stack 0
		.amdhsa_enable_private_segment 0
		.amdhsa_system_sgpr_workgroup_id_x 1
		.amdhsa_system_sgpr_workgroup_id_y 0
		.amdhsa_system_sgpr_workgroup_id_z 0
		.amdhsa_system_sgpr_workgroup_info 0
		.amdhsa_system_vgpr_workitem_id 1
		.amdhsa_next_free_vgpr 201
		.amdhsa_next_free_sgpr 100
		.amdhsa_accum_offset 204
		.amdhsa_reserve_vcc 1
		.amdhsa_float_round_mode_32 0
		.amdhsa_float_round_mode_16_64 0
		.amdhsa_float_denorm_mode_32 3
		.amdhsa_float_denorm_mode_16_64 3
		.amdhsa_dx10_clamp 1
		.amdhsa_ieee_mode 1
		.amdhsa_fp16_overflow 0
		.amdhsa_tg_split 0
		.amdhsa_exception_fp_ieee_invalid_op 0
		.amdhsa_exception_fp_denorm_src 0
		.amdhsa_exception_fp_ieee_div_zero 0
		.amdhsa_exception_fp_ieee_overflow 0
		.amdhsa_exception_fp_ieee_underflow 0
		.amdhsa_exception_fp_ieee_inexact 0
		.amdhsa_exception_int_div_zero 0
	.end_amdhsa_kernel
	.section	.text._ZL18flash_attn_ext_f16ILi128ELi128ELi4ELi4ELb1ELb0EEvPKcS1_S1_S1_S1_PKiPfP15HIP_vector_typeIfLj2EEffffjfiS5_IjLj3EEiiiiiiiiiiiliiliiiiil,"axG",@progbits,_ZL18flash_attn_ext_f16ILi128ELi128ELi4ELi4ELb1ELb0EEvPKcS1_S1_S1_S1_PKiPfP15HIP_vector_typeIfLj2EEffffjfiS5_IjLj3EEiiiiiiiiiiiliiliiiiil,comdat
.Lfunc_end25:
	.size	_ZL18flash_attn_ext_f16ILi128ELi128ELi4ELi4ELb1ELb0EEvPKcS1_S1_S1_S1_PKiPfP15HIP_vector_typeIfLj2EEffffjfiS5_IjLj3EEiiiiiiiiiiiliiliiiiil, .Lfunc_end25-_ZL18flash_attn_ext_f16ILi128ELi128ELi4ELi4ELb1ELb0EEvPKcS1_S1_S1_S1_PKiPfP15HIP_vector_typeIfLj2EEffffjfiS5_IjLj3EEiiiiiiiiiiiliiliiiiil
                                        ; -- End function
	.set _ZL18flash_attn_ext_f16ILi128ELi128ELi4ELi4ELb1ELb0EEvPKcS1_S1_S1_S1_PKiPfP15HIP_vector_typeIfLj2EEffffjfiS5_IjLj3EEiiiiiiiiiiiliiliiiiil.num_vgpr, 201
	.set _ZL18flash_attn_ext_f16ILi128ELi128ELi4ELi4ELb1ELb0EEvPKcS1_S1_S1_S1_PKiPfP15HIP_vector_typeIfLj2EEffffjfiS5_IjLj3EEiiiiiiiiiiiliiliiiiil.num_agpr, 0
	.set _ZL18flash_attn_ext_f16ILi128ELi128ELi4ELi4ELb1ELb0EEvPKcS1_S1_S1_S1_PKiPfP15HIP_vector_typeIfLj2EEffffjfiS5_IjLj3EEiiiiiiiiiiiliiliiiiil.numbered_sgpr, 100
	.set _ZL18flash_attn_ext_f16ILi128ELi128ELi4ELi4ELb1ELb0EEvPKcS1_S1_S1_S1_PKiPfP15HIP_vector_typeIfLj2EEffffjfiS5_IjLj3EEiiiiiiiiiiiliiliiiiil.num_named_barrier, 0
	.set _ZL18flash_attn_ext_f16ILi128ELi128ELi4ELi4ELb1ELb0EEvPKcS1_S1_S1_S1_PKiPfP15HIP_vector_typeIfLj2EEffffjfiS5_IjLj3EEiiiiiiiiiiiliiliiiiil.private_seg_size, 0
	.set _ZL18flash_attn_ext_f16ILi128ELi128ELi4ELi4ELb1ELb0EEvPKcS1_S1_S1_S1_PKiPfP15HIP_vector_typeIfLj2EEffffjfiS5_IjLj3EEiiiiiiiiiiiliiliiiiil.uses_vcc, 1
	.set _ZL18flash_attn_ext_f16ILi128ELi128ELi4ELi4ELb1ELb0EEvPKcS1_S1_S1_S1_PKiPfP15HIP_vector_typeIfLj2EEffffjfiS5_IjLj3EEiiiiiiiiiiiliiliiiiil.uses_flat_scratch, 0
	.set _ZL18flash_attn_ext_f16ILi128ELi128ELi4ELi4ELb1ELb0EEvPKcS1_S1_S1_S1_PKiPfP15HIP_vector_typeIfLj2EEffffjfiS5_IjLj3EEiiiiiiiiiiiliiliiiiil.has_dyn_sized_stack, 0
	.set _ZL18flash_attn_ext_f16ILi128ELi128ELi4ELi4ELb1ELb0EEvPKcS1_S1_S1_S1_PKiPfP15HIP_vector_typeIfLj2EEffffjfiS5_IjLj3EEiiiiiiiiiiiliiliiiiil.has_recursion, 0
	.set _ZL18flash_attn_ext_f16ILi128ELi128ELi4ELi4ELb1ELb0EEvPKcS1_S1_S1_S1_PKiPfP15HIP_vector_typeIfLj2EEffffjfiS5_IjLj3EEiiiiiiiiiiiliiliiiiil.has_indirect_call, 0
	.section	.AMDGPU.csdata,"",@progbits
; Kernel info:
; codeLenInByte = 42556
; TotalNumSgprs: 106
; NumVgprs: 201
; NumAgprs: 0
; TotalNumVgprs: 201
; ScratchSize: 0
; MemoryBound: 0
; FloatMode: 240
; IeeeMode: 1
; LDSByteSize: 0 bytes/workgroup (compile time only)
; SGPRBlocks: 13
; VGPRBlocks: 25
; NumSGPRsForWavesPerEU: 106
; NumVGPRsForWavesPerEU: 201
; AccumOffset: 204
; Occupancy: 2
; WaveLimiterHint : 0
; COMPUTE_PGM_RSRC2:SCRATCH_EN: 0
; COMPUTE_PGM_RSRC2:USER_SGPR: 2
; COMPUTE_PGM_RSRC2:TRAP_HANDLER: 0
; COMPUTE_PGM_RSRC2:TGID_X_EN: 1
; COMPUTE_PGM_RSRC2:TGID_Y_EN: 0
; COMPUTE_PGM_RSRC2:TGID_Z_EN: 0
; COMPUTE_PGM_RSRC2:TIDIG_COMP_CNT: 1
; COMPUTE_PGM_RSRC3_GFX90A:ACCUM_OFFSET: 50
; COMPUTE_PGM_RSRC3_GFX90A:TG_SPLIT: 0
	.section	.text._ZL33flash_attn_stream_k_fixup_uniformILi128ELi4ELi4EEvPfPK15HIP_vector_typeIfLj2EEiiiiiiS1_IjLj3EES5_S5_,"axG",@progbits,_ZL33flash_attn_stream_k_fixup_uniformILi128ELi4ELi4EEvPfPK15HIP_vector_typeIfLj2EEiiiiiiS1_IjLj3EES5_S5_,comdat
	.globl	_ZL33flash_attn_stream_k_fixup_uniformILi128ELi4ELi4EEvPfPK15HIP_vector_typeIfLj2EEiiiiiiS1_IjLj3EES5_S5_ ; -- Begin function _ZL33flash_attn_stream_k_fixup_uniformILi128ELi4ELi4EEvPfPK15HIP_vector_typeIfLj2EEiiiiiiS1_IjLj3EES5_S5_
	.p2align	8
	.type	_ZL33flash_attn_stream_k_fixup_uniformILi128ELi4ELi4EEvPfPK15HIP_vector_typeIfLj2EEiiiiiiS1_IjLj3EES5_S5_,@function
_ZL33flash_attn_stream_k_fixup_uniformILi128ELi4ELi4EEvPfPK15HIP_vector_typeIfLj2EEiiiiiiS1_IjLj3EES5_S5_: ; @_ZL33flash_attn_stream_k_fixup_uniformILi128ELi4ELi4EEvPfPK15HIP_vector_typeIfLj2EEiiiiiiS1_IjLj3EES5_S5_
; %bb.0:
	s_load_dwordx8 s[8:15], s[0:1], 0x1c
	s_load_dwordx2 s[6:7], s[0:1], 0x10
	s_load_dwordx4 s[20:23], s[0:1], 0x3c
	s_waitcnt lgkmcnt(0)
	s_mul_hi_u32 s5, s11, s2
	s_add_i32 s5, s2, s5
	s_lshr_b32 s5, s5, s12
	s_mul_i32 s11, s5, s13
	s_sub_i32 s11, s2, s11
	s_mul_hi_u32 s12, s11, s14
	s_add_i32 s12, s11, s12
	s_lshr_b32 s16, s12, s15
	s_mul_i32 s12, s16, s20
	s_sub_i32 s11, s11, s12
	;; [unrolled: 5-line block ×3, first 2 shown]
	s_lshl_b32 s11, s12, 2
	s_lshl_b32 s12, s17, 2
	s_add_i32 s12, s12, s3
	s_cmp_lt_i32 s12, s6
	s_cselect_b64 s[12:13], -1, 0
	s_add_i32 s14, s11, s4
	s_cmp_lt_i32 s14, s9
	s_cselect_b64 s[14:15], -1, 0
	s_and_b64 s[12:13], s[12:13], s[14:15]
	s_andn2_b64 vcc, exec, s[12:13]
	s_cbranch_vccnz .LBB26_6
; %bb.1:
	s_load_dwordx4 s[12:15], s[0:1], 0x0
	s_mul_i32 s0, s5, s6
	s_add_i32 s0, s0, s3
	s_mul_i32 s0, s0, s7
	s_mul_i32 s16, s16, s9
	s_add_i32 s0, s0, s4
	s_add_i32 s0, s0, s16
	s_mul_i32 s1, s7, s17
	s_add_i32 s0, s0, s11
	s_lshl_b32 s1, s1, 9
	s_lshl_b32 s0, s0, 7
	s_add_i32 s1, s1, s0
	v_or_b32_e32 v4, s1, v0
	s_waitcnt lgkmcnt(0)
	v_mov_b32_e32 v2, s12
	v_mov_b32_e32 v3, s13
	v_ashrrev_i32_e32 v5, 31, v4
	v_lshl_add_u64 v[2:3], v[4:5], 2, v[2:3]
	global_load_dword v5, v[2:3], off
	s_mul_i32 s5, s10, s2
	s_lshl_b32 s11, s3, 2
	s_add_i32 s9, s5, s10
	s_add_i32 s0, s11, s4
	s_lshl_b32 s1, s9, 4
	s_add_i32 s0, s0, s1
	s_add_i32 s0, s0, -16
	s_ashr_i32 s1, s0, 31
	s_lshl_b64 s[0:1], s[0:1], 3
	s_add_u32 s0, s14, s0
	s_addc_u32 s1, s15, s1
	s_load_dword s12, s[0:1], 0x4
	s_add_i32 s6, s9, -2
	s_cmp_lt_i32 s6, s5
	s_cbranch_scc1 .LBB26_4
; %bb.2:
	s_lshl_b32 s6, s8, 6
	s_ashr_i32 s7, s6, 31
	s_lshl_b64 s[6:7], s[6:7], 2
	s_add_u32 s6, s14, s6
	s_addc_u32 s7, s15, s7
	s_add_i32 s2, s2, 1
	s_load_dword s0, s[0:1], 0x0
	s_mul_i32 s1, s10, s2
	s_lshl_b32 s3, s3, 9
	s_lshl_b32 s10, s4, 7
	;; [unrolled: 1-line block ×3, first 2 shown]
	s_add_i32 s3, s10, s3
	s_lshl_b32 s1, s1, 4
	s_add_i32 s3, s3, s2
	s_add_i32 s1, s4, s1
	s_lshl_b32 s2, s8, 4
	s_add_i32 s1, s1, s2
	v_or_b32_e32 v0, s3, v0
	s_add_i32 s1, s1, s11
	s_add_i32 s9, s9, -1
	v_add_u32_e32 v0, 0xfffff000, v0
	s_sub_i32 s2, s1, 32
	s_waitcnt lgkmcnt(0)
	v_mov_b32_e32 v7, s0
	v_mov_b32_e32 v4, s12
	s_mov_b32 s4, 0x3fb8aa3b
	s_mov_b32 s8, 0xc2ce8ed0
	;; [unrolled: 1-line block ×3, first 2 shown]
	v_mov_b32_e32 v6, 0x7f800000
	s_mov_b32 s11, 0xc1a00000
.LBB26_3:                               ; =>This Inner Loop Header: Depth=1
	v_ashrrev_i32_e32 v1, 31, v0
	v_lshl_add_u64 v[8:9], v[0:1], 2, s[6:7]
	global_load_dword v9, v[8:9], off
	s_ashr_i32 s3, s2, 31
	s_lshl_b64 s[0:1], s[2:3], 3
	s_add_u32 s0, s14, s0
	s_addc_u32 s1, s15, s1
	s_load_dwordx2 s[0:1], s[0:1], 0x0
	v_max_f32_e32 v1, v7, v7
	s_add_i32 s9, s9, -1
	s_add_i32 s2, s2, -16
	v_add_u32_e32 v0, 0xfffff800, v0
	s_waitcnt lgkmcnt(0)
	v_max_f32_e64 v10, s0, s0
	v_max_f32_e32 v1, v1, v10
	v_sub_f32_e32 v11, s0, v1
	v_sub_f32_e32 v10, v7, v1
	v_mul_f32_e32 v12, 0x3fb8aa3b, v11
	v_mov_b32_e32 v7, v1
	v_mul_f32_e32 v1, 0x3fb8aa3b, v10
	v_fma_f32 v15, v11, s4, -v12
	v_rndne_f32_e32 v16, v12
	v_fma_f32 v13, v10, s4, -v1
	v_rndne_f32_e32 v14, v1
	v_fmac_f32_e32 v15, 0x32a5705f, v11
	v_sub_f32_e32 v12, v12, v16
	v_fmac_f32_e32 v13, 0x32a5705f, v10
	v_sub_f32_e32 v1, v1, v14
	v_add_f32_e32 v12, v12, v15
	v_cvt_i32_f32_e32 v16, v16
	v_add_f32_e32 v1, v1, v13
	v_exp_f32_e32 v12, v12
	v_cvt_i32_f32_e32 v14, v14
	v_exp_f32_e32 v1, v1
	v_cmp_ngt_f32_e32 vcc, s8, v11
	v_ldexp_f32 v12, v12, v16
	v_mov_b32_e32 v8, s1
	v_ldexp_f32 v1, v1, v14
	v_cmp_ngt_f32_e64 s[0:1], s8, v10
	v_cndmask_b32_e32 v12, 0, v12, vcc
	v_cmp_nlt_f32_e32 vcc, s10, v11
	v_cndmask_b32_e64 v1, 0, v1, s[0:1]
	v_cmp_nlt_f32_e64 s[0:1], s10, v10
	v_cndmask_b32_e32 v12, v6, v12, vcc
	v_cmp_le_f32_e32 vcc, s11, v11
	v_cndmask_b32_e64 v1, v6, v1, s[0:1]
	v_cmp_le_f32_e64 s[0:1], s11, v10
	v_cndmask_b32_e32 v12, 0, v12, vcc
	s_cmp_le_i32 s9, s5
	v_cndmask_b32_e64 v10, 0, v1, s[0:1]
	s_waitcnt vmcnt(0)
	v_pk_mul_f32 v[8:9], v[8:9], v[12:13] op_sel_hi:[1,0]
	s_nop 0
	v_pk_fma_f32 v[4:5], v[4:5], v[10:11], v[8:9] op_sel_hi:[1,0,1]
	s_cbranch_scc0 .LBB26_3
	s_branch .LBB26_5
.LBB26_4:
	s_waitcnt lgkmcnt(0)
	v_mov_b32_e32 v4, s12
.LBB26_5:
	s_waitcnt vmcnt(0)
	v_div_scale_f32 v0, s[0:1], v4, v4, v5
	v_rcp_f32_e32 v1, v0
	v_div_scale_f32 v6, vcc, v5, v4, v5
	v_fma_f32 v7, -v0, v1, 1.0
	v_fmac_f32_e32 v1, v7, v1
	v_mul_f32_e32 v7, v6, v1
	v_fma_f32 v8, -v0, v7, v6
	v_fmac_f32_e32 v7, v8, v1
	v_fma_f32 v0, -v0, v7, v6
	v_div_fmas_f32 v0, v0, v1, v7
	v_div_fixup_f32 v0, v0, v4, v5
	global_store_dword v[2:3], v0, off
.LBB26_6:
	s_endpgm
	.section	.rodata,"a",@progbits
	.p2align	6, 0x0
	.amdhsa_kernel _ZL33flash_attn_stream_k_fixup_uniformILi128ELi4ELi4EEvPfPK15HIP_vector_typeIfLj2EEiiiiiiS1_IjLj3EES5_S5_
		.amdhsa_group_segment_fixed_size 0
		.amdhsa_private_segment_fixed_size 0
		.amdhsa_kernarg_size 76
		.amdhsa_user_sgpr_count 2
		.amdhsa_user_sgpr_dispatch_ptr 0
		.amdhsa_user_sgpr_queue_ptr 0
		.amdhsa_user_sgpr_kernarg_segment_ptr 1
		.amdhsa_user_sgpr_dispatch_id 0
		.amdhsa_user_sgpr_kernarg_preload_length 0
		.amdhsa_user_sgpr_kernarg_preload_offset 0
		.amdhsa_user_sgpr_private_segment_size 0
		.amdhsa_uses_dynamic_stack 0
		.amdhsa_enable_private_segment 0
		.amdhsa_system_sgpr_workgroup_id_x 1
		.amdhsa_system_sgpr_workgroup_id_y 1
		.amdhsa_system_sgpr_workgroup_id_z 1
		.amdhsa_system_sgpr_workgroup_info 0
		.amdhsa_system_vgpr_workitem_id 0
		.amdhsa_next_free_vgpr 17
		.amdhsa_next_free_sgpr 24
		.amdhsa_accum_offset 20
		.amdhsa_reserve_vcc 1
		.amdhsa_float_round_mode_32 0
		.amdhsa_float_round_mode_16_64 0
		.amdhsa_float_denorm_mode_32 3
		.amdhsa_float_denorm_mode_16_64 3
		.amdhsa_dx10_clamp 1
		.amdhsa_ieee_mode 1
		.amdhsa_fp16_overflow 0
		.amdhsa_tg_split 0
		.amdhsa_exception_fp_ieee_invalid_op 0
		.amdhsa_exception_fp_denorm_src 0
		.amdhsa_exception_fp_ieee_div_zero 0
		.amdhsa_exception_fp_ieee_overflow 0
		.amdhsa_exception_fp_ieee_underflow 0
		.amdhsa_exception_fp_ieee_inexact 0
		.amdhsa_exception_int_div_zero 0
	.end_amdhsa_kernel
	.section	.text._ZL33flash_attn_stream_k_fixup_uniformILi128ELi4ELi4EEvPfPK15HIP_vector_typeIfLj2EEiiiiiiS1_IjLj3EES5_S5_,"axG",@progbits,_ZL33flash_attn_stream_k_fixup_uniformILi128ELi4ELi4EEvPfPK15HIP_vector_typeIfLj2EEiiiiiiS1_IjLj3EES5_S5_,comdat
.Lfunc_end26:
	.size	_ZL33flash_attn_stream_k_fixup_uniformILi128ELi4ELi4EEvPfPK15HIP_vector_typeIfLj2EEiiiiiiS1_IjLj3EES5_S5_, .Lfunc_end26-_ZL33flash_attn_stream_k_fixup_uniformILi128ELi4ELi4EEvPfPK15HIP_vector_typeIfLj2EEiiiiiiS1_IjLj3EES5_S5_
                                        ; -- End function
	.set _ZL33flash_attn_stream_k_fixup_uniformILi128ELi4ELi4EEvPfPK15HIP_vector_typeIfLj2EEiiiiiiS1_IjLj3EES5_S5_.num_vgpr, 17
	.set _ZL33flash_attn_stream_k_fixup_uniformILi128ELi4ELi4EEvPfPK15HIP_vector_typeIfLj2EEiiiiiiS1_IjLj3EES5_S5_.num_agpr, 0
	.set _ZL33flash_attn_stream_k_fixup_uniformILi128ELi4ELi4EEvPfPK15HIP_vector_typeIfLj2EEiiiiiiS1_IjLj3EES5_S5_.numbered_sgpr, 24
	.set _ZL33flash_attn_stream_k_fixup_uniformILi128ELi4ELi4EEvPfPK15HIP_vector_typeIfLj2EEiiiiiiS1_IjLj3EES5_S5_.num_named_barrier, 0
	.set _ZL33flash_attn_stream_k_fixup_uniformILi128ELi4ELi4EEvPfPK15HIP_vector_typeIfLj2EEiiiiiiS1_IjLj3EES5_S5_.private_seg_size, 0
	.set _ZL33flash_attn_stream_k_fixup_uniformILi128ELi4ELi4EEvPfPK15HIP_vector_typeIfLj2EEiiiiiiS1_IjLj3EES5_S5_.uses_vcc, 1
	.set _ZL33flash_attn_stream_k_fixup_uniformILi128ELi4ELi4EEvPfPK15HIP_vector_typeIfLj2EEiiiiiiS1_IjLj3EES5_S5_.uses_flat_scratch, 0
	.set _ZL33flash_attn_stream_k_fixup_uniformILi128ELi4ELi4EEvPfPK15HIP_vector_typeIfLj2EEiiiiiiS1_IjLj3EES5_S5_.has_dyn_sized_stack, 0
	.set _ZL33flash_attn_stream_k_fixup_uniformILi128ELi4ELi4EEvPfPK15HIP_vector_typeIfLj2EEiiiiiiS1_IjLj3EES5_S5_.has_recursion, 0
	.set _ZL33flash_attn_stream_k_fixup_uniformILi128ELi4ELi4EEvPfPK15HIP_vector_typeIfLj2EEiiiiiiS1_IjLj3EES5_S5_.has_indirect_call, 0
	.section	.AMDGPU.csdata,"",@progbits
; Kernel info:
; codeLenInByte = 836
; TotalNumSgprs: 30
; NumVgprs: 17
; NumAgprs: 0
; TotalNumVgprs: 17
; ScratchSize: 0
; MemoryBound: 0
; FloatMode: 240
; IeeeMode: 1
; LDSByteSize: 0 bytes/workgroup (compile time only)
; SGPRBlocks: 3
; VGPRBlocks: 2
; NumSGPRsForWavesPerEU: 30
; NumVGPRsForWavesPerEU: 17
; AccumOffset: 20
; Occupancy: 8
; WaveLimiterHint : 0
; COMPUTE_PGM_RSRC2:SCRATCH_EN: 0
; COMPUTE_PGM_RSRC2:USER_SGPR: 2
; COMPUTE_PGM_RSRC2:TRAP_HANDLER: 0
; COMPUTE_PGM_RSRC2:TGID_X_EN: 1
; COMPUTE_PGM_RSRC2:TGID_Y_EN: 1
; COMPUTE_PGM_RSRC2:TGID_Z_EN: 1
; COMPUTE_PGM_RSRC2:TIDIG_COMP_CNT: 0
; COMPUTE_PGM_RSRC3_GFX90A:ACCUM_OFFSET: 4
; COMPUTE_PGM_RSRC3_GFX90A:TG_SPLIT: 0
	.section	.text._ZL33flash_attn_stream_k_fixup_generalILi128ELi4ELi4EEvPfPK15HIP_vector_typeIfLj2EEiiiiS1_IjLj3EES5_S5_S5_,"axG",@progbits,_ZL33flash_attn_stream_k_fixup_generalILi128ELi4ELi4EEvPfPK15HIP_vector_typeIfLj2EEiiiiS1_IjLj3EES5_S5_S5_,comdat
	.globl	_ZL33flash_attn_stream_k_fixup_generalILi128ELi4ELi4EEvPfPK15HIP_vector_typeIfLj2EEiiiiS1_IjLj3EES5_S5_S5_ ; -- Begin function _ZL33flash_attn_stream_k_fixup_generalILi128ELi4ELi4EEvPfPK15HIP_vector_typeIfLj2EEiiiiS1_IjLj3EES5_S5_S5_
	.p2align	8
	.type	_ZL33flash_attn_stream_k_fixup_generalILi128ELi4ELi4EEvPfPK15HIP_vector_typeIfLj2EEiiiiS1_IjLj3EES5_S5_S5_,@function
_ZL33flash_attn_stream_k_fixup_generalILi128ELi4ELi4EEvPfPK15HIP_vector_typeIfLj2EEiiiiS1_IjLj3EES5_S5_S5_: ; @_ZL33flash_attn_stream_k_fixup_generalILi128ELi4ELi4EEvPfPK15HIP_vector_typeIfLj2EEiiiiS1_IjLj3EES5_S5_S5_
; %bb.0:
	s_load_dwordx4 s[8:11], s[0:1], 0x10
	s_load_dword s22, s[0:1], 0x50
	s_mov_b32 s12, 0
	s_waitcnt lgkmcnt(0)
	s_mul_hi_i32 s13, s11, s2
	s_cmp_lg_u64 s[12:13], 0
	s_mul_i32 s5, s11, s2
	s_cbranch_scc0 .LBB27_20
; %bb.1:
	s_add_u32 s6, s22, 0
	s_addc_u32 s7, 0, 0
	s_xor_b64 s[6:7], s[6:7], 0
	v_cvt_f32_u32_e32 v1, s6
	v_cvt_f32_u32_e32 v2, s7
	s_sub_u32 s12, 0, s6
	s_subb_u32 s18, 0, s7
	v_fmamk_f32 v1, v2, 0x4f800000, v1
	v_rcp_f32_e32 v1, v1
	s_nop 0
	v_mul_f32_e32 v1, 0x5f7ffffc, v1
	v_mul_f32_e32 v2, 0x2f800000, v1
	v_trunc_f32_e32 v2, v2
	v_fmamk_f32 v1, v2, 0xcf800000, v1
	v_cvt_u32_f32_e32 v2, v2
	v_cvt_u32_f32_e32 v1, v1
	v_readfirstlane_b32 s19, v2
	v_readfirstlane_b32 s14, v1
	s_mul_i32 s15, s12, s19
	s_mul_hi_u32 s21, s12, s14
	s_mul_i32 s20, s18, s14
	s_add_i32 s15, s21, s15
	s_add_i32 s15, s15, s20
	s_mul_i32 s23, s12, s14
	s_mul_i32 s21, s14, s15
	s_mul_hi_u32 s24, s14, s23
	s_mul_hi_u32 s20, s14, s15
	s_add_u32 s21, s24, s21
	s_addc_u32 s20, 0, s20
	s_mul_hi_u32 s25, s19, s23
	s_mul_i32 s23, s19, s23
	s_add_u32 s21, s21, s23
	s_mul_hi_u32 s24, s19, s15
	s_addc_u32 s20, s20, s25
	s_addc_u32 s21, s24, 0
	s_mul_i32 s15, s19, s15
	s_add_u32 s15, s20, s15
	s_addc_u32 s20, 0, s21
	s_add_u32 s21, s14, s15
	s_cselect_b64 s[14:15], -1, 0
	s_cmp_lg_u64 s[14:15], 0
	s_addc_u32 s19, s19, s20
	s_mul_i32 s14, s12, s19
	s_mul_hi_u32 s15, s12, s21
	s_add_i32 s14, s15, s14
	s_mul_i32 s18, s18, s21
	s_add_i32 s14, s14, s18
	s_mul_i32 s12, s12, s21
	s_mul_hi_u32 s18, s19, s12
	s_mul_i32 s20, s19, s12
	s_mul_i32 s24, s21, s14
	s_mul_hi_u32 s12, s21, s12
	s_mul_hi_u32 s23, s21, s14
	s_add_u32 s12, s12, s24
	s_addc_u32 s23, 0, s23
	s_add_u32 s12, s12, s20
	s_mul_hi_u32 s15, s19, s14
	s_addc_u32 s12, s23, s18
	s_addc_u32 s15, s15, 0
	s_mul_i32 s14, s19, s14
	s_add_u32 s12, s12, s14
	s_addc_u32 s18, 0, s15
	s_add_u32 s20, s21, s12
	s_cselect_b64 s[14:15], -1, 0
	s_cmp_lg_u64 s[14:15], 0
	s_addc_u32 s18, s19, s18
	s_ashr_i32 s14, s13, 31
	s_add_u32 s12, s5, s14
	s_mov_b32 s15, s14
	s_addc_u32 s13, s13, s14
	s_xor_b64 s[12:13], s[12:13], s[14:15]
	s_mul_i32 s21, s12, s18
	s_mul_hi_u32 s23, s12, s20
	s_mul_hi_u32 s19, s12, s18
	s_add_u32 s21, s23, s21
	s_addc_u32 s19, 0, s19
	s_mul_hi_u32 s24, s13, s20
	s_mul_i32 s20, s13, s20
	s_add_u32 s20, s21, s20
	s_mul_hi_u32 s23, s13, s18
	s_addc_u32 s19, s19, s24
	s_addc_u32 s20, s23, 0
	s_mul_i32 s18, s13, s18
	s_add_u32 s23, s19, s18
	s_addc_u32 s24, 0, s20
	s_mul_i32 s18, s6, s24
	s_mul_hi_u32 s19, s6, s23
	s_add_i32 s18, s19, s18
	s_mul_i32 s19, s7, s23
	s_add_i32 s25, s18, s19
	s_sub_i32 s20, s13, s25
	s_mul_i32 s18, s6, s23
	s_sub_u32 s12, s12, s18
	s_cselect_b64 s[18:19], -1, 0
	s_cmp_lg_u64 s[18:19], 0
	s_subb_u32 s26, s20, s7
	s_sub_u32 s27, s12, s6
	s_cselect_b64 s[20:21], -1, 0
	s_cmp_lg_u64 s[20:21], 0
	s_subb_u32 s20, s26, 0
	s_cmp_ge_u32 s20, s7
	s_cselect_b32 s21, -1, 0
	s_cmp_ge_u32 s27, s6
	s_cselect_b32 s26, -1, 0
	s_cmp_eq_u32 s20, s7
	s_cselect_b32 s20, s26, s21
	s_add_u32 s21, s23, 1
	s_addc_u32 s26, s24, 0
	s_add_u32 s27, s23, 2
	s_addc_u32 s28, s24, 0
	s_cmp_lg_u32 s20, 0
	s_cselect_b32 s20, s27, s21
	s_cselect_b32 s21, s28, s26
	s_cmp_lg_u64 s[18:19], 0
	s_subb_u32 s13, s13, s25
	s_cmp_ge_u32 s13, s7
	s_cselect_b32 s18, -1, 0
	s_cmp_ge_u32 s12, s6
	s_cselect_b32 s6, -1, 0
	s_cmp_eq_u32 s13, s7
	s_cselect_b32 s6, s6, s18
	s_cmp_lg_u32 s6, 0
	s_cselect_b32 s7, s21, s24
	s_cselect_b32 s6, s20, s23
	s_xor_b64 s[12:13], s[14:15], 0
	s_xor_b64 s[6:7], s[6:7], s[12:13]
	s_sub_u32 s6, s6, s12
	s_load_dwordx4 s[12:15], s[0:1], 0x44
	s_cbranch_execnz .LBB27_3
.LBB27_2:
	v_cvt_f32_u32_e32 v1, s22
	s_sub_i32 s6, 0, s22
	v_rcp_iflag_f32_e32 v1, v1
	s_nop 0
	v_mul_f32_e32 v1, 0x4f7ffffe, v1
	v_cvt_u32_f32_e32 v1, v1
	s_nop 0
	v_readfirstlane_b32 s7, v1
	s_mul_i32 s6, s6, s7
	s_mul_hi_u32 s6, s7, s6
	s_add_i32 s7, s7, s6
	s_mul_hi_u32 s6, s5, s7
	s_waitcnt lgkmcnt(0)
	s_mul_i32 s15, s6, s22
	s_sub_i32 s5, s5, s15
	s_add_i32 s7, s6, 1
	s_sub_i32 s15, s5, s22
	s_cmp_ge_u32 s5, s22
	s_cselect_b32 s6, s7, s6
	s_cselect_b32 s5, s15, s5
	s_add_i32 s7, s6, 1
	s_cmp_ge_u32 s5, s22
	s_cselect_b32 s6, s7, s6
.LBB27_3:
	s_add_i32 s5, s2, 1
	s_mul_hi_i32 s21, s11, s5
	s_mov_b32 s20, 0
	s_cmp_lg_u64 s[20:21], 0
	s_mul_i32 s5, s11, s5
	s_cbranch_scc0 .LBB27_21
; %bb.4:
	s_add_u32 s16, s22, 0
	s_addc_u32 s17, 0, 0
	s_xor_b64 s[18:19], s[16:17], 0
	v_cvt_f32_u32_e32 v1, s18
	v_cvt_f32_u32_e32 v2, s19
	s_sub_u32 s7, 0, s18
	s_waitcnt lgkmcnt(0)
	s_subb_u32 s15, 0, s19
	v_fmamk_f32 v1, v2, 0x4f800000, v1
	v_rcp_f32_e32 v1, v1
	s_nop 0
	v_mul_f32_e32 v1, 0x5f7ffffc, v1
	v_mul_f32_e32 v2, 0x2f800000, v1
	v_trunc_f32_e32 v2, v2
	v_fmamk_f32 v1, v2, 0xcf800000, v1
	v_cvt_u32_f32_e32 v2, v2
	v_cvt_u32_f32_e32 v1, v1
	v_readfirstlane_b32 s20, v2
	v_readfirstlane_b32 s23, v1
	s_mul_i32 s24, s7, s20
	s_mul_hi_u32 s26, s7, s23
	s_mul_i32 s25, s15, s23
	s_add_i32 s24, s26, s24
	s_add_i32 s24, s24, s25
	s_mul_i32 s27, s7, s23
	s_mul_i32 s26, s23, s24
	s_mul_hi_u32 s28, s23, s27
	s_mul_hi_u32 s25, s23, s24
	s_add_u32 s26, s28, s26
	s_addc_u32 s25, 0, s25
	s_mul_hi_u32 s29, s20, s27
	s_mul_i32 s27, s20, s27
	s_add_u32 s26, s26, s27
	s_mul_hi_u32 s28, s20, s24
	s_addc_u32 s25, s25, s29
	s_addc_u32 s26, s28, 0
	s_mul_i32 s24, s20, s24
	s_add_u32 s24, s25, s24
	s_addc_u32 s26, 0, s26
	s_add_u32 s23, s23, s24
	s_cselect_b64 s[24:25], -1, 0
	s_cmp_lg_u64 s[24:25], 0
	s_addc_u32 s20, s20, s26
	s_mul_i32 s24, s7, s20
	s_mul_hi_u32 s25, s7, s23
	s_add_i32 s24, s25, s24
	s_mul_i32 s15, s15, s23
	s_add_i32 s24, s24, s15
	s_mul_i32 s7, s7, s23
	s_mul_hi_u32 s25, s20, s7
	s_mul_i32 s26, s20, s7
	s_mul_i32 s28, s23, s24
	s_mul_hi_u32 s7, s23, s7
	s_mul_hi_u32 s27, s23, s24
	s_add_u32 s7, s7, s28
	s_addc_u32 s27, 0, s27
	s_add_u32 s7, s7, s26
	s_mul_hi_u32 s15, s20, s24
	s_addc_u32 s7, s27, s25
	s_addc_u32 s15, s15, 0
	s_mul_i32 s24, s20, s24
	s_add_u32 s7, s7, s24
	s_addc_u32 s15, 0, s15
	s_add_u32 s7, s23, s7
	s_cselect_b64 s[24:25], -1, 0
	s_cmp_lg_u64 s[24:25], 0
	s_addc_u32 s15, s20, s15
	s_ashr_i32 s24, s21, 31
	s_add_u32 s20, s5, s24
	s_mov_b32 s25, s24
	s_addc_u32 s21, s21, s24
	s_xor_b64 s[20:21], s[20:21], s[24:25]
	s_mul_i32 s26, s20, s15
	s_mul_hi_u32 s27, s20, s7
	s_mul_hi_u32 s23, s20, s15
	s_add_u32 s26, s27, s26
	s_addc_u32 s23, 0, s23
	s_mul_hi_u32 s28, s21, s7
	s_mul_i32 s7, s21, s7
	s_add_u32 s7, s26, s7
	s_mul_hi_u32 s27, s21, s15
	s_addc_u32 s7, s23, s28
	s_addc_u32 s23, s27, 0
	s_mul_i32 s15, s21, s15
	s_add_u32 s7, s7, s15
	s_addc_u32 s15, 0, s23
	s_mul_i32 s23, s18, s15
	s_mul_hi_u32 s26, s18, s7
	s_add_i32 s23, s26, s23
	s_mul_i32 s26, s19, s7
	s_add_i32 s23, s23, s26
	s_sub_i32 s28, s21, s23
	s_mul_i32 s26, s18, s7
	s_sub_u32 s20, s20, s26
	s_cselect_b64 s[26:27], -1, 0
	s_cmp_lg_u64 s[26:27], 0
	s_subb_u32 s30, s28, s19
	s_sub_u32 s31, s20, s18
	s_cselect_b64 s[28:29], -1, 0
	s_cmp_lg_u64 s[28:29], 0
	s_subb_u32 s28, s30, 0
	s_cmp_ge_u32 s28, s19
	s_cselect_b32 s29, -1, 0
	s_cmp_ge_u32 s31, s18
	s_cselect_b32 s30, -1, 0
	s_cmp_eq_u32 s28, s19
	s_cselect_b32 s28, s30, s29
	s_add_u32 s29, s7, 1
	s_addc_u32 s30, s15, 0
	s_add_u32 s31, s7, 2
	s_addc_u32 s33, s15, 0
	s_cmp_lg_u32 s28, 0
	s_cselect_b32 s28, s31, s29
	s_cselect_b32 s29, s33, s30
	s_cmp_lg_u64 s[26:27], 0
	s_subb_u32 s21, s21, s23
	s_cmp_ge_u32 s21, s19
	s_cselect_b32 s23, -1, 0
	s_cmp_ge_u32 s20, s18
	s_cselect_b32 s18, -1, 0
	s_cmp_eq_u32 s21, s19
	s_cselect_b32 s18, s18, s23
	s_cmp_lg_u32 s18, 0
	s_cselect_b32 s19, s29, s15
	s_cselect_b32 s18, s28, s7
	s_xor_b64 s[20:21], s[24:25], 0
	s_xor_b64 s[18:19], s[18:19], s[20:21]
	s_sub_u32 s18, s18, s20
	s_cbranch_execnz .LBB27_6
.LBB27_5:
	v_cvt_f32_u32_e32 v1, s22
	s_sub_i32 s7, 0, s22
	v_rcp_iflag_f32_e32 v1, v1
	s_nop 0
	v_mul_f32_e32 v1, 0x4f7ffffe, v1
	v_cvt_u32_f32_e32 v1, v1
	s_waitcnt lgkmcnt(0)
	v_readfirstlane_b32 s15, v1
	s_mul_i32 s7, s7, s15
	s_mul_hi_u32 s7, s15, s7
	s_add_i32 s15, s15, s7
	s_mul_hi_u32 s7, s5, s15
	s_mul_i32 s16, s7, s22
	s_sub_i32 s5, s5, s16
	s_add_i32 s15, s7, 1
	s_sub_i32 s16, s5, s22
	s_cmp_ge_u32 s5, s22
	s_cselect_b32 s7, s15, s7
	s_cselect_b32 s5, s16, s5
	s_add_i32 s15, s7, 1
	s_cmp_ge_u32 s5, s22
	s_cselect_b32 s18, s15, s7
.LBB27_6:
	s_cmp_eq_u32 s6, s18
	s_waitcnt lgkmcnt(0)
	s_mul_hi_u32 s5, s6, s12
	s_cselect_b64 s[16:17], -1, 0
	s_add_i32 s5, s5, s6
	s_lshr_b32 s7, s5, s13
	s_mul_i32 s5, s7, s14
	s_cmp_eq_u32 s5, s6
	s_mul_hi_u32 s5, s18, s12
	s_cselect_b64 s[20:21], -1, 0
	s_add_i32 s5, s5, s18
	s_lshr_b32 s5, s5, s13
	s_cmp_eq_u32 s7, s5
	s_mul_i32 s5, s5, s14
	s_cselect_b64 s[24:25], -1, 0
	s_cmp_lg_u32 s5, s18
	s_cselect_b64 s[18:19], -1, 0
	s_and_b64 s[18:19], s[24:25], s[18:19]
	s_or_b64 s[16:17], s[16:17], s[20:21]
	s_or_b64 s[16:17], s[16:17], s[18:19]
	s_and_b64 vcc, exec, s[16:17]
	s_cbranch_vccnz .LBB27_23
; %bb.7:
	s_load_dwordx8 s[24:31], s[0:1], 0x20
	s_load_dword s15, s[0:1], 0x40
	s_waitcnt lgkmcnt(0)
	s_mul_hi_u32 s5, s6, s24
	s_add_i32 s5, s5, s6
	s_lshr_b32 s5, s5, s25
	s_mul_i32 s16, s5, s26
	s_sub_i32 s16, s6, s16
	s_mul_hi_u32 s17, s16, s27
	s_add_i32 s17, s16, s17
	s_lshr_b32 s20, s17, s28
	s_mul_i32 s17, s20, s29
	s_sub_i32 s16, s16, s17
	;; [unrolled: 5-line block ×3, first 2 shown]
	s_mul_hi_u32 s16, s15, s12
	s_add_i32 s15, s15, s16
	s_lshr_b32 s23, s15, s13
	s_lshl_b32 s15, s23, 2
	s_lshl_b32 s21, s17, 2
	s_add_i32 s15, s15, s3
	s_cmp_lt_i32 s15, s8
	s_cselect_b64 s[16:17], -1, 0
	s_add_i32 s15, s21, s4
	s_cmp_lt_i32 s15, s10
	s_cselect_b64 s[18:19], -1, 0
	s_and_b64 s[16:17], s[16:17], s[18:19]
	s_andn2_b64 vcc, exec, s[16:17]
	s_cbranch_vccnz .LBB27_23
; %bb.8:
	s_load_dwordx4 s[16:19], s[0:1], 0x0
	s_mov_b32 s0, 0
	s_lshl_b32 s15, s3, 2
	s_lshl_b32 s24, s22, 6
	s_mov_b32 s25, s0
	s_add_i32 s15, s15, s4
	s_waitcnt lgkmcnt(0)
	v_mov_b32_e32 v2, s16
	v_mov_b32_e32 v3, s17
	s_lshl_b64 s[16:17], s[24:25], 2
	s_add_u32 s16, s18, s16
	s_mul_i32 s1, s5, s8
	s_addc_u32 s17, s19, s17
	s_add_i32 s1, s1, s3
	s_mul_i32 s1, s1, s9
	s_mul_i32 s20, s20, s10
	s_add_i32 s1, s1, s4
	s_add_i32 s1, s1, s20
	s_mul_i32 s5, s9, s23
	s_add_i32 s1, s1, s21
	s_lshl_b32 s5, s5, 9
	s_lshl_b32 s1, s1, 7
	s_add_i32 s5, s5, s1
	v_or_b32_e32 v4, s5, v0
	v_ashrrev_i32_e32 v5, 31, v4
	v_lshl_add_u64 v[2:3], v[4:5], 2, v[2:3]
	global_load_dword v1, v[2:3], off
	v_cvt_f32_u32_e32 v4, s22
	s_lshl_b32 s1, s2, 4
	s_add_i32 s4, s15, s1
	s_ashr_i32 s5, s4, 31
	s_lshl_b64 s[4:5], s[4:5], 3
	v_rcp_iflag_f32_e32 v4, v4
	s_add_u32 s4, s18, s4
	s_addc_u32 s5, s19, s5
	s_load_dwordx2 s[4:5], s[4:5], 0x0
	v_mul_f32_e32 v4, 0x4f7ffffe, v4
	v_cvt_u32_f32_e32 v7, v4
	s_add_i32 s24, s2, -1
	v_lshl_or_b32 v6, s15, 7, v0
	s_waitcnt lgkmcnt(0)
	v_mov_b32_e32 v0, s5
	v_mov_b32_e32 v9, s4
	s_mov_b32 s10, 0x3fb8aa3b
	s_mov_b32 s20, 0xc2ce8ed0
	;; [unrolled: 1-line block ×4, first 2 shown]
	v_mov_b32_e32 v8, 0x7f800000
	s_mul_hi_i32 s1, s24, s11
	s_cmp_lg_u64 s[0:1], 0
	s_mul_i32 s8, s24, s11
	s_cbranch_scc0 .LBB27_19
.LBB27_9:
	s_add_u32 s2, s22, 0
	s_addc_u32 s3, 0, 0
	s_xor_b64 s[2:3], s[2:3], 0
	v_cvt_f32_u32_e32 v4, s2
	v_cvt_f32_u32_e32 v5, s3
	s_sub_u32 s9, 0, s2
	s_subb_u32 s25, 0, s3
	v_fmac_f32_e32 v4, 0x4f800000, v5
	v_rcp_f32_e32 v4, v4
	s_nop 0
	v_mul_f32_e32 v4, 0x5f7ffffc, v4
	v_mul_f32_e32 v5, 0x2f800000, v4
	v_trunc_f32_e32 v5, v5
	v_fmac_f32_e32 v4, 0xcf800000, v5
	v_cvt_u32_f32_e32 v5, v5
	v_cvt_u32_f32_e32 v4, v4
	v_readfirstlane_b32 s26, v5
	v_readfirstlane_b32 s4, v4
	s_mul_i32 s5, s9, s26
	s_mul_hi_u32 s28, s9, s4
	s_mul_i32 s27, s25, s4
	s_add_i32 s5, s28, s5
	s_mul_i32 s29, s9, s4
	s_add_i32 s5, s5, s27
	s_mul_i32 s28, s4, s5
	s_mul_hi_u32 s30, s4, s29
	s_mul_hi_u32 s27, s4, s5
	s_add_u32 s28, s30, s28
	s_addc_u32 s27, 0, s27
	s_mul_hi_u32 s31, s26, s29
	s_mul_i32 s29, s26, s29
	s_add_u32 s28, s28, s29
	s_mul_hi_u32 s30, s26, s5
	s_addc_u32 s27, s27, s31
	s_addc_u32 s28, s30, 0
	s_mul_i32 s5, s26, s5
	s_add_u32 s5, s27, s5
	s_addc_u32 s27, 0, s28
	s_add_u32 s28, s4, s5
	s_cselect_b64 s[4:5], -1, 0
	s_cmp_lg_u64 s[4:5], 0
	s_addc_u32 s26, s26, s27
	s_mul_i32 s4, s9, s26
	s_mul_hi_u32 s5, s9, s28
	s_add_i32 s4, s5, s4
	s_mul_i32 s25, s25, s28
	s_add_i32 s4, s4, s25
	s_mul_i32 s9, s9, s28
	s_mul_hi_u32 s25, s26, s9
	s_mul_i32 s27, s26, s9
	s_mul_i32 s30, s28, s4
	s_mul_hi_u32 s9, s28, s9
	s_mul_hi_u32 s29, s28, s4
	s_add_u32 s9, s9, s30
	s_addc_u32 s29, 0, s29
	s_add_u32 s9, s9, s27
	s_mul_hi_u32 s5, s26, s4
	s_addc_u32 s9, s29, s25
	s_addc_u32 s5, s5, 0
	s_mul_i32 s4, s26, s4
	s_add_u32 s4, s9, s4
	s_addc_u32 s9, 0, s5
	s_add_u32 s25, s28, s4
	s_cselect_b64 s[4:5], -1, 0
	s_cmp_lg_u64 s[4:5], 0
	s_addc_u32 s9, s26, s9
	s_ashr_i32 s4, s1, 31
	s_add_u32 s26, s8, s4
	s_mov_b32 s5, s4
	s_addc_u32 s27, s1, s4
	s_xor_b64 s[26:27], s[26:27], s[4:5]
	s_mul_i32 s28, s26, s9
	s_mul_hi_u32 s29, s26, s25
	s_mul_hi_u32 s1, s26, s9
	s_add_u32 s28, s29, s28
	s_addc_u32 s1, 0, s1
	s_mul_hi_u32 s30, s27, s25
	s_mul_i32 s25, s27, s25
	s_add_u32 s25, s28, s25
	s_mul_hi_u32 s29, s27, s9
	s_addc_u32 s1, s1, s30
	s_addc_u32 s25, s29, 0
	s_mul_i32 s9, s27, s9
	s_add_u32 s1, s1, s9
	s_addc_u32 s9, 0, s25
	s_mul_i32 s25, s2, s9
	s_mul_hi_u32 s28, s2, s1
	s_add_i32 s25, s28, s25
	s_mul_i32 s28, s3, s1
	s_add_i32 s25, s25, s28
	s_sub_i32 s30, s27, s25
	s_mul_i32 s28, s2, s1
	s_sub_u32 s26, s26, s28
	s_cselect_b64 s[28:29], -1, 0
	s_cmp_lg_u64 s[28:29], 0
	s_subb_u32 s33, s30, s3
	s_sub_u32 s34, s26, s2
	s_cselect_b64 s[30:31], -1, 0
	s_cmp_lg_u64 s[30:31], 0
	s_subb_u32 s30, s33, 0
	s_cmp_ge_u32 s30, s3
	s_cselect_b32 s31, -1, 0
	s_cmp_ge_u32 s34, s2
	s_cselect_b32 s33, -1, 0
	s_cmp_eq_u32 s30, s3
	s_cselect_b32 s30, s33, s31
	s_add_u32 s31, s1, 1
	s_addc_u32 s33, s9, 0
	s_add_u32 s34, s1, 2
	s_addc_u32 s35, s9, 0
	s_cmp_lg_u32 s30, 0
	s_cselect_b32 s30, s34, s31
	s_cselect_b32 s31, s35, s33
	s_cmp_lg_u64 s[28:29], 0
	s_subb_u32 s25, s27, s25
	s_cmp_ge_u32 s25, s3
	s_cselect_b32 s27, -1, 0
	s_cmp_ge_u32 s26, s2
	s_cselect_b32 s2, -1, 0
	s_cmp_eq_u32 s25, s3
	s_cselect_b32 s2, s2, s27
	s_cmp_lg_u32 s2, 0
	s_cselect_b32 s3, s31, s9
	s_cselect_b32 s2, s30, s1
	s_xor_b64 s[4:5], s[4:5], 0
	s_xor_b64 s[2:3], s[2:3], s[4:5]
	s_sub_u32 s4, s2, s4
	s_cbranch_execnz .LBB27_11
.LBB27_10:
	s_sub_i32 s1, 0, s22
	v_readfirstlane_b32 s2, v7
	s_mul_i32 s1, s1, s2
	s_mul_hi_u32 s1, s2, s1
	s_add_i32 s2, s2, s1
	s_mul_hi_u32 s1, s8, s2
	s_mul_i32 s3, s1, s22
	s_sub_i32 s3, s8, s3
	s_add_i32 s2, s1, 1
	s_sub_i32 s4, s3, s22
	s_cmp_ge_u32 s3, s22
	s_cselect_b32 s1, s2, s1
	s_cselect_b32 s3, s4, s3
	s_add_i32 s2, s1, 1
	s_cmp_ge_u32 s3, s22
	s_cselect_b32 s4, s2, s1
.LBB27_11:
	s_cmp_lg_u32 s6, s4
	s_cbranch_scc0 .LBB27_15
; %bb.12:
	s_add_i32 s1, s24, s22
	s_lshl_b32 s1, s1, 4
	s_add_i32 s2, s1, s15
	s_mov_b32 s3, s0
	s_lshl_b64 s[2:3], s[2:3], 3
	s_add_u32 s8, s18, s2
	s_mul_hi_u32 s1, s4, s12
	s_addc_u32 s9, s19, s3
	s_add_i32 s1, s1, s4
	s_lshr_b32 s1, s1, s13
	s_mul_i32 s2, s1, s14
	s_cmp_eq_u32 s2, s4
	s_cselect_b64 s[2:3], -1, 0
	s_cmp_lt_u32 s1, s7
	s_cselect_b64 s[26:27], -1, 0
	s_or_b64 s[26:27], s[26:27], s[2:3]
	s_mov_b64 s[2:3], -1
	s_and_b64 vcc, exec, s[26:27]
	s_mov_b32 s1, s24
	s_mov_b32 s25, s6
	s_cbranch_vccnz .LBB27_14
; %bb.13:
	s_add_i32 s1, s24, -1
	s_mov_b64 s[2:3], 0
	s_mov_b32 s25, s4
.LBB27_14:
	v_lshl_add_u32 v4, s24, 11, v6
	v_ashrrev_i32_e32 v5, 31, v4
	v_lshl_add_u64 v[4:5], v[4:5], 2, s[16:17]
	global_load_dword v5, v[4:5], off
	s_load_dwordx2 s[4:5], s[8:9], 0x0
	v_max_f32_e32 v4, v9, v9
	s_waitcnt lgkmcnt(0)
	v_max_f32_e64 v10, s4, s4
	v_max_f32_e32 v10, v4, v10
	v_sub_f32_e32 v11, v9, v10
	v_sub_f32_e32 v13, s4, v10
	v_mul_f32_e32 v4, 0x3fb8aa3b, v11
	v_mul_f32_e32 v12, 0x3fb8aa3b, v13
	v_fma_f32 v14, v11, s10, -v4
	v_rndne_f32_e32 v15, v4
	v_fma_f32 v16, v13, s10, -v12
	v_rndne_f32_e32 v17, v12
	v_fmac_f32_e32 v14, 0x32a5705f, v11
	v_sub_f32_e32 v4, v4, v15
	v_fmac_f32_e32 v16, 0x32a5705f, v13
	v_sub_f32_e32 v12, v12, v17
	v_add_f32_e32 v4, v4, v14
	v_cvt_i32_f32_e32 v15, v15
	v_add_f32_e32 v12, v12, v16
	v_exp_f32_e32 v14, v4
	v_cvt_i32_f32_e32 v17, v17
	v_exp_f32_e32 v12, v12
	v_cmp_ngt_f32_e32 vcc, s20, v11
	v_ldexp_f32 v14, v14, v15
	v_mov_b32_e32 v4, s5
	v_ldexp_f32 v12, v12, v17
	v_cndmask_b32_e32 v14, 0, v14, vcc
	v_cmp_ngt_f32_e32 vcc, s20, v13
	s_nop 1
	v_cndmask_b32_e32 v12, 0, v12, vcc
	v_cmp_nlt_f32_e32 vcc, s21, v11
	s_nop 1
	v_cndmask_b32_e32 v14, v8, v14, vcc
	v_cmp_nlt_f32_e32 vcc, s21, v13
	s_nop 1
	v_cndmask_b32_e32 v15, v8, v12, vcc
	v_cmp_le_f32_e32 vcc, s23, v11
	s_nop 1
	v_cndmask_b32_e32 v12, 0, v14, vcc
	v_cmp_le_f32_e32 vcc, s23, v13
	s_nop 1
	v_cndmask_b32_e32 v14, 0, v15, vcc
	s_waitcnt vmcnt(0)
	v_pk_mul_f32 v[4:5], v[4:5], v[14:15] op_sel_hi:[1,0]
	s_nop 0
	v_pk_fma_f32 v[4:5], v[0:1], v[12:13], v[4:5] op_sel_hi:[1,0,1]
	s_cbranch_execz .LBB27_16
	s_branch .LBB27_17
.LBB27_15:
                                        ; implicit-def: $vgpr4_vgpr5
                                        ; implicit-def: $sgpr2_sgpr3
                                        ; implicit-def: $vgpr10
                                        ; implicit-def: $sgpr1
                                        ; implicit-def: $sgpr25
.LBB27_16:
	s_add_i32 s1, s24, -1
	s_mov_b64 s[2:3], 0
	s_mov_b32 s25, s6
	v_mov_b32_e32 v10, v9
	s_waitcnt vmcnt(0)
	v_mov_b64_e32 v[4:5], v[0:1]
.LBB27_17:
	s_andn2_b64 vcc, exec, s[2:3]
	s_cbranch_vccz .LBB27_22
; %bb.18:
	s_mov_b32 s6, s25
	s_mov_b32 s24, s1
	v_mov_b32_e32 v9, v10
	s_waitcnt vmcnt(0)
	v_mov_b64_e32 v[0:1], v[4:5]
	s_mul_hi_i32 s1, s24, s11
	s_cmp_lg_u64 s[0:1], 0
	s_mul_i32 s8, s24, s11
	s_cbranch_scc1 .LBB27_9
.LBB27_19:
                                        ; implicit-def: $sgpr4_sgpr5
	s_branch .LBB27_10
.LBB27_20:
                                        ; implicit-def: $sgpr6_sgpr7
	s_load_dwordx4 s[12:15], s[0:1], 0x44
	s_branch .LBB27_2
.LBB27_21:
                                        ; implicit-def: $sgpr18_sgpr19
	s_branch .LBB27_5
.LBB27_22:
	v_div_scale_f32 v0, s[0:1], v4, v4, v5
	s_waitcnt vmcnt(0)
	v_rcp_f32_e32 v1, v0
	v_div_scale_f32 v6, vcc, v5, v4, v5
	v_fma_f32 v7, -v0, v1, 1.0
	v_fmac_f32_e32 v1, v7, v1
	v_mul_f32_e32 v7, v6, v1
	v_fma_f32 v8, -v0, v7, v6
	v_fmac_f32_e32 v7, v8, v1
	v_fma_f32 v0, -v0, v7, v6
	v_div_fmas_f32 v0, v0, v1, v7
	v_div_fixup_f32 v0, v0, v4, v5
	global_store_dword v[2:3], v0, off
.LBB27_23:
	s_endpgm
	.section	.rodata,"a",@progbits
	.p2align	6, 0x0
	.amdhsa_kernel _ZL33flash_attn_stream_k_fixup_generalILi128ELi4ELi4EEvPfPK15HIP_vector_typeIfLj2EEiiiiS1_IjLj3EES5_S5_S5_
		.amdhsa_group_segment_fixed_size 0
		.amdhsa_private_segment_fixed_size 0
		.amdhsa_kernarg_size 336
		.amdhsa_user_sgpr_count 2
		.amdhsa_user_sgpr_dispatch_ptr 0
		.amdhsa_user_sgpr_queue_ptr 0
		.amdhsa_user_sgpr_kernarg_segment_ptr 1
		.amdhsa_user_sgpr_dispatch_id 0
		.amdhsa_user_sgpr_kernarg_preload_length 0
		.amdhsa_user_sgpr_kernarg_preload_offset 0
		.amdhsa_user_sgpr_private_segment_size 0
		.amdhsa_uses_dynamic_stack 0
		.amdhsa_enable_private_segment 0
		.amdhsa_system_sgpr_workgroup_id_x 1
		.amdhsa_system_sgpr_workgroup_id_y 1
		.amdhsa_system_sgpr_workgroup_id_z 1
		.amdhsa_system_sgpr_workgroup_info 0
		.amdhsa_system_vgpr_workitem_id 0
		.amdhsa_next_free_vgpr 18
		.amdhsa_next_free_sgpr 36
		.amdhsa_accum_offset 20
		.amdhsa_reserve_vcc 1
		.amdhsa_float_round_mode_32 0
		.amdhsa_float_round_mode_16_64 0
		.amdhsa_float_denorm_mode_32 3
		.amdhsa_float_denorm_mode_16_64 3
		.amdhsa_dx10_clamp 1
		.amdhsa_ieee_mode 1
		.amdhsa_fp16_overflow 0
		.amdhsa_tg_split 0
		.amdhsa_exception_fp_ieee_invalid_op 0
		.amdhsa_exception_fp_denorm_src 0
		.amdhsa_exception_fp_ieee_div_zero 0
		.amdhsa_exception_fp_ieee_overflow 0
		.amdhsa_exception_fp_ieee_underflow 0
		.amdhsa_exception_fp_ieee_inexact 0
		.amdhsa_exception_int_div_zero 0
	.end_amdhsa_kernel
	.section	.text._ZL33flash_attn_stream_k_fixup_generalILi128ELi4ELi4EEvPfPK15HIP_vector_typeIfLj2EEiiiiS1_IjLj3EES5_S5_S5_,"axG",@progbits,_ZL33flash_attn_stream_k_fixup_generalILi128ELi4ELi4EEvPfPK15HIP_vector_typeIfLj2EEiiiiS1_IjLj3EES5_S5_S5_,comdat
.Lfunc_end27:
	.size	_ZL33flash_attn_stream_k_fixup_generalILi128ELi4ELi4EEvPfPK15HIP_vector_typeIfLj2EEiiiiS1_IjLj3EES5_S5_S5_, .Lfunc_end27-_ZL33flash_attn_stream_k_fixup_generalILi128ELi4ELi4EEvPfPK15HIP_vector_typeIfLj2EEiiiiS1_IjLj3EES5_S5_S5_
                                        ; -- End function
	.set _ZL33flash_attn_stream_k_fixup_generalILi128ELi4ELi4EEvPfPK15HIP_vector_typeIfLj2EEiiiiS1_IjLj3EES5_S5_S5_.num_vgpr, 18
	.set _ZL33flash_attn_stream_k_fixup_generalILi128ELi4ELi4EEvPfPK15HIP_vector_typeIfLj2EEiiiiS1_IjLj3EES5_S5_S5_.num_agpr, 0
	.set _ZL33flash_attn_stream_k_fixup_generalILi128ELi4ELi4EEvPfPK15HIP_vector_typeIfLj2EEiiiiS1_IjLj3EES5_S5_S5_.numbered_sgpr, 36
	.set _ZL33flash_attn_stream_k_fixup_generalILi128ELi4ELi4EEvPfPK15HIP_vector_typeIfLj2EEiiiiS1_IjLj3EES5_S5_S5_.num_named_barrier, 0
	.set _ZL33flash_attn_stream_k_fixup_generalILi128ELi4ELi4EEvPfPK15HIP_vector_typeIfLj2EEiiiiS1_IjLj3EES5_S5_S5_.private_seg_size, 0
	.set _ZL33flash_attn_stream_k_fixup_generalILi128ELi4ELi4EEvPfPK15HIP_vector_typeIfLj2EEiiiiS1_IjLj3EES5_S5_S5_.uses_vcc, 1
	.set _ZL33flash_attn_stream_k_fixup_generalILi128ELi4ELi4EEvPfPK15HIP_vector_typeIfLj2EEiiiiS1_IjLj3EES5_S5_S5_.uses_flat_scratch, 0
	.set _ZL33flash_attn_stream_k_fixup_generalILi128ELi4ELi4EEvPfPK15HIP_vector_typeIfLj2EEiiiiS1_IjLj3EES5_S5_S5_.has_dyn_sized_stack, 0
	.set _ZL33flash_attn_stream_k_fixup_generalILi128ELi4ELi4EEvPfPK15HIP_vector_typeIfLj2EEiiiiS1_IjLj3EES5_S5_S5_.has_recursion, 0
	.set _ZL33flash_attn_stream_k_fixup_generalILi128ELi4ELi4EEvPfPK15HIP_vector_typeIfLj2EEiiiiS1_IjLj3EES5_S5_S5_.has_indirect_call, 0
	.section	.AMDGPU.csdata,"",@progbits
; Kernel info:
; codeLenInByte = 2940
; TotalNumSgprs: 42
; NumVgprs: 18
; NumAgprs: 0
; TotalNumVgprs: 18
; ScratchSize: 0
; MemoryBound: 0
; FloatMode: 240
; IeeeMode: 1
; LDSByteSize: 0 bytes/workgroup (compile time only)
; SGPRBlocks: 5
; VGPRBlocks: 2
; NumSGPRsForWavesPerEU: 42
; NumVGPRsForWavesPerEU: 18
; AccumOffset: 20
; Occupancy: 8
; WaveLimiterHint : 0
; COMPUTE_PGM_RSRC2:SCRATCH_EN: 0
; COMPUTE_PGM_RSRC2:USER_SGPR: 2
; COMPUTE_PGM_RSRC2:TRAP_HANDLER: 0
; COMPUTE_PGM_RSRC2:TGID_X_EN: 1
; COMPUTE_PGM_RSRC2:TGID_Y_EN: 1
; COMPUTE_PGM_RSRC2:TGID_Z_EN: 1
; COMPUTE_PGM_RSRC2:TIDIG_COMP_CNT: 0
; COMPUTE_PGM_RSRC3_GFX90A:ACCUM_OFFSET: 4
; COMPUTE_PGM_RSRC3_GFX90A:TG_SPLIT: 0
	.section	.text._ZL26flash_attn_combine_resultsILi128EEvPKfPK15HIP_vector_typeIfLj2EEPfi,"axG",@progbits,_ZL26flash_attn_combine_resultsILi128EEvPKfPK15HIP_vector_typeIfLj2EEPfi,comdat
	.globl	_ZL26flash_attn_combine_resultsILi128EEvPKfPK15HIP_vector_typeIfLj2EEPfi ; -- Begin function _ZL26flash_attn_combine_resultsILi128EEvPKfPK15HIP_vector_typeIfLj2EEPfi
	.p2align	8
	.type	_ZL26flash_attn_combine_resultsILi128EEvPKfPK15HIP_vector_typeIfLj2EEPfi,@function
_ZL26flash_attn_combine_resultsILi128EEvPKfPK15HIP_vector_typeIfLj2EEPfi: ; @_ZL26flash_attn_combine_resultsILi128EEvPKfPK15HIP_vector_typeIfLj2EEPfi
; %bb.0:
	s_load_dwordx2 s[6:7], s[0:1], 0x20
	s_load_dword s19, s[0:1], 0x18
	s_load_dwordx4 s[8:11], s[0:1], 0x0
	s_load_dwordx2 s[14:15], s[0:1], 0x10
	s_waitcnt lgkmcnt(0)
	s_mul_i32 s0, s6, s4
	s_add_i32 s0, s0, s2
	s_mul_i32 s18, s0, s7
	s_add_i32 s18, s18, s3
	s_lshl_b32 s20, s19, 1
	s_mul_i32 s2, s18, s19
	v_cmp_gt_i32_e32 vcc, s20, v0
	s_and_saveexec_b64 s[0:1], vcc
	s_cbranch_execz .LBB28_13
; %bb.1:
	v_xad_u32 v1, v0, -1, s20
	s_movk_i32 s4, 0x7f
	s_ashr_i32 s3, s2, 31
	v_cmp_lt_u32_e32 vcc, s4, v1
	s_mov_b64 s[6:7], -1
	v_mov_b32_e32 v2, v0
	s_and_saveexec_b64 s[4:5], vcc
	s_cbranch_execz .LBB28_10
; %bb.2:
	v_lshrrev_b32_e32 v6, 7, v1
	s_lshl_b64 s[6:7], s[2:3], 3
	v_add_u32_e32 v2, -1, v6
	s_add_u32 s6, s10, s6
	v_or_b32_e32 v1, 0x80, v0
	v_lshrrev_b32_e32 v3, 1, v2
	s_addc_u32 s7, s11, s7
	s_mov_b32 s21, 0
	v_add_u32_e32 v7, 1, v3
	v_cmp_lt_u32_e32 vcc, 13, v2
	v_mov_b32_e32 v4, 0
	v_mov_b64_e32 v[2:3], v[0:1]
	s_and_saveexec_b64 s[12:13], vcc
	s_cbranch_execz .LBB28_6
; %bb.3:
	v_and_b32_e32 v8, -8, v7
	v_lshl_add_u32 v9, v0, 2, 0
	s_mov_b64 s[16:17], 0
	v_mov_b32_e32 v5, 0
	v_mov_b64_e32 v[2:3], v[0:1]
.LBB28_4:                               ; =>This Inner Loop Header: Depth=1
	v_mov_b32_e32 v4, v2
	v_lshl_add_u64 v[24:25], v[4:5], 2, s[6:7]
	v_mov_b32_e32 v4, v3
	v_add_u32_e32 v10, 0x100, v3
	v_mov_b32_e32 v11, v5
	v_lshl_add_u64 v[26:27], v[4:5], 2, s[6:7]
	v_add_u32_e32 v4, 0x100, v2
	v_lshl_add_u64 v[10:11], v[10:11], 2, s[6:7]
	global_load_dword v1, v[24:25], off
	v_lshl_add_u64 v[24:25], v[4:5], 2, s[6:7]
	v_add_u32_e32 v4, 0x200, v2
	global_load_dword v28, v[26:27], off
	global_load_dword v29, v[24:25], off
	;; [unrolled: 1-line block ×3, first 2 shown]
	v_lshl_add_u64 v[10:11], v[4:5], 2, s[6:7]
	v_add_u32_e32 v4, 0x300, v2
	v_add_u32_e32 v12, 0x200, v3
	v_mov_b32_e32 v13, v5
	v_add_u32_e32 v14, 0x300, v3
	v_mov_b32_e32 v15, v5
	v_lshl_add_u64 v[24:25], v[4:5], 2, s[6:7]
	v_add_u32_e32 v4, 0x400, v2
	v_lshl_add_u64 v[12:13], v[12:13], 2, s[6:7]
	v_lshl_add_u64 v[14:15], v[14:15], 2, s[6:7]
	global_load_dword v26, v[10:11], off
	global_load_dword v27, v[12:13], off
	;; [unrolled: 1-line block ×4, first 2 shown]
	v_lshl_add_u64 v[10:11], v[4:5], 2, s[6:7]
	v_add_u32_e32 v4, 0x500, v2
	v_add_u32_e32 v16, 0x400, v3
	v_mov_b32_e32 v17, v5
	v_add_u32_e32 v18, 0x500, v3
	v_mov_b32_e32 v19, v5
	v_lshl_add_u64 v[12:13], v[4:5], 2, s[6:7]
	v_add_u32_e32 v4, 0x600, v2
	v_add_u32_e32 v20, 0x600, v3
	v_mov_b32_e32 v21, v5
	v_add_u32_e32 v22, 0x700, v3
	v_mov_b32_e32 v23, v5
	v_lshl_add_u64 v[16:17], v[16:17], 2, s[6:7]
	v_lshl_add_u64 v[18:19], v[18:19], 2, s[6:7]
	global_load_dword v14, v[10:11], off
	global_load_dword v15, v[16:17], off
	;; [unrolled: 1-line block ×4, first 2 shown]
	v_lshl_add_u64 v[10:11], v[4:5], 2, s[6:7]
	v_add_u32_e32 v4, 0x700, v2
	v_lshl_add_u64 v[20:21], v[20:21], 2, s[6:7]
	v_lshl_add_u64 v[22:23], v[22:23], 2, s[6:7]
	;; [unrolled: 1-line block ×3, first 2 shown]
	global_load_dword v16, v[10:11], off
	global_load_dword v17, v[20:21], off
	;; [unrolled: 1-line block ×4, first 2 shown]
	v_add_u32_e32 v8, -8, v8
	s_add_i32 s21, s21, 16
	v_cmp_eq_u32_e32 vcc, 0, v8
	v_add_u32_e32 v3, 0x800, v3
	v_mov_b32_e32 v4, s21
	s_or_b64 s[16:17], vcc, s[16:17]
	v_add_u32_e32 v2, 0x800, v2
	s_waitcnt vmcnt(14)
	ds_write2st64_b32 v9, v1, v28 offset1:2
	s_waitcnt vmcnt(12)
	ds_write2st64_b32 v9, v29, v30 offset0:4 offset1:6
	s_waitcnt vmcnt(10)
	ds_write2st64_b32 v9, v26, v27 offset0:8 offset1:10
	;; [unrolled: 2-line block ×7, first 2 shown]
	v_add_u32_e32 v9, 0x2000, v9
	s_andn2_b64 exec, exec, s[16:17]
	s_cbranch_execnz .LBB28_4
; %bb.5:
	s_or_b64 exec, exec, s[16:17]
.LBB28_6:
	s_or_b64 exec, exec, s[12:13]
	v_and_b32_e32 v1, 7, v7
	v_cmp_ne_u32_e32 vcc, 0, v1
	s_and_saveexec_b64 s[12:13], vcc
	s_cbranch_execz .LBB28_9
; %bb.7:
	v_lshlrev_b32_e32 v5, 2, v0
	v_lshl_or_b32 v4, v4, 9, v5
	v_add_u32_e32 v7, 0, v4
	s_mov_b64 s[16:17], 0
	v_mov_b32_e32 v5, 0
.LBB28_8:                               ; =>This Inner Loop Header: Depth=1
	v_mov_b32_e32 v4, v2
	v_lshl_add_u64 v[8:9], v[4:5], 2, s[6:7]
	v_mov_b32_e32 v4, v3
	v_lshl_add_u64 v[10:11], v[4:5], 2, s[6:7]
	global_load_dword v4, v[8:9], off
	global_load_dword v12, v[10:11], off
	v_add_u32_e32 v1, -1, v1
	v_cmp_eq_u32_e32 vcc, 0, v1
	v_add_u32_e32 v2, 0x100, v2
	v_add_u32_e32 v3, 0x100, v3
	s_or_b64 s[16:17], vcc, s[16:17]
	s_waitcnt vmcnt(0)
	ds_write2st64_b32 v7, v4, v12 offset1:2
	v_add_u32_e32 v7, 0x400, v7
	s_andn2_b64 exec, exec, s[16:17]
	s_cbranch_execnz .LBB28_8
.LBB28_9:
	s_or_b64 exec, exec, s[12:13]
	v_add_u32_e32 v1, 1, v6
	v_and_b32_e32 v3, 0x3fffffe, v1
	v_cmp_ne_u32_e32 vcc, v1, v3
	v_lshl_or_b32 v2, v3, 7, v0
	s_orn2_b64 s[6:7], vcc, exec
.LBB28_10:
	s_or_b64 exec, exec, s[4:5]
	s_and_b64 exec, exec, s[6:7]
	s_cbranch_execz .LBB28_13
; %bb.11:
	s_lshl_b64 s[4:5], s[2:3], 3
	s_add_u32 s4, s10, s4
	v_mov_b32_e32 v3, 0
	s_addc_u32 s5, s11, s5
	v_lshl_add_u64 v[4:5], v[2:3], 2, s[4:5]
	v_lshl_add_u32 v1, v2, 2, 0
	s_mov_b64 s[4:5], 0
	s_mov_b64 s[6:7], 0x200
.LBB28_12:                              ; =>This Inner Loop Header: Depth=1
	global_load_dword v3, v[4:5], off
	v_add_u32_e32 v2, 0x80, v2
	v_cmp_le_i32_e32 vcc, s20, v2
	v_lshl_add_u64 v[4:5], v[4:5], 0, s[6:7]
	s_or_b64 s[4:5], vcc, s[4:5]
	s_waitcnt vmcnt(0)
	ds_write_b32 v1, v3
	v_add_u32_e32 v1, 0x200, v1
	s_andn2_b64 exec, exec, s[4:5]
	s_cbranch_execnz .LBB28_12
.LBB28_13:
	s_or_b64 exec, exec, s[0:1]
	v_mov_b32_e32 v1, 0
	s_waitcnt lgkmcnt(0)
	s_barrier
	ds_read_b32 v1, v1
	s_cmp_lt_i32 s19, 2
	s_cbranch_scc1 .LBB28_21
; %bb.14:
	s_cmp_eq_u32 s19, 2
	s_cbranch_scc1 .LBB28_18
; %bb.15:
	s_add_i32 s3, s19, -1
	s_and_b32 s4, s3, -2
	s_add_i32 s6, 0, 8
	s_mov_b32 s5, 2
	s_waitcnt lgkmcnt(0)
	v_mov_b32_e32 v4, v1
.LBB28_16:                              ; =>This Inner Loop Header: Depth=1
	v_mov_b32_e32 v2, v1
	v_mov_b32_e32 v1, s6
	;; [unrolled: 1-line block ×3, first 2 shown]
	ds_read2_b32 v[4:5], v1 offset1:2
	s_cmp_lg_u32 s4, s5
	s_cselect_b64 s[10:11], -1, 0
	v_max_f32_e32 v1, v3, v3
	v_max_f32_e32 v6, v2, v2
	s_waitcnt lgkmcnt(0)
	v_cmp_u_f32_e32 vcc, v5, v5
	v_max_f32_e32 v7, v5, v5
	v_max_f32_e32 v8, v4, v4
	v_cndmask_b32_e64 v5, 0, 1, vcc
	v_cmp_u_f32_e32 vcc, v4, v4
	v_readfirstlane_b32 s0, v5
	s_lshl_b32 s0, s0, 1
	v_cndmask_b32_e64 v9, 0, 1, vcc
	v_max_f32_e32 v4, v1, v7
	v_readfirstlane_b32 s1, v9
	s_or_b32 s0, s1, s0
	s_and_b32 s7, s0, 3
	s_cmp_lg_u32 s7, 0
	s_cselect_b64 s[0:1], -1, 0
	s_cmp_eq_u32 s7, 0
	s_cselect_b64 s[12:13], -1, 0
	s_and_b64 s[10:11], s[12:13], s[10:11]
	v_max_f32_e32 v1, v6, v8
	s_add_i32 s5, s5, 2
	s_add_i32 s6, s6, 16
	s_and_b64 vcc, exec, s[10:11]
	s_cbranch_vccnz .LBB28_16
; %bb.17:
	s_add_i32 s5, s5, -4
	s_and_b64 s[6:7], s[0:1], exec
	s_cselect_b32 s5, s5, s3
	s_or_b32 s5, s5, 1
	v_cndmask_b32_e64 v1, v1, v2, s[0:1]
	v_cndmask_b32_e64 v2, v4, v3, s[0:1]
	s_cmp_lg_u32 s3, s4
	v_max_f32_e32 v2, v2, v2
	v_max_f32_e32 v1, v1, v1
	s_cselect_b64 s[6:7], -1, 0
	v_max_f32_e32 v1, v1, v2
	s_or_b64 s[0:1], s[6:7], s[0:1]
	s_and_b64 vcc, exec, s[0:1]
	s_cbranch_vccnz .LBB28_19
	s_branch .LBB28_21
.LBB28_18:
	s_mov_b32 s5, 1
	s_cbranch_execz .LBB28_21
.LBB28_19:
	s_lshl_b32 s1, s5, 3
	s_sub_i32 s0, s19, s5
	s_add_i32 s1, s1, 0
.LBB28_20:                              ; =>This Inner Loop Header: Depth=1
	v_mov_b32_e32 v2, s1
	ds_read_b32 v2, v2
	s_waitcnt lgkmcnt(1)
	v_max_f32_e32 v1, v1, v1
	s_add_i32 s0, s0, -1
	s_add_i32 s1, s1, 8
	s_cmp_eq_u32 s0, 0
	s_waitcnt lgkmcnt(0)
	v_max_f32_e32 v2, v2, v2
	v_max_f32_e32 v1, v1, v2
	s_cbranch_scc0 .LBB28_20
.LBB28_21:
	s_cmp_lt_i32 s19, 1
	s_cbranch_scc1 .LBB28_26
; %bb.22:
	s_lshl_b32 s0, s2, 7
	s_ashr_i32 s1, s0, 31
	s_lshl_b64 s[0:1], s[0:1], 2
	s_add_u32 s16, s8, s0
	s_addc_u32 s17, s9, s1
	s_cmp_lt_u32 s19, 8
	s_cbranch_scc1 .LBB28_27
; %bb.23:
	v_mov_b32_e32 v7, 0
	s_and_b32 s20, s19, 0x7ffffff8
	v_or_b32_e32 v4, 0x380, v0
	s_mov_b32 s21, 0
	s_mov_b32 s22, 0x3fb8aa3b
	;; [unrolled: 1-line block ×4, first 2 shown]
	v_mov_b32_e32 v8, 0x7f800000
	s_mov_b32 s25, 0
	v_mov_b32_e32 v2, v7
	v_mov_b32_e32 v3, v7
.LBB28_24:                              ; =>This Inner Loop Header: Depth=1
	v_add_u32_e32 v6, 0xfffffc80, v4
	v_lshl_add_u64 v[26:27], v[6:7], 2, s[16:17]
	v_add_u32_e32 v6, 0xfffffd00, v4
	v_mov_b32_e32 v9, s21
	v_lshl_add_u64 v[30:31], v[6:7], 2, s[16:17]
	v_add_u32_e32 v6, 0xfffffd80, v4
	ds_read2_b64 v[10:13], v9 offset1:1
	ds_read2_b64 v[14:17], v9 offset0:2 offset1:3
	ds_read2_b64 v[18:21], v9 offset0:4 offset1:5
	;; [unrolled: 1-line block ×3, first 2 shown]
	global_load_dword v33, v[26:27], off
	global_load_dword v35, v[30:31], off
	v_lshl_add_u64 v[26:27], v[6:7], 2, s[16:17]
	v_add_u32_e32 v6, 0xfffffe00, v4
	v_lshl_add_u64 v[30:31], v[6:7], 2, s[16:17]
	v_add_u32_e32 v6, 0xfffffe80, v4
	global_load_dword v37, v[26:27], off
	global_load_dword v39, v[30:31], off
	v_lshl_add_u64 v[26:27], v[6:7], 2, s[16:17]
	v_add_u32_e32 v6, 0xffffff00, v4
	s_waitcnt lgkmcnt(3)
	v_mov_b32_e32 v32, v11
	v_sub_f32_e32 v9, v12, v1
	v_mov_b32_e32 v34, v13
	global_load_dword v11, v[26:27], off
	v_lshl_add_u64 v[12:13], v[6:7], 2, s[16:17]
	s_waitcnt lgkmcnt(2)
	v_mov_b32_e32 v36, v15
	v_add_u32_e32 v6, 0xffffff80, v4
	global_load_dword v15, v[12:13], off
	v_mov_b32_e32 v5, v7
	v_lshl_add_u64 v[12:13], v[6:7], 2, s[16:17]
	v_lshl_add_u64 v[28:29], v[4:5], 2, s[16:17]
	v_sub_f32_e32 v5, v10, v1
	v_mov_b32_e32 v38, v17
	s_waitcnt lgkmcnt(1)
	v_mov_b32_e32 v10, v19
	global_load_dword v17, v[12:13], off
	global_load_dword v19, v[28:29], off
	v_sub_f32_e32 v30, v14, v1
	v_sub_f32_e32 v31, v16, v1
	;; [unrolled: 1-line block ×3, first 2 shown]
	v_mov_b32_e32 v14, v21
	s_waitcnt lgkmcnt(0)
	v_sub_f32_e32 v21, v22, v1
	v_mov_b32_e32 v16, v23
	v_sub_f32_e32 v22, v24, v1
	v_mul_f32_e32 v23, 0x3fb8aa3b, v5
	v_mov_b32_e32 v18, v25
	v_mul_f32_e32 v24, 0x3fb8aa3b, v9
	v_mul_f32_e32 v25, 0x3fb8aa3b, v30
	v_mul_f32_e32 v27, 0x3fb8aa3b, v40
	v_mul_f32_e32 v42, 0x3fb8aa3b, v21
	v_mul_f32_e32 v6, 0x3fb8aa3b, v22
	v_fma_f32 v43, v5, s22, -v23
	v_rndne_f32_e32 v44, v23
	v_sub_f32_e32 v20, v20, v1
	v_fma_f32 v45, v9, s22, -v24
	v_rndne_f32_e32 v46, v24
	v_fma_f32 v47, v30, s22, -v25
	v_rndne_f32_e32 v48, v25
	;; [unrolled: 2-line block ×5, first 2 shown]
	v_fmac_f32_e32 v43, 0x32a5705f, v5
	v_sub_f32_e32 v12, v23, v44
	v_mul_f32_e32 v26, 0x3fb8aa3b, v31
	v_mul_f32_e32 v41, 0x3fb8aa3b, v20
	v_fmac_f32_e32 v45, 0x32a5705f, v9
	v_sub_f32_e32 v23, v24, v46
	v_fmac_f32_e32 v47, 0x32a5705f, v30
	v_sub_f32_e32 v25, v25, v48
	;; [unrolled: 2-line block ×5, first 2 shown]
	v_add_f32_e32 v12, v12, v43
	v_fma_f32 v49, v31, s22, -v26
	v_rndne_f32_e32 v50, v26
	v_fma_f32 v53, v20, s22, -v41
	v_rndne_f32_e32 v54, v41
	v_cvt_i32_f32_e32 v13, v44
	v_add_f32_e32 v23, v23, v45
	v_add_f32_e32 v25, v25, v47
	;; [unrolled: 1-line block ×5, first 2 shown]
	v_exp_f32_e32 v12, v12
	v_cvt_i32_f32_e32 v24, v46
	v_cvt_i32_f32_e32 v28, v48
	v_fmac_f32_e32 v49, 0x32a5705f, v31
	v_sub_f32_e32 v26, v26, v50
	v_cvt_i32_f32_e32 v29, v50
	v_cvt_i32_f32_e32 v44, v52
	v_fmac_f32_e32 v53, 0x32a5705f, v20
	v_sub_f32_e32 v41, v41, v54
	v_cvt_i32_f32_e32 v48, v56
	v_cvt_i32_f32_e32 v50, v58
	v_exp_f32_e32 v23, v23
	v_exp_f32_e32 v25, v25
	;; [unrolled: 1-line block ×5, first 2 shown]
	v_add_f32_e32 v26, v26, v49
	v_add_f32_e32 v41, v41, v53
	v_cvt_i32_f32_e32 v46, v54
	v_exp_f32_e32 v26, v26
	v_exp_f32_e32 v41, v41
	v_ldexp_f32 v12, v12, v13
	v_cmp_ngt_f32_e64 s[12:13], s23, v5
	v_ldexp_f32 v13, v23, v24
	v_cmp_ngt_f32_e32 vcc, s23, v9
	v_ldexp_f32 v23, v25, v28
	v_ldexp_f32 v25, v27, v44
	v_ldexp_f32 v27, v42, v48
	v_cmp_ngt_f32_e64 s[8:9], s23, v21
	v_ldexp_f32 v6, v6, v50
	v_cmp_ngt_f32_e64 s[10:11], s23, v22
	v_cndmask_b32_e64 v12, 0, v12, s[12:13]
	v_cmp_nlt_f32_e64 s[12:13], s24, v5
	v_cmp_ngt_f32_e64 s[0:1], s23, v30
	v_cndmask_b32_e32 v13, 0, v13, vcc
	v_cmp_nlt_f32_e32 vcc, s24, v9
	v_cndmask_b32_e64 v27, 0, v27, s[8:9]
	v_cmp_nlt_f32_e64 s[8:9], s24, v21
	v_cndmask_b32_e64 v21, 0, v6, s[10:11]
	v_cndmask_b32_e64 v6, v8, v12, s[12:13]
	v_ldexp_f32 v24, v26, v29
	v_cmp_ngt_f32_e64 s[2:3], s23, v31
	v_cmp_ngt_f32_e64 s[4:5], s23, v40
	v_ldexp_f32 v26, v41, v46
	v_cmp_ngt_f32_e64 s[6:7], s23, v20
	v_cndmask_b32_e64 v9, 0, v23, s[0:1]
	v_cmp_nlt_f32_e64 s[0:1], s24, v30
	v_cndmask_b32_e32 v12, v8, v13, vcc
	s_waitcnt vmcnt(7)
	v_pk_fma_f32 v[2:3], v[6:7], v[32:33], v[2:3] op_sel_hi:[0,1,1]
	v_cndmask_b32_e64 v23, 0, v24, s[2:3]
	v_cmp_nlt_f32_e64 s[2:3], s24, v31
	v_cndmask_b32_e64 v24, 0, v25, s[4:5]
	v_cndmask_b32_e64 v25, 0, v26, s[6:7]
	v_cmp_nlt_f32_e64 s[6:7], s24, v20
	v_cndmask_b32_e64 v20, v8, v9, s[0:1]
	s_waitcnt vmcnt(6)
	v_pk_fma_f32 v[2:3], v[12:13], v[34:35], v[2:3] op_sel_hi:[0,1,1]
	v_cmp_nlt_f32_e64 s[4:5], s24, v40
	v_cmp_nlt_f32_e64 s[10:11], s24, v22
	v_cndmask_b32_e64 v22, v8, v23, s[2:3]
	s_waitcnt vmcnt(5)
	v_pk_fma_f32 v[2:3], v[20:21], v[36:37], v[2:3] op_sel_hi:[0,1,1]
	v_cndmask_b32_e64 v24, v8, v24, s[4:5]
	s_waitcnt vmcnt(4)
	v_pk_fma_f32 v[2:3], v[22:23], v[38:39], v[2:3] op_sel_hi:[0,1,1]
	;; [unrolled: 3-line block ×4, first 2 shown]
	s_add_i32 s25, s25, 8
	s_add_i32 s21, s21, 64
	v_cndmask_b32_e64 v30, v8, v21, s[10:11]
	s_waitcnt vmcnt(1)
	v_pk_fma_f32 v[2:3], v[28:29], v[16:17], v[2:3] op_sel_hi:[0,1,1]
	s_cmp_eq_u32 s20, s25
	v_add_u32_e32 v4, 0x400, v4
	s_waitcnt vmcnt(0)
	v_pk_fma_f32 v[2:3], v[30:31], v[18:19], v[2:3] op_sel_hi:[0,1,1]
	s_cbranch_scc0 .LBB28_24
; %bb.25:
	s_and_b32 s0, s19, 7
	s_cmp_eq_u32 s0, 0
	s_cbranch_scc0 .LBB28_28
	s_branch .LBB28_30
.LBB28_26:
	s_waitcnt lgkmcnt(0)
	v_mov_b32_e32 v1, 0x7fc00000
	s_branch .LBB28_31
.LBB28_27:
	v_mov_b32_e32 v2, 0
	s_mov_b32 s20, 0
	v_mov_b32_e32 v3, v2
	s_and_b32 s0, s19, 7
	s_cmp_eq_u32 s0, 0
	s_cbranch_scc1 .LBB28_30
.LBB28_28:
	s_lshl_b32 s1, s20, 3
	v_lshl_or_b32 v4, s20, 7, v0
	s_add_i32 s1, s1, 0
	s_mov_b32 s2, 0x3fb8aa3b
	s_mov_b32 s3, 0xc2ce8ed0
	;; [unrolled: 1-line block ×3, first 2 shown]
	v_mov_b32_e32 v6, 0x7f800000
	v_mov_b32_e32 v5, 0
.LBB28_29:                              ; =>This Inner Loop Header: Depth=1
	v_lshl_add_u64 v[8:9], v[4:5], 2, s[16:17]
	global_load_dword v9, v[8:9], off
	v_mov_b32_e32 v7, s1
	ds_read_b64 v[10:11], v7
	s_add_i32 s1, s1, 8
	s_add_i32 s0, s0, -1
	v_add_u32_e32 v4, 0x80, v4
	s_cmp_lg_u32 s0, 0
	s_waitcnt lgkmcnt(0)
	v_sub_f32_e32 v7, v10, v1
	v_mul_f32_e32 v8, 0x3fb8aa3b, v7
	v_fma_f32 v10, v7, s2, -v8
	v_rndne_f32_e32 v12, v8
	v_fmac_f32_e32 v10, 0x32a5705f, v7
	v_sub_f32_e32 v8, v8, v12
	v_add_f32_e32 v8, v8, v10
	v_cvt_i32_f32_e32 v12, v12
	v_exp_f32_e32 v10, v8
	v_cmp_ngt_f32_e32 vcc, s3, v7
	v_mov_b32_e32 v8, v11
	v_ldexp_f32 v10, v10, v12
	v_cndmask_b32_e32 v10, 0, v10, vcc
	v_cmp_nlt_f32_e32 vcc, s4, v7
	s_nop 1
	v_cndmask_b32_e32 v10, v6, v10, vcc
	s_waitcnt vmcnt(0)
	v_pk_fma_f32 v[2:3], v[10:11], v[8:9], v[2:3] op_sel_hi:[0,1,1]
	s_cbranch_scc1 .LBB28_29
.LBB28_30:
	s_waitcnt lgkmcnt(0)
	v_div_scale_f32 v1, s[0:1], v2, v2, v3
	v_rcp_f32_e32 v4, v1
	v_div_scale_f32 v5, vcc, v3, v2, v3
	v_fma_f32 v6, -v1, v4, 1.0
	v_fmac_f32_e32 v4, v6, v4
	v_mul_f32_e32 v6, v5, v4
	v_fma_f32 v7, -v1, v6, v5
	v_fmac_f32_e32 v6, v7, v4
	v_fma_f32 v1, -v1, v6, v5
	v_div_fmas_f32 v1, v1, v4, v6
	v_div_fixup_f32 v1, v1, v2, v3
.LBB28_31:
	s_lshl_b32 s0, s18, 7
	s_ashr_i32 s1, s0, 31
	s_lshl_b64 s[0:1], s[0:1], 2
	s_add_u32 s0, s14, s0
	s_addc_u32 s1, s15, s1
	v_lshlrev_b32_e32 v0, 2, v0
	global_store_dword v0, v1, s[0:1]
	s_endpgm
	.section	.rodata,"a",@progbits
	.p2align	6, 0x0
	.amdhsa_kernel _ZL26flash_attn_combine_resultsILi128EEvPKfPK15HIP_vector_typeIfLj2EEPfi
		.amdhsa_group_segment_fixed_size 0
		.amdhsa_private_segment_fixed_size 0
		.amdhsa_kernarg_size 288
		.amdhsa_user_sgpr_count 2
		.amdhsa_user_sgpr_dispatch_ptr 0
		.amdhsa_user_sgpr_queue_ptr 0
		.amdhsa_user_sgpr_kernarg_segment_ptr 1
		.amdhsa_user_sgpr_dispatch_id 0
		.amdhsa_user_sgpr_kernarg_preload_length 0
		.amdhsa_user_sgpr_kernarg_preload_offset 0
		.amdhsa_user_sgpr_private_segment_size 0
		.amdhsa_uses_dynamic_stack 0
		.amdhsa_enable_private_segment 0
		.amdhsa_system_sgpr_workgroup_id_x 1
		.amdhsa_system_sgpr_workgroup_id_y 1
		.amdhsa_system_sgpr_workgroup_id_z 1
		.amdhsa_system_sgpr_workgroup_info 0
		.amdhsa_system_vgpr_workitem_id 0
		.amdhsa_next_free_vgpr 59
		.amdhsa_next_free_sgpr 26
		.amdhsa_accum_offset 60
		.amdhsa_reserve_vcc 1
		.amdhsa_float_round_mode_32 0
		.amdhsa_float_round_mode_16_64 0
		.amdhsa_float_denorm_mode_32 3
		.amdhsa_float_denorm_mode_16_64 3
		.amdhsa_dx10_clamp 1
		.amdhsa_ieee_mode 1
		.amdhsa_fp16_overflow 0
		.amdhsa_tg_split 0
		.amdhsa_exception_fp_ieee_invalid_op 0
		.amdhsa_exception_fp_denorm_src 0
		.amdhsa_exception_fp_ieee_div_zero 0
		.amdhsa_exception_fp_ieee_overflow 0
		.amdhsa_exception_fp_ieee_underflow 0
		.amdhsa_exception_fp_ieee_inexact 0
		.amdhsa_exception_int_div_zero 0
	.end_amdhsa_kernel
	.section	.text._ZL26flash_attn_combine_resultsILi128EEvPKfPK15HIP_vector_typeIfLj2EEPfi,"axG",@progbits,_ZL26flash_attn_combine_resultsILi128EEvPKfPK15HIP_vector_typeIfLj2EEPfi,comdat
.Lfunc_end28:
	.size	_ZL26flash_attn_combine_resultsILi128EEvPKfPK15HIP_vector_typeIfLj2EEPfi, .Lfunc_end28-_ZL26flash_attn_combine_resultsILi128EEvPKfPK15HIP_vector_typeIfLj2EEPfi
                                        ; -- End function
	.set _ZL26flash_attn_combine_resultsILi128EEvPKfPK15HIP_vector_typeIfLj2EEPfi.num_vgpr, 59
	.set _ZL26flash_attn_combine_resultsILi128EEvPKfPK15HIP_vector_typeIfLj2EEPfi.num_agpr, 0
	.set _ZL26flash_attn_combine_resultsILi128EEvPKfPK15HIP_vector_typeIfLj2EEPfi.numbered_sgpr, 26
	.set _ZL26flash_attn_combine_resultsILi128EEvPKfPK15HIP_vector_typeIfLj2EEPfi.num_named_barrier, 0
	.set _ZL26flash_attn_combine_resultsILi128EEvPKfPK15HIP_vector_typeIfLj2EEPfi.private_seg_size, 0
	.set _ZL26flash_attn_combine_resultsILi128EEvPKfPK15HIP_vector_typeIfLj2EEPfi.uses_vcc, 1
	.set _ZL26flash_attn_combine_resultsILi128EEvPKfPK15HIP_vector_typeIfLj2EEPfi.uses_flat_scratch, 0
	.set _ZL26flash_attn_combine_resultsILi128EEvPKfPK15HIP_vector_typeIfLj2EEPfi.has_dyn_sized_stack, 0
	.set _ZL26flash_attn_combine_resultsILi128EEvPKfPK15HIP_vector_typeIfLj2EEPfi.has_recursion, 0
	.set _ZL26flash_attn_combine_resultsILi128EEvPKfPK15HIP_vector_typeIfLj2EEPfi.has_indirect_call, 0
	.section	.AMDGPU.csdata,"",@progbits
; Kernel info:
; codeLenInByte = 2924
; TotalNumSgprs: 32
; NumVgprs: 59
; NumAgprs: 0
; TotalNumVgprs: 59
; ScratchSize: 0
; MemoryBound: 0
; FloatMode: 240
; IeeeMode: 1
; LDSByteSize: 0 bytes/workgroup (compile time only)
; SGPRBlocks: 3
; VGPRBlocks: 7
; NumSGPRsForWavesPerEU: 32
; NumVGPRsForWavesPerEU: 59
; AccumOffset: 60
; Occupancy: 8
; WaveLimiterHint : 0
; COMPUTE_PGM_RSRC2:SCRATCH_EN: 0
; COMPUTE_PGM_RSRC2:USER_SGPR: 2
; COMPUTE_PGM_RSRC2:TRAP_HANDLER: 0
; COMPUTE_PGM_RSRC2:TGID_X_EN: 1
; COMPUTE_PGM_RSRC2:TGID_Y_EN: 1
; COMPUTE_PGM_RSRC2:TGID_Z_EN: 1
; COMPUTE_PGM_RSRC2:TIDIG_COMP_CNT: 0
; COMPUTE_PGM_RSRC3_GFX90A:ACCUM_OFFSET: 14
; COMPUTE_PGM_RSRC3_GFX90A:TG_SPLIT: 0
	.section	.text._ZL18flash_attn_ext_f16ILi256ELi256ELi4ELi4ELb0ELb0EEvPKcS1_S1_S1_S1_PKiPfP15HIP_vector_typeIfLj2EEffffjfiS5_IjLj3EEiiiiiiiiiiiliiliiiiil,"axG",@progbits,_ZL18flash_attn_ext_f16ILi256ELi256ELi4ELi4ELb0ELb0EEvPKcS1_S1_S1_S1_PKiPfP15HIP_vector_typeIfLj2EEffffjfiS5_IjLj3EEiiiiiiiiiiiliiliiiiil,comdat
	.globl	_ZL18flash_attn_ext_f16ILi256ELi256ELi4ELi4ELb0ELb0EEvPKcS1_S1_S1_S1_PKiPfP15HIP_vector_typeIfLj2EEffffjfiS5_IjLj3EEiiiiiiiiiiiliiliiiiil ; -- Begin function _ZL18flash_attn_ext_f16ILi256ELi256ELi4ELi4ELb0ELb0EEvPKcS1_S1_S1_S1_PKiPfP15HIP_vector_typeIfLj2EEffffjfiS5_IjLj3EEiiiiiiiiiiiliiliiiiil
	.p2align	8
	.type	_ZL18flash_attn_ext_f16ILi256ELi256ELi4ELi4ELb0ELb0EEvPKcS1_S1_S1_S1_PKiPfP15HIP_vector_typeIfLj2EEffffjfiS5_IjLj3EEiiiiiiiiiiiliiliiiiil,@function
_ZL18flash_attn_ext_f16ILi256ELi256ELi4ELi4ELb0ELb0EEvPKcS1_S1_S1_S1_PKiPfP15HIP_vector_typeIfLj2EEffffjfiS5_IjLj3EEiiiiiiiiiiiliiliiiiil: ; @_ZL18flash_attn_ext_f16ILi256ELi256ELi4ELi4ELb0ELb0EEvPKcS1_S1_S1_S1_PKiPfP15HIP_vector_typeIfLj2EEffffjfiS5_IjLj3EEiiiiiiiiiiiliiliiiiil
; %bb.0:
	s_load_dwordx2 s[4:5], s[0:1], 0x80
	s_load_dwordx4 s[36:39], s[0:1], 0x64
	s_load_dword s33, s[0:1], 0xd0
	s_mov_b32 s6, 0
	s_waitcnt lgkmcnt(0)
	s_abs_i32 s3, s5
	v_cvt_f32_u32_e32 v1, s3
	s_sub_i32 s9, 0, s3
	s_abs_i32 s8, s37
	s_xor_b32 s7, s37, s5
	v_rcp_iflag_f32_e32 v1, v1
	s_ashr_i32 s7, s7, 31
	v_mul_f32_e32 v1, 0x4f7ffffe, v1
	v_cvt_u32_f32_e32 v1, v1
	s_nop 0
	v_readfirstlane_b32 s10, v1
	s_mul_i32 s9, s9, s10
	s_mul_hi_u32 s9, s10, s9
	s_add_i32 s10, s10, s9
	s_mul_hi_u32 s9, s8, s10
	s_mul_i32 s10, s9, s3
	s_sub_i32 s8, s8, s10
	s_add_i32 s11, s9, 1
	s_sub_i32 s10, s8, s3
	s_cmp_ge_u32 s8, s3
	s_cselect_b32 s9, s11, s9
	s_cselect_b32 s8, s10, s8
	s_add_i32 s10, s9, 1
	s_cmp_ge_u32 s8, s3
	s_cselect_b32 s3, s10, s9
	s_add_i32 s4, s4, 63
	s_xor_b32 s3, s3, s7
	s_ashr_i32 s8, s4, 31
	s_sub_i32 s3, s3, s7
	s_lshr_b32 s7, s8, 26
	s_add_i32 s4, s4, s7
	s_ashr_i32 s78, s4, 6
	s_add_i32 s4, s36, 3
	s_lshr_b32 s74, s4, 2
	s_add_i32 s4, s3, 3
	s_ashr_i32 s7, s4, 31
	s_lshr_b32 s7, s7, 30
	s_add_i32 s4, s4, s7
	s_ashr_i32 s4, s4, 2
	s_mul_i32 s75, s74, s78
	s_mul_i32 s76, s75, s4
	;; [unrolled: 1-line block ×4, first 2 shown]
	s_ashr_i32 s11, s10, 31
	s_mul_i32 s4, s11, s2
	s_mul_hi_u32 s5, s10, s2
	s_add_i32 s7, s5, s4
	s_cmp_lg_u64 s[6:7], 0
	s_mul_i32 s6, s10, s2
	s_cbranch_scc0 .LBB29_263
; %bb.1:
	s_add_u32 s4, s33, 0
	s_addc_u32 s5, 0, 0
	s_xor_b64 s[8:9], s[4:5], 0
	v_cvt_f32_u32_e32 v1, s8
	v_cvt_f32_u32_e32 v2, s9
	s_sub_u32 s14, 0, s8
	s_subb_u32 s15, 0, s9
	v_fmamk_f32 v1, v2, 0x4f800000, v1
	v_rcp_f32_e32 v1, v1
	s_nop 0
	v_mul_f32_e32 v1, 0x5f7ffffc, v1
	v_mul_f32_e32 v2, 0x2f800000, v1
	v_trunc_f32_e32 v2, v2
	v_fmamk_f32 v1, v2, 0xcf800000, v1
	v_cvt_u32_f32_e32 v2, v2
	v_cvt_u32_f32_e32 v1, v1
	v_readfirstlane_b32 s16, v2
	v_readfirstlane_b32 s12, v1
	s_mul_i32 s13, s14, s16
	s_mul_hi_u32 s18, s14, s12
	s_mul_i32 s17, s15, s12
	s_add_i32 s13, s18, s13
	s_add_i32 s13, s13, s17
	s_mul_i32 s19, s14, s12
	s_mul_i32 s18, s12, s13
	s_mul_hi_u32 s20, s12, s19
	s_mul_hi_u32 s17, s12, s13
	s_add_u32 s18, s20, s18
	s_addc_u32 s17, 0, s17
	s_mul_hi_u32 s21, s16, s19
	s_mul_i32 s19, s16, s19
	s_add_u32 s18, s18, s19
	s_mul_hi_u32 s20, s16, s13
	s_addc_u32 s17, s17, s21
	s_addc_u32 s18, s20, 0
	s_mul_i32 s13, s16, s13
	s_add_u32 s13, s17, s13
	s_addc_u32 s17, 0, s18
	s_add_u32 s18, s12, s13
	s_cselect_b64 s[12:13], -1, 0
	s_cmp_lg_u64 s[12:13], 0
	s_addc_u32 s16, s16, s17
	s_mul_i32 s12, s14, s16
	s_mul_hi_u32 s13, s14, s18
	s_add_i32 s12, s13, s12
	s_mul_i32 s15, s15, s18
	s_add_i32 s12, s12, s15
	s_mul_i32 s14, s14, s18
	s_mul_hi_u32 s15, s16, s14
	s_mul_i32 s17, s16, s14
	s_mul_i32 s20, s18, s12
	s_mul_hi_u32 s14, s18, s14
	s_mul_hi_u32 s19, s18, s12
	s_add_u32 s14, s14, s20
	s_addc_u32 s19, 0, s19
	s_add_u32 s14, s14, s17
	s_mul_hi_u32 s13, s16, s12
	s_addc_u32 s14, s19, s15
	s_addc_u32 s13, s13, 0
	s_mul_i32 s12, s16, s12
	s_add_u32 s12, s14, s12
	s_addc_u32 s14, 0, s13
	s_add_u32 s17, s18, s12
	s_cselect_b64 s[12:13], -1, 0
	s_cmp_lg_u64 s[12:13], 0
	s_addc_u32 s16, s16, s14
	s_ashr_i32 s12, s7, 31
	s_add_u32 s14, s6, s12
	s_mov_b32 s13, s12
	s_addc_u32 s15, s7, s12
	s_xor_b64 s[14:15], s[14:15], s[12:13]
	s_mul_i32 s18, s14, s16
	s_mul_hi_u32 s19, s14, s17
	s_mul_hi_u32 s7, s14, s16
	s_add_u32 s18, s19, s18
	s_addc_u32 s7, 0, s7
	s_mul_hi_u32 s20, s15, s17
	s_mul_i32 s17, s15, s17
	s_add_u32 s17, s18, s17
	s_mul_hi_u32 s19, s15, s16
	s_addc_u32 s7, s7, s20
	s_addc_u32 s17, s19, 0
	s_mul_i32 s16, s15, s16
	s_add_u32 s7, s7, s16
	s_addc_u32 s20, 0, s17
	s_mul_i32 s16, s8, s20
	s_mul_hi_u32 s17, s8, s7
	s_add_i32 s16, s17, s16
	s_mul_i32 s17, s9, s7
	s_add_i32 s21, s16, s17
	s_sub_i32 s18, s15, s21
	s_mul_i32 s16, s8, s7
	s_sub_u32 s14, s14, s16
	s_cselect_b64 s[16:17], -1, 0
	s_cmp_lg_u64 s[16:17], 0
	s_subb_u32 s22, s18, s9
	s_sub_u32 s23, s14, s8
	s_cselect_b64 s[18:19], -1, 0
	s_cmp_lg_u64 s[18:19], 0
	s_subb_u32 s18, s22, 0
	s_cmp_ge_u32 s18, s9
	s_cselect_b32 s19, -1, 0
	s_cmp_ge_u32 s23, s8
	s_cselect_b32 s22, -1, 0
	s_cmp_eq_u32 s18, s9
	s_cselect_b32 s18, s22, s19
	s_add_u32 s19, s7, 1
	s_addc_u32 s22, s20, 0
	s_add_u32 s23, s7, 2
	s_addc_u32 s24, s20, 0
	s_cmp_lg_u32 s18, 0
	s_cselect_b32 s18, s23, s19
	s_cselect_b32 s19, s24, s22
	s_cmp_lg_u64 s[16:17], 0
	s_subb_u32 s15, s15, s21
	s_cmp_ge_u32 s15, s9
	s_cselect_b32 s16, -1, 0
	s_cmp_ge_u32 s14, s8
	s_cselect_b32 s8, -1, 0
	s_cmp_eq_u32 s15, s9
	s_cselect_b32 s8, s8, s16
	s_cmp_lg_u32 s8, 0
	s_cselect_b32 s9, s19, s20
	s_cselect_b32 s8, s18, s7
	s_xor_b64 s[12:13], s[12:13], 0
	s_xor_b64 s[8:9], s[8:9], s[12:13]
	s_sub_u32 s54, s8, s12
	s_load_dwordx2 s[50:51], s[0:1], 0x74
	v_cvt_f32_u32_e32 v1, s33
	s_cbranch_execnz .LBB29_3
.LBB29_2:
	v_rcp_iflag_f32_e32 v2, v1
	s_sub_i32 s4, 0, s33
	v_mul_f32_e32 v2, 0x4f7ffffe, v2
	v_cvt_u32_f32_e32 v2, v2
	s_nop 0
	v_readfirstlane_b32 s5, v2
	s_mul_i32 s4, s4, s5
	s_mul_hi_u32 s4, s5, s4
	s_add_i32 s5, s5, s4
	s_mul_hi_u32 s4, s6, s5
	s_mul_i32 s7, s4, s33
	s_sub_i32 s6, s6, s7
	s_add_i32 s5, s4, 1
	s_sub_i32 s7, s6, s33
	s_cmp_ge_u32 s6, s33
	s_cselect_b32 s4, s5, s4
	s_cselect_b32 s6, s7, s6
	s_add_i32 s5, s4, 1
	s_cmp_ge_u32 s6, s33
	s_cselect_b32 s54, s5, s4
.LBB29_3:
	s_add_i32 s4, s2, 1
	s_mul_i32 s5, s11, s4
	s_mul_hi_u32 s6, s10, s4
	s_add_i32 s9, s6, s5
	s_mov_b32 s8, 0
	s_cmp_lg_u64 s[8:9], 0
	s_mul_i32 s8, s10, s4
	s_cbranch_scc0 .LBB29_264
; %bb.4:
	s_add_u32 s4, s33, 0
	s_addc_u32 s5, 0, 0
	s_xor_b64 s[6:7], s[4:5], 0
	v_cvt_f32_u32_e32 v2, s6
	v_cvt_f32_u32_e32 v3, s7
	s_sub_u32 s12, 0, s6
	s_subb_u32 s13, 0, s7
	v_fmamk_f32 v2, v3, 0x4f800000, v2
	v_rcp_f32_e32 v2, v2
	s_nop 0
	v_mul_f32_e32 v2, 0x5f7ffffc, v2
	v_mul_f32_e32 v3, 0x2f800000, v2
	v_trunc_f32_e32 v3, v3
	v_fmamk_f32 v2, v3, 0xcf800000, v2
	v_cvt_u32_f32_e32 v3, v3
	v_cvt_u32_f32_e32 v2, v2
	v_readfirstlane_b32 s14, v3
	v_readfirstlane_b32 s10, v2
	s_mul_i32 s11, s12, s14
	s_mul_hi_u32 s16, s12, s10
	s_mul_i32 s15, s13, s10
	s_add_i32 s11, s16, s11
	s_add_i32 s11, s11, s15
	s_mul_i32 s17, s12, s10
	s_mul_i32 s16, s10, s11
	s_mul_hi_u32 s18, s10, s17
	s_mul_hi_u32 s15, s10, s11
	s_add_u32 s16, s18, s16
	s_addc_u32 s15, 0, s15
	s_mul_hi_u32 s19, s14, s17
	s_mul_i32 s17, s14, s17
	s_add_u32 s16, s16, s17
	s_mul_hi_u32 s18, s14, s11
	s_addc_u32 s15, s15, s19
	s_addc_u32 s16, s18, 0
	s_mul_i32 s11, s14, s11
	s_add_u32 s11, s15, s11
	s_addc_u32 s15, 0, s16
	s_add_u32 s16, s10, s11
	s_cselect_b64 s[10:11], -1, 0
	s_cmp_lg_u64 s[10:11], 0
	s_addc_u32 s14, s14, s15
	s_mul_i32 s10, s12, s14
	s_mul_hi_u32 s11, s12, s16
	s_add_i32 s10, s11, s10
	s_mul_i32 s13, s13, s16
	s_add_i32 s10, s10, s13
	s_mul_i32 s12, s12, s16
	s_mul_hi_u32 s13, s14, s12
	s_mul_i32 s15, s14, s12
	s_mul_i32 s18, s16, s10
	s_mul_hi_u32 s12, s16, s12
	s_mul_hi_u32 s17, s16, s10
	s_add_u32 s12, s12, s18
	s_addc_u32 s17, 0, s17
	s_add_u32 s12, s12, s15
	s_mul_hi_u32 s11, s14, s10
	s_addc_u32 s12, s17, s13
	s_addc_u32 s11, s11, 0
	s_mul_i32 s10, s14, s10
	s_add_u32 s10, s12, s10
	s_addc_u32 s12, 0, s11
	s_add_u32 s15, s16, s10
	s_cselect_b64 s[10:11], -1, 0
	s_cmp_lg_u64 s[10:11], 0
	s_addc_u32 s14, s14, s12
	s_ashr_i32 s10, s9, 31
	s_add_u32 s12, s8, s10
	s_mov_b32 s11, s10
	s_addc_u32 s13, s9, s10
	s_xor_b64 s[12:13], s[12:13], s[10:11]
	s_mul_i32 s16, s12, s14
	s_mul_hi_u32 s17, s12, s15
	s_mul_hi_u32 s9, s12, s14
	s_add_u32 s16, s17, s16
	s_addc_u32 s9, 0, s9
	s_mul_hi_u32 s18, s13, s15
	s_mul_i32 s15, s13, s15
	s_add_u32 s15, s16, s15
	s_mul_hi_u32 s17, s13, s14
	s_addc_u32 s9, s9, s18
	s_addc_u32 s15, s17, 0
	s_mul_i32 s14, s13, s14
	s_add_u32 s9, s9, s14
	s_addc_u32 s18, 0, s15
	s_mul_i32 s14, s6, s18
	s_mul_hi_u32 s15, s6, s9
	s_add_i32 s14, s15, s14
	s_mul_i32 s15, s7, s9
	s_add_i32 s19, s14, s15
	s_sub_i32 s16, s13, s19
	s_mul_i32 s14, s6, s9
	s_sub_u32 s12, s12, s14
	s_cselect_b64 s[14:15], -1, 0
	s_cmp_lg_u64 s[14:15], 0
	s_subb_u32 s20, s16, s7
	s_sub_u32 s21, s12, s6
	s_cselect_b64 s[16:17], -1, 0
	s_cmp_lg_u64 s[16:17], 0
	s_subb_u32 s16, s20, 0
	s_cmp_ge_u32 s16, s7
	s_cselect_b32 s17, -1, 0
	s_cmp_ge_u32 s21, s6
	s_cselect_b32 s20, -1, 0
	s_cmp_eq_u32 s16, s7
	s_cselect_b32 s16, s20, s17
	s_add_u32 s17, s9, 1
	s_addc_u32 s20, s18, 0
	s_add_u32 s21, s9, 2
	s_addc_u32 s22, s18, 0
	s_cmp_lg_u32 s16, 0
	s_cselect_b32 s16, s21, s17
	s_cselect_b32 s17, s22, s20
	s_cmp_lg_u64 s[14:15], 0
	s_subb_u32 s13, s13, s19
	s_cmp_ge_u32 s13, s7
	s_cselect_b32 s14, -1, 0
	s_cmp_ge_u32 s12, s6
	s_cselect_b32 s6, -1, 0
	s_cmp_eq_u32 s13, s7
	s_cselect_b32 s6, s6, s14
	s_cmp_lg_u32 s6, 0
	s_cselect_b32 s7, s17, s18
	s_cselect_b32 s6, s16, s9
	s_xor_b64 s[10:11], s[10:11], 0
	s_xor_b64 s[6:7], s[6:7], s[10:11]
	s_sub_u32 s6, s6, s10
	s_subb_u32 s7, s7, s11
	s_load_dwordx2 s[34:35], s[0:1], 0x5c
	v_mov_b64_e32 v[38:39], s[6:7]
	s_cbranch_execnz .LBB29_6
.LBB29_5:
	v_rcp_iflag_f32_e32 v1, v1
	s_sub_i32 s4, 0, s33
	v_mul_f32_e32 v1, 0x4f7ffffe, v1
	v_cvt_u32_f32_e32 v1, v1
	v_mul_lo_u32 v2, s4, v1
	v_mul_hi_u32 v2, v1, v2
	v_add_u32_e32 v1, v1, v2
	v_mul_hi_u32 v1, s8, v1
	v_mul_lo_u32 v3, v1, s33
	v_sub_u32_e32 v3, s8, v3
	v_add_u32_e32 v2, 1, v1
	v_subrev_u32_e32 v4, s33, v3
	v_cmp_le_u32_e32 vcc, s33, v3
	s_nop 1
	v_cndmask_b32_e32 v3, v3, v4, vcc
	v_cndmask_b32_e32 v1, v1, v2, vcc
	v_add_u32_e32 v2, 1, v1
	v_cmp_le_u32_e32 vcc, s33, v3
	s_nop 1
	v_cndmask_b32_e32 v38, v1, v2, vcc
.LBB29_6:
	s_abs_i32 s80, s78
	v_cvt_f32_u32_e32 v1, s80
	s_load_dwordx16 s[16:31], s[0:1], 0x0
	s_load_dword s4, s[0:1], 0x40
	s_load_dwordx2 s[52:53], s[0:1], 0x8c
	s_load_dwordx4 s[40:43], s[0:1], 0x98
	s_load_dwordx2 s[46:47], s[0:1], 0xa8
	s_load_dwordx2 s[56:57], s[0:1], 0xb8
	;; [unrolled: 1-line block ×3, first 2 shown]
	s_waitcnt lgkmcnt(0)
	s_ashr_i32 s38, s52, 2
	s_sub_i32 s6, 0, s80
	v_rcp_iflag_f32_e32 v1, v1
	s_abs_i32 s1, s54
	s_ashr_i32 s55, s39, 3
	s_ashr_i32 s79, s50, 3
	v_mul_f32_e32 v1, 0x4f7ffffe, v1
	v_cvt_u32_f32_e32 v1, v1
	s_ashr_i32 s44, s57, 1
	s_ashr_i32 s14, s42, 2
	;; [unrolled: 1-line block ×3, first 2 shown]
	v_readfirstlane_b32 s52, v1
	s_mul_i32 s6, s6, s52
	s_mul_hi_u32 s6, s52, s6
	s_add_i32 s52, s52, s6
	s_mul_hi_u32 s6, s1, s52
	s_mul_i32 s6, s6, s80
	s_sub_i32 s1, s1, s6
	s_ashr_i32 s42, s78, 31
	s_sub_i32 s6, s1, s80
	s_cmp_ge_u32 s1, s80
	s_cselect_b32 s1, s6, s1
	s_sub_i32 s6, s1, s80
	s_cmp_ge_u32 s1, s80
	s_cselect_b32 s1, s6, s1
	s_xor_b32 s1, s1, s0
	s_sub_i32 s70, s1, s0
	v_subrev_u32_e32 v1, s54, v38
	v_add_u32_e32 v1, s70, v1
	v_cvt_f16_f32_e32 v87, s4
	v_cmp_ge_i32_e32 vcc, s54, v38
	v_cmp_gt_i32_e64 s[0:1], s78, v1
	s_or_b64 s[0:1], s[0:1], vcc
	v_bfe_u32 v85, v0, 10, 10
	v_bfe_u32 v168, v0, 10, 2
	s_mov_b32 s5, 0
	v_min_i32_e32 v146, s78, v1
	v_cmp_lt_i32_e64 s[8:9], s54, v38
	s_and_b64 vcc, exec, s[0:1]
	v_lshlrev_b32_e32 v183, 2, v85
	v_lshlrev_b32_e32 v186, 4, v85
	v_cmp_eq_u32_e64 s[0:1], 0, v168
	v_cmp_ne_u32_e64 s[10:11], 0, v168
	v_lshrrev_b32_e32 v88, 10, v0
	v_add_u32_e32 v86, 4, v85
	v_add_u32_e32 v84, 8, v85
	;; [unrolled: 1-line block ×3, first 2 shown]
	v_mbcnt_lo_u32_b32 v191, -1, 0
	s_cbranch_vccz .LBB29_9
; %bb.7:
	s_andn2_b64 vcc, exec, s[8:9]
	s_cbranch_vccz .LBB29_240
.LBB29_8:
	s_endpgm
.LBB29_9:
	v_and_b32_e32 v2, 0x3f0, v183
	s_movk_i32 s12, 0x210
	v_and_b32_e32 v4, 15, v0
	v_lshrrev_b32_e32 v6, 1, v0
	v_and_b32_e32 v40, 0x3ff, v0
	v_mad_u32_u24 v3, v2, s12, 0
	v_mul_u32_u24_e32 v5, 0x210, v4
	v_and_b32_e32 v6, 0x78, v6
	v_lshlrev_b32_e32 v1, 2, v40
	v_add3_u32 v172, v3, v5, v6
	v_bfe_u32 v3, v0, 5, 5
	v_lshl_add_u32 v173, v85, 1, v3
	s_movk_i32 s4, 0x90
	v_and_b32_e32 v42, 0x7c, v1
	v_mad_u32_u24 v3, v173, s4, 0
	v_mul_u32_u24_e32 v7, 0x180, v173
	v_lshlrev_b32_e32 v8, 2, v42
	v_add3_u32 v174, v3, v7, v8
	v_and_b32_e32 v7, 48, v186
	v_mad_u32_u24 v8, v7, s12, 0
	v_add3_u32 v175, v8, v5, v6
	v_bfe_u32 v5, v0, 2, 8
	v_and_b32_e32 v9, 60, v5
	v_and_or_b32 v2, v0, 12, v2
	v_add_u16_e32 v7, v7, v9
	s_cmp_eq_u64 s[24:25], 0
	v_lshrrev_b32_e32 v2, 2, v2
	v_lshrrev_b16_e32 v7, 1, v7
	s_cselect_b64 s[58:59], -1, 0
	s_cmp_lg_u64 s[26:27], 0
	v_mul_u32_u24_e32 v2, 0x90, v2
	v_lshlrev_b32_e32 v7, 2, v7
	s_cselect_b64 s[60:61], -1, 0
	v_add3_u32 v176, 0, v2, v7
	v_mul_u32_u24_e32 v2, 0x210, v9
	v_or_b32_e32 v5, 3, v5
	v_lshlrev_b32_e32 v7, 1, v4
	s_lshl_b32 s4, s2, 4
	v_bfe_u32 v179, v88, 2, 8
	s_ashr_i32 s45, s44, 31
	s_ashr_i32 s39, s38, 31
	s_lshl_b32 s6, s38, 3
	s_ashr_i32 s15, s14, 31
	s_lshl_b32 s7, s14, 3
	v_mul_u32_u24_e32 v5, 0x210, v5
	v_add3_u32 v177, v8, v2, v7
	s_lshl_b64 s[4:5], s[4:5], 3
	v_add_u32_e32 v2, 1, v179
	v_add3_u32 v178, v8, v5, v7
	s_add_u32 s8, s30, s4
	v_lshlrev_b32_e32 v5, 2, v2
	v_and_b32_e32 v7, 15, v2
	s_movk_i32 s4, 0x1c0
	v_and_or_b32 v5, v5, s4, v7
	v_add_u32_e32 v7, 2, v179
	v_lshlrev_b32_e32 v8, 2, v7
	v_and_b32_e32 v9, 15, v7
	v_and_or_b32 v8, v8, s4, v9
	v_add_u32_e32 v9, 3, v179
	v_lshlrev_b32_e32 v10, 2, v9
	v_and_b32_e32 v11, 15, v9
	;; [unrolled: 4-line block ×7, first 2 shown]
	v_and_or_b32 v20, v20, s4, v21
	v_add_u32_e32 v21, 9, v179
	s_addc_u32 s9, s31, s5
	v_lshlrev_b32_e32 v22, 2, v21
	v_and_b32_e32 v23, 15, v21
	s_abs_i32 s57, s77
	v_and_or_b32 v22, v22, s4, v23
	v_add_u32_e32 v23, 10, v179
	v_cvt_f32_u32_e32 v34, s57
	v_lshlrev_b32_e32 v24, 2, v23
	v_and_b32_e32 v25, 15, v23
	v_and_or_b32 v24, v24, s4, v25
	v_add_u32_e32 v25, 11, v179
	v_lshlrev_b32_e32 v26, 2, v25
	v_and_b32_e32 v27, 15, v25
	v_and_or_b32 v26, v26, s4, v27
	v_add_u32_e32 v27, 12, v179
	v_rcp_iflag_f32_e32 v34, v34
	v_lshlrev_b32_e32 v28, 2, v27
	v_and_b32_e32 v29, 15, v27
	v_and_or_b32 v28, v28, s4, v29
	v_add_u32_e32 v29, 13, v179
	v_lshlrev_b32_e32 v30, 2, v29
	v_and_b32_e32 v31, 15, v29
	v_and_or_b32 v30, v30, s4, v31
	v_add_u32_e32 v31, 14, v179
	v_mul_f32_e32 v34, 0x4f7ffffe, v34
	v_lshlrev_b32_e32 v32, 2, v31
	v_and_b32_e32 v33, 15, v31
	v_cvt_u32_f32_e32 v34, v34
	v_and_or_b32 v32, v32, s4, v33
	v_add_u32_e32 v33, 15, v179
	v_lshlrev_b32_e32 v35, 2, v33
	v_and_b32_e32 v37, 15, v33
	s_abs_i32 s81, s76
	v_and_or_b32 v35, v35, s4, v37
	s_sub_i32 s4, 0, s57
	v_cvt_f32_u32_e32 v36, s81
	v_mul_lo_u32 v37, s4, v34
	v_mul_hi_u32 v37, v34, v37
	s_abs_i32 s82, s75
	v_add_u32_e32 v180, v34, v37
	v_cvt_f32_u32_e32 v34, s82
	v_rcp_iflag_f32_e32 v36, v36
	s_sub_i32 s4, 0, s81
	v_accvgpr_write_b32 a5, v183
	v_rcp_iflag_f32_e32 v34, v34
	v_mul_f32_e32 v36, 0x4f7ffffe, v36
	v_cvt_u32_f32_e32 v36, v36
	v_accvgpr_write_b32 a4, v186
	v_mul_f32_e32 v34, 0x4f7ffffe, v34
	v_cvt_u32_f32_e32 v34, v34
	v_mul_lo_u32 v37, s4, v36
	v_mul_hi_u32 v37, v36, v37
	s_sub_i32 s4, 0, s82
	v_add_u32_e32 v181, v36, v37
	v_mul_lo_u32 v37, s4, v34
	v_mul_hi_u32 v37, v34, v37
	v_add_u32_e32 v182, v34, v37
	v_or_b32_e32 v34, v183, v40
	v_lshlrev_b32_e32 v44, 3, v34
	v_lshlrev_b32_e32 v34, 1, v40
	v_and_b32_e32 v46, 62, v34
	v_lshl_add_u32 v183, v46, 1, v3
	v_add_u32_e32 v3, v186, v40
	v_mul_u32_u24_e32 v184, 0x210, v3
	v_or_b32_e32 v3, v186, v4
	v_mul_u32_u24_e32 v186, 0x210, v3
	s_movk_i32 s62, 0xc0
	v_bfe_u32 v3, v85, 2, 4
	v_and_or_b32 v3, v88, s62, v3
	v_mad_u32_u24 v187, v3, s12, 0
	v_lshrrev_b32_e32 v188, 2, v2
	v_and_b32_e32 v189, 3, v2
	v_lshrrev_b32_e32 v2, 2, v7
	v_lshrrev_b32_e32 v3, 2, v9
	v_accvgpr_write_b32 a12, v2
	v_and_b32_e32 v2, 3, v7
	v_accvgpr_write_b32 a15, v3
	v_and_b32_e32 v3, 3, v9
	v_mad_u32_u24 v190, v5, s12, 0
	v_accvgpr_write_b32 a13, v2
	v_mad_u32_u24 v2, v8, s12, 0
	v_accvgpr_write_b32 a16, v3
	v_mad_u32_u24 v3, v10, s12, 0
	v_lshrrev_b32_e32 v4, 2, v11
	v_lshrrev_b32_e32 v5, 2, v13
	v_add_u32_e32 v185, 0, v6
	v_accvgpr_write_b32 a18, v4
	v_mad_u32_u24 v4, v12, s12, 0
	v_accvgpr_write_b32 a20, v5
	v_and_b32_e32 v5, 3, v13
	v_lshrrev_b32_e32 v6, 2, v15
	v_accvgpr_write_b32 a14, v2
	v_add_u32_e32 v233, v2, v1
	v_add_u32_e32 v2, v3, v1
	v_accvgpr_write_b32 a21, v5
	v_mad_u32_u24 v5, v14, s12, 0
	v_accvgpr_write_b32 a23, v6
	v_and_b32_e32 v6, 3, v15
	v_lshrrev_b32_e32 v7, 2, v17
	v_accvgpr_write_b32 a51, v2
	v_add_u32_e32 v2, v4, v1
	v_accvgpr_write_b32 a24, v6
	v_mad_u32_u24 v6, v16, s12, 0
	v_accvgpr_write_b32 a26, v7
	v_and_b32_e32 v7, 3, v17
	v_accvgpr_write_b32 a52, v2
	v_add_u32_e32 v2, v5, v1
	v_accvgpr_write_b32 a27, v7
	v_mad_u32_u24 v7, v18, s12, 0
	v_lshrrev_b32_e32 v8, 2, v19
	v_lshrrev_b32_e32 v9, 2, v21
	v_accvgpr_write_b32 a53, v2
	v_add_u32_e32 v2, v6, v1
	v_accvgpr_write_b32 a29, v8
	v_mad_u32_u24 v8, v20, s12, 0
	v_accvgpr_write_b32 a31, v9
	v_and_b32_e32 v9, 3, v21
	v_lshrrev_b32_e32 v10, 2, v23
	v_accvgpr_write_b32 a54, v2
	v_add_u32_e32 v2, v7, v1
	v_accvgpr_write_b32 a32, v9
	v_mad_u32_u24 v9, v22, s12, 0
	v_accvgpr_write_b32 a34, v10
	v_and_b32_e32 v10, 3, v23
	;; [unrolled: 7-line block ×3, first 2 shown]
	v_accvgpr_write_b32 a56, v2
	v_add_u32_e32 v2, v9, v1
	v_accvgpr_write_b32 a38, v11
	v_mad_u32_u24 v11, v26, s12, 0
	v_lshrrev_b32_e32 v12, 2, v27
	v_lshrrev_b32_e32 v13, 2, v29
	v_accvgpr_write_b32 a57, v2
	v_add_u32_e32 v2, v10, v1
	v_accvgpr_write_b32 a40, v12
	v_mad_u32_u24 v12, v28, s12, 0
	v_accvgpr_write_b32 a42, v13
	v_and_b32_e32 v13, 3, v29
	v_lshrrev_b32_e32 v14, 2, v31
	v_accvgpr_write_b32 a58, v2
	v_add_u32_e32 v2, v11, v1
	v_accvgpr_write_b32 a43, v13
	v_mad_u32_u24 v13, v30, s12, 0
	v_accvgpr_write_b32 a45, v14
	v_and_b32_e32 v14, 3, v31
	v_accvgpr_write_b32 a59, v2
	v_add_u32_e32 v2, v12, v1
	v_accvgpr_write_b32 a46, v14
	v_mad_u32_u24 v14, v32, s12, 0
	v_accvgpr_write_b32 a60, v2
	v_add_u32_e32 v2, v13, v1
	v_mov_b32_e32 v45, 0
	v_accvgpr_write_b32 a61, v2
	v_add_u32_e32 v2, v14, v1
	v_accvgpr_write_b32 a17, v3
	v_accvgpr_write_b32 a62, v2
	v_lshl_add_u64 v[2:3], s[8:9], 0, v[44:45]
	s_abs_i32 s83, s56
	v_mov_b32_e32 v43, v45
	v_accvgpr_write_b32 a65, v3
	v_cvt_f32_u32_e32 v39, s83
	v_mul_lo_u32 v64, s14, v173
	v_accvgpr_write_b32 a64, v2
	v_lshl_add_u64 v[2:3], s[22:23], 0, v[42:43]
	v_ashrrev_i32_e32 v65, 31, v64
	v_accvgpr_write_b32 a67, v3
	v_add_u32_e32 v66, s7, v64
	v_accvgpr_write_b32 a66, v2
	v_lshl_add_u64 v[2:3], v[64:65], 2, s[20:21]
	v_ashrrev_i32_e32 v67, 31, v66
	v_accvgpr_write_b32 a69, v3
	v_rcp_iflag_f32_e32 v36, v39
	v_add_u32_e32 v68, s7, v66
	v_accvgpr_write_b32 a68, v2
	v_lshl_add_u64 v[2:3], v[66:67], 2, s[20:21]
	v_ashrrev_i32_e32 v69, 31, v68
	v_accvgpr_write_b32 a71, v3
	v_add_u32_e32 v70, s7, v68
	v_accvgpr_write_b32 a70, v2
	v_lshl_add_u64 v[2:3], v[68:69], 2, s[20:21]
	v_ashrrev_i32_e32 v71, 31, v70
	v_accvgpr_write_b32 a73, v3
	v_mul_f32_e32 v36, 0x4f7ffffe, v36
	v_add_u32_e32 v72, s7, v70
	v_accvgpr_write_b32 a72, v2
	v_lshl_add_u64 v[2:3], v[70:71], 2, s[20:21]
	v_cvt_u32_f32_e32 v36, v36
	v_mul_lo_u32 v48, s38, v173
	v_ashrrev_i32_e32 v73, 31, v72
	v_accvgpr_write_b32 a75, v3
	v_add_u32_e32 v50, s6, v48
	v_add_u32_e32 v74, s7, v72
	v_accvgpr_write_b32 a74, v2
	v_lshl_add_u64 v[2:3], v[72:73], 2, s[20:21]
	v_add_u32_e32 v52, s6, v50
	v_ashrrev_i32_e32 v75, 31, v74
	v_accvgpr_write_b32 a77, v3
	v_add_u32_e32 v54, s6, v52
	v_add_u32_e32 v76, s7, v74
	v_accvgpr_write_b32 a76, v2
	v_lshl_add_u64 v[2:3], v[74:75], 2, s[20:21]
	v_readfirstlane_b32 s13, v36
	v_add_u32_e32 v56, s6, v54
	v_ashrrev_i32_e32 v77, 31, v76
	v_lshrrev_b32_e32 v15, 2, v33
	s_sub_i32 s62, 0, s83
	v_accvgpr_write_b32 a79, v3
	v_add_u32_e32 v58, s6, v56
	v_add_u32_e32 v78, s7, v76
	v_accvgpr_write_b32 a48, v15
	v_and_b32_e32 v15, 3, v33
	s_mul_i32 s62, s62, s13
	v_accvgpr_write_b32 a78, v2
	v_lshl_add_u64 v[2:3], v[76:77], 2, s[20:21]
	v_add_u32_e32 v60, s6, v58
	v_ashrrev_i32_e32 v79, 31, v78
	v_accvgpr_write_b32 a49, v15
	v_mad_u32_u24 v15, v35, s12, 0
	s_mul_hi_u32 s62, s13, s62
	v_accvgpr_write_b32 a81, v3
	v_add_u32_e32 v62, s6, v60
	v_add_u32_e32 v230, 0, v1
	;; [unrolled: 1-line block ×5, first 2 shown]
	s_add_i32 s88, s13, s62
	v_mad_u64_u32 v[80:81], s[62:63], v168, s79, v[40:41]
	v_accvgpr_write_b32 a80, v2
	v_lshl_add_u64 v[2:3], v[78:79], 2, s[20:21]
	s_mov_b32 s71, 0x10001
	v_ashrrev_i32_e32 v49, 31, v48
	v_ashrrev_i32_e32 v51, 31, v50
	;; [unrolled: 1-line block ×8, first 2 shown]
	v_accvgpr_write_b32 a63, v1
	s_lshl_b64 s[62:63], s[44:45], 1
	v_and_b32_e32 v1, 31, v0
	v_mad_u32_u24 v255, v85, s12, v230
	v_accvgpr_write_b32 a83, v3
	s_mul_i32 s84, s36, s37
	v_cmp_gt_u32_e64 s[4:5], 4, v173
	v_cmp_gt_u32_e64 s[6:7], 16, v40
	v_accvgpr_write_b32 a19, v4
	v_accvgpr_write_b32 a22, v5
	;; [unrolled: 1-line block ×12, first 2 shown]
	s_ashr_i32 s85, s77, 31
	s_ashr_i32 s86, s76, 31
	;; [unrolled: 1-line block ×3, first 2 shown]
	v_mov_b32_e32 v41, v45
	v_lshlrev_b32_e32 v82, 4, v1
	v_mov_b32_e32 v83, v45
	s_lshl_b64 s[64:65], s[14:15], 8
	s_lshl_b64 s[66:67], s[38:39], 8
	s_mov_b32 s45, 0x3fb8aa3b
	s_mov_b32 s63, 0xc2ce8ed0
	;; [unrolled: 1-line block ×5, first 2 shown]
	s_movk_i32 s92, 0x47
	s_mov_b64 s[68:69], 0x80
	v_accvgpr_write_b32 a10, v87
	v_mul_lo_u32 v81, v87, s71
	v_add_u32_e32 v247, 0x1080, v174
	v_add_u32_e32 v248, 0x2100, v174
	;; [unrolled: 1-line block ×7, first 2 shown]
	v_mul_u32_u24_e32 v254, 0x210, v85
	v_accvgpr_write_b32 a9, v86
	v_lshrrev_b32_e32 v227, 2, v86
	v_add_u32_e32 v228, 0x840, v255
	v_accvgpr_write_b32 a8, v84
	v_lshrrev_b32_e32 v224, 2, v84
	v_add_u32_e32 v225, 0x1080, v255
	;; [unrolled: 3-line block ×3, first 2 shown]
	v_accvgpr_write_b32 a11, v88
	v_bfe_u32 v222, v88, 4, 6
	v_bfe_u32 v245, v85, 2, 2
	v_accvgpr_write_b32 a6, v191
	v_mbcnt_hi_u32_b32 v219, -1, v191
	v_mov_b32_e32 v244, 0x7f800000
	v_and_b32_e32 v84, 3, v0
	v_accvgpr_write_b32 a82, v2
	v_lshl_add_u64 v[106:107], v[48:49], 2, s[18:19]
	v_lshl_add_u64 v[108:109], v[50:51], 2, s[18:19]
	;; [unrolled: 1-line block ×8, first 2 shown]
	s_branch .LBB29_12
.LBB29_10:                              ;   in Loop: Header=BB29_12 Depth=1
	s_or_b64 exec, exec, s[70:71]
	s_barrier
.LBB29_11:                              ;   in Loop: Header=BB29_12 Depth=1
	s_add_i32 s8, s54, s78
	s_abs_i32 s12, s8
	s_mul_hi_u32 s13, s12, s52
	s_mul_i32 s13, s13, s80
	s_sub_i32 s12, s12, s13
	s_ashr_i32 s9, s8, 31
	s_sub_i32 s13, s12, s80
	s_cmp_ge_u32 s12, s80
	s_cselect_b32 s12, s13, s12
	s_sub_i32 s13, s12, s80
	s_cmp_ge_u32 s12, s80
	s_cselect_b32 s12, s13, s12
	s_xor_b32 s12, s12, s9
	s_sub_i32 s9, s9, s12
	s_add_i32 s54, s8, s9
	v_subrev_u32_e32 v1, s54, v38
	v_cmp_lt_i32_e64 s[8:9], s54, v38
	v_cmp_le_i32_e32 vcc, s78, v1
	s_and_b64 s[12:13], vcc, s[8:9]
	v_min_i32_e32 v146, s78, v1
	s_mov_b32 s70, 0
	s_and_b64 vcc, exec, s[12:13]
	s_cbranch_vccz .LBB29_239
.LBB29_12:                              ; =>This Loop Header: Depth=1
                                        ;     Child Loop BB29_148 Depth 2
                                        ;     Child Loop BB29_34 Depth 2
	s_abs_i32 s9, s54
	v_mul_hi_u32 v1, s9, v180
	v_mul_lo_u32 v2, v1, s57
	v_sub_u32_e32 v2, s9, v2
	v_add_u32_e32 v3, 1, v1
	v_subrev_u32_e32 v4, s57, v2
	v_cmp_le_u32_e32 vcc, s57, v2
	s_ashr_i32 s8, s54, 31
	s_xor_b32 s8, s8, s85
	v_cndmask_b32_e32 v1, v1, v3, vcc
	v_cndmask_b32_e32 v2, v2, v4, vcc
	v_add_u32_e32 v3, 1, v1
	v_cmp_le_u32_e32 vcc, s57, v2
	s_nop 1
	v_cndmask_b32_e32 v1, v1, v3, vcc
	v_xor_b32_e32 v1, s8, v1
	v_subrev_u32_e32 v1, s8, v1
	v_mul_lo_u32 v2, v1, s77
	v_sub_u32_e32 v3, s54, v2
	v_sub_u32_e32 v4, 0, v3
	v_max_i32_e32 v4, v3, v4
	v_mul_hi_u32 v5, v4, v181
	v_mul_lo_u32 v6, v5, s81
	v_sub_u32_e32 v4, v4, v6
	v_add_u32_e32 v6, 1, v5
	v_subrev_u32_e32 v7, s81, v4
	v_cmp_le_u32_e32 vcc, s81, v4
	v_ashrrev_i32_e32 v2, 31, v3
	v_xor_b32_e32 v2, s86, v2
	v_cndmask_b32_e32 v5, v5, v6, vcc
	v_cndmask_b32_e32 v4, v4, v7, vcc
	v_add_u32_e32 v6, 1, v5
	v_cmp_le_u32_e32 vcc, s81, v4
	s_nop 1
	v_cndmask_b32_e32 v4, v5, v6, vcc
	v_xor_b32_e32 v4, v4, v2
	v_sub_u32_e32 v2, v4, v2
	v_mul_lo_u32 v4, v2, s76
	v_sub_u32_e32 v3, v3, v4
	v_sub_u32_e32 v5, 0, v3
	v_max_i32_e32 v5, v3, v5
	v_mul_hi_u32 v6, v5, v182
	v_mul_lo_u32 v7, v6, s82
	v_sub_u32_e32 v5, v5, v7
	v_add_u32_e32 v7, 1, v6
	v_subrev_u32_e32 v8, s82, v5
	v_cmp_le_u32_e32 vcc, s82, v5
	v_ashrrev_i32_e32 v4, 31, v3
	v_xor_b32_e32 v4, s87, v4
	v_cndmask_b32_e32 v6, v6, v7, vcc
	v_cndmask_b32_e32 v5, v5, v8, vcc
	v_add_u32_e32 v7, 1, v6
	v_cmp_le_u32_e32 vcc, s82, v5
	s_nop 1
	v_cndmask_b32_e32 v5, v6, v7, vcc
	v_xor_b32_e32 v5, v5, v4
	v_sub_u32_e32 v4, v5, v4
	v_mul_lo_u32 v5, v4, s75
	v_sub_u32_e32 v3, v3, v5
	v_sub_u32_e32 v6, 0, v3
	v_ashrrev_i32_e32 v5, 31, v3
	v_max_i32_e32 v3, v3, v6
	v_mul_hi_u32 v6, v3, s52
	v_mul_lo_u32 v7, v6, s80
	v_sub_u32_e32 v3, v3, v7
	v_add_u32_e32 v7, 1, v6
	v_subrev_u32_e32 v8, s80, v3
	v_cmp_le_u32_e32 vcc, s80, v3
	v_xor_b32_e32 v5, s42, v5
	s_nop 0
	v_cndmask_b32_e32 v6, v6, v7, vcc
	v_cndmask_b32_e32 v3, v3, v8, vcc
	v_add_u32_e32 v7, 1, v6
	v_cmp_le_u32_e32 vcc, s80, v3
	s_nop 1
	v_cndmask_b32_e32 v3, v6, v7, vcc
	v_xor_b32_e32 v3, v3, v5
	s_andn2_b64 vcc, exec, s[60:61]
	v_sub_u32_e32 v3, v3, v5
	s_cbranch_vccnz .LBB29_14
; %bb.13:                               ;   in Loop: Header=BB29_12 Depth=1
	v_mul_lo_u32 v5, v1, s74
	v_add_u32_e32 v6, v3, v5
	v_ashrrev_i32_e32 v7, 31, v6
	v_lshlrev_b64 v[6:7], 2, v[6:7]
	v_lshl_add_u64 v[6:7], s[26:27], 0, v[6:7]
	global_load_dword v5, v[6:7], off
	s_waitcnt vmcnt(0)
	v_ashrrev_i32_e32 v6, 31, v5
	v_lshrrev_b32_e32 v6, 26, v6
	v_add_u32_e32 v5, v5, v6
	v_ashrrev_i32_e32 v5, 6, v5
	v_min_i32_e32 v146, v146, v5
.LBB29_14:                              ;   in Loop: Header=BB29_12 Depth=1
	v_mul_lo_u32 v5, v2, s3
	v_lshlrev_b32_e32 v43, 2, v4
	v_add_u32_e32 v4, v43, v5
	v_mul_lo_u32 v6, v1, s51
	v_ashrrev_i32_e32 v7, 31, v6
	v_mul_lo_u32 v8, v4, s50
	v_lshl_add_u64 v[6:7], s[16:17], 0, v[6:7]
	v_ashrrev_i32_e32 v9, 31, v8
	v_ashrrev_i32_e32 v5, 31, v1
	v_lshl_add_u64 v[142:143], v[6:7], 0, v[8:9]
	v_mul_hi_u32 v6, s40, v1
	v_mul_lo_u32 v7, s40, v5
	v_add_u32_e32 v6, v6, v7
	v_mul_lo_u32 v7, s41, v1
	v_add_u32_e32 v133, v6, v7
	v_mul_lo_u32 v132, s40, v1
	v_mul_lo_u32 v134, v2, s53
	v_lshl_add_u64 v[6:7], s[18:19], 0, v[132:133]
	v_ashrrev_i32_e32 v135, 31, v134
	v_lshl_add_u64 v[128:129], v[6:7], 0, v[134:135]
	v_sub_u32_e32 v6, 0, v1
	v_max_i32_e32 v6, v1, v6
	v_mul_hi_u32 v7, v6, s88
	v_mul_lo_u32 v7, v7, s83
	v_sub_u32_e32 v6, v6, v7
	v_subrev_u32_e32 v7, s83, v6
	v_cmp_le_u32_e32 vcc, s83, v6
	v_mul_lo_u32 v138, s46, v1
	v_mul_lo_u32 v140, v2, s43
	v_cndmask_b32_e32 v6, v6, v7, vcc
	v_subrev_u32_e32 v7, s83, v6
	v_cmp_le_u32_e32 vcc, s83, v6
	v_ashrrev_i32_e32 v141, 31, v140
	v_lshlrev_b32_e32 v216, 2, v3
	v_cndmask_b32_e32 v6, v6, v7, vcc
	v_xor_b32_e32 v6, v6, v5
	v_sub_u32_e32 v6, v6, v5
	v_ashrrev_i32_e32 v7, 31, v6
	v_mul_lo_u32 v7, s48, v7
	v_mul_hi_u32 v8, s48, v6
	v_add_u32_e32 v7, v8, v7
	v_mul_lo_u32 v8, s49, v6
	v_mul_lo_u32 v136, s48, v6
	v_mul_lo_u32 v6, s84, v1
	v_add_u32_e32 v6, v4, v6
	v_lshlrev_b32_e32 v44, 7, v6
	v_add_u32_e32 v137, v7, v8
	v_lshlrev_b64 v[6:7], 3, v[44:45]
	v_lshl_add_u64 v[122:123], s[28:29], 0, v[6:7]
	v_mul_hi_u32 v6, s46, v1
	v_mul_lo_u32 v5, s46, v5
	v_add_u32_e32 v5, v6, v5
	v_mul_lo_u32 v6, s47, v1
	v_add_u32_e32 v139, v5, v6
	v_ashrrev_i32_e32 v5, 31, v4
	v_lshlrev_b64 v[4:5], 2, v[4:5]
	v_lshl_add_u64 v[6:7], s[20:21], 0, v[138:139]
	v_lshl_add_u64 v[4:5], s[24:25], 0, v[4:5]
	;; [unrolled: 1-line block ×4, first 2 shown]
	v_cndmask_b32_e64 v125, v5, 0, s[58:59]
	v_cndmask_b32_e64 v124, v4, 0, s[58:59]
	s_cmp_lg_u32 s70, 0
	v_add_u32_e32 v147, v179, v216
	v_or_b32_e32 v148, v168, v43
	s_cbranch_scc0 .LBB29_36
; %bb.15:                               ;   in Loop: Header=BB29_12 Depth=1
	v_cmp_le_i32_e64 s[8:9], s36, v147
	v_cmp_le_i32_e64 s[12:13], s3, v148
	v_cmp_gt_i32_e32 vcc, s3, v148
	s_or_b64 s[8:9], s[8:9], s[12:13]
	s_and_saveexec_b64 s[12:13], s[8:9]
	s_xor_b64 s[8:9], exec, s[12:13]
; %bb.16:                               ;   in Loop: Header=BB29_12 Depth=1
	v_add_u32_e32 v1, v230, v254
	ds_write2st64_b32 v1, v45, v45 offset1:1
; %bb.17:                               ;   in Loop: Header=BB29_12 Depth=1
	s_andn2_saveexec_b64 s[8:9], s[8:9]
	s_cbranch_execz .LBB29_19
; %bb.18:                               ;   in Loop: Header=BB29_12 Depth=1
	v_mad_u64_u32 v[2:3], s[12:13], v147, s55, v[80:81]
	v_ashrrev_i32_e32 v3, 31, v2
	v_lshl_add_u64 v[2:3], v[2:3], 3, v[142:143]
	global_load_dwordx2 v[4:5], v[2:3], off
	s_nop 0
	global_load_dwordx2 v[2:3], v[2:3], off offset:512
	s_waitcnt vmcnt(1)
	v_cvt_pk_f16_f32 v1, v4, v5
	s_waitcnt vmcnt(0)
	v_cvt_pk_f16_f32 v2, v2, v3
	v_pk_mul_f16 v1, v1, v81
	v_pk_mul_f16 v2, v2, v81
	ds_write2st64_b32 v255, v1, v2 offset1:1
.LBB29_19:                              ;   in Loop: Header=BB29_12 Depth=1
	s_or_b64 exec, exec, s[8:9]
	v_add_u32_e32 v1, v227, v216
	v_cmp_le_i32_e64 s[8:9], s36, v1
	s_xor_b64 s[12:13], vcc, -1
	s_or_b64 s[8:9], s[8:9], s[12:13]
	s_and_saveexec_b64 s[72:73], s[8:9]
	s_xor_b64 s[8:9], exec, s[72:73]
; %bb.20:                               ;   in Loop: Header=BB29_12 Depth=1
	v_add_u32_e32 v1, v230, v254
	v_add_u32_e32 v1, 64, v1
	ds_write2st64_b32 v1, v45, v45 offset0:8 offset1:9
                                        ; implicit-def: $vgpr1
; %bb.21:                               ;   in Loop: Header=BB29_12 Depth=1
	s_andn2_saveexec_b64 s[8:9], s[8:9]
	s_cbranch_execz .LBB29_23
; %bb.22:                               ;   in Loop: Header=BB29_12 Depth=1
	v_mad_u64_u32 v[2:3], s[72:73], v1, s55, v[80:81]
	v_ashrrev_i32_e32 v3, 31, v2
	v_lshl_add_u64 v[2:3], v[2:3], 3, v[142:143]
	global_load_dwordx2 v[4:5], v[2:3], off
	s_nop 0
	global_load_dwordx2 v[2:3], v[2:3], off offset:512
	s_waitcnt vmcnt(1)
	v_cvt_pk_f16_f32 v1, v4, v5
	s_waitcnt vmcnt(0)
	v_cvt_pk_f16_f32 v2, v2, v3
	v_pk_mul_f16 v1, v1, v81
	v_pk_mul_f16 v2, v2, v81
	ds_write2st64_b32 v228, v1, v2 offset1:1
.LBB29_23:                              ;   in Loop: Header=BB29_12 Depth=1
	s_or_b64 exec, exec, s[8:9]
	v_add_u32_e32 v1, v224, v216
	v_cmp_le_i32_e32 vcc, s36, v1
	s_or_b64 s[8:9], vcc, s[12:13]
	s_and_saveexec_b64 s[72:73], s[8:9]
	s_xor_b64 s[8:9], exec, s[72:73]
; %bb.24:                               ;   in Loop: Header=BB29_12 Depth=1
	v_add_u32_e32 v1, v230, v254
	v_add_u32_e32 v1, 0x80, v1
	ds_write2st64_b32 v1, v45, v45 offset0:16 offset1:17
                                        ; implicit-def: $vgpr1
; %bb.25:                               ;   in Loop: Header=BB29_12 Depth=1
	s_andn2_saveexec_b64 s[8:9], s[8:9]
	s_cbranch_execz .LBB29_27
; %bb.26:                               ;   in Loop: Header=BB29_12 Depth=1
	v_mad_u64_u32 v[2:3], s[72:73], v1, s55, v[80:81]
	v_ashrrev_i32_e32 v3, 31, v2
	v_lshl_add_u64 v[2:3], v[2:3], 3, v[142:143]
	global_load_dwordx2 v[4:5], v[2:3], off
	s_nop 0
	global_load_dwordx2 v[2:3], v[2:3], off offset:512
	s_waitcnt vmcnt(1)
	v_cvt_pk_f16_f32 v1, v4, v5
	s_waitcnt vmcnt(0)
	v_cvt_pk_f16_f32 v2, v2, v3
	v_pk_mul_f16 v1, v1, v81
	v_pk_mul_f16 v2, v2, v81
	ds_write2st64_b32 v225, v1, v2 offset1:1
.LBB29_27:                              ;   in Loop: Header=BB29_12 Depth=1
	s_or_b64 exec, exec, s[8:9]
	v_add_u32_e32 v1, v221, v216
	v_cmp_le_i32_e32 vcc, s36, v1
	s_or_b64 s[8:9], vcc, s[12:13]
	s_and_saveexec_b64 s[12:13], s[8:9]
	s_xor_b64 s[8:9], exec, s[12:13]
; %bb.28:                               ;   in Loop: Header=BB29_12 Depth=1
	v_add_u32_e32 v1, v230, v254
	v_add_u32_e32 v1, 0xc0, v1
	ds_write2st64_b32 v1, v45, v45 offset0:24 offset1:25
                                        ; implicit-def: $vgpr1
; %bb.29:                               ;   in Loop: Header=BB29_12 Depth=1
	s_andn2_saveexec_b64 s[8:9], s[8:9]
	s_cbranch_execz .LBB29_31
; %bb.30:                               ;   in Loop: Header=BB29_12 Depth=1
	v_mad_u64_u32 v[2:3], s[12:13], v1, s55, v[80:81]
	v_ashrrev_i32_e32 v3, 31, v2
	v_lshl_add_u64 v[2:3], v[2:3], 3, v[142:143]
	global_load_dwordx2 v[4:5], v[2:3], off
	s_nop 0
	global_load_dwordx2 v[2:3], v[2:3], off offset:512
	s_waitcnt vmcnt(1)
	v_cvt_pk_f16_f32 v1, v4, v5
	s_waitcnt vmcnt(0)
	v_cvt_pk_f16_f32 v2, v2, v3
	v_pk_mul_f16 v1, v1, v81
	v_pk_mul_f16 v2, v2, v81
	ds_write2st64_b32 v246, v1, v2 offset1:1
.LBB29_31:                              ;   in Loop: Header=BB29_12 Depth=1
	s_or_b64 exec, exec, s[8:9]
	s_waitcnt lgkmcnt(0)
	s_barrier
	ds_read2_b64 v[30:33], v172 offset1:4
	ds_read2_b64 v[26:29], v172 offset0:8 offset1:12
	ds_read2_b64 v[22:25], v172 offset0:16 offset1:20
	ds_read2_b64 v[18:21], v172 offset0:24 offset1:28
	ds_read2_b64 v[14:17], v172 offset0:32 offset1:36
	ds_read2_b64 v[10:13], v172 offset0:40 offset1:44
	ds_read2_b64 v[6:9], v172 offset0:48 offset1:52
	ds_read2_b64 v[2:5], v172 offset0:56 offset1:60
	v_add_u32_e32 v151, -1, v146
	v_cmp_ge_i32_e32 vcc, s70, v151
	s_waitcnt lgkmcnt(0)
	s_barrier
	s_cbranch_vccnz .LBB29_37
; %bb.32:                               ;   in Loop: Header=BB29_12 Depth=1
	v_add_u32_e32 v1, v216, v173
	v_mul_hi_u32 v34, s34, v1
	v_add_u32_e32 v34, v1, v34
	v_lshrrev_b32_e32 v34, s35, v34
	v_mul_lo_u32 v34, v34, s36
	v_sub_u32_e32 v1, v1, v34
	v_mad_i64_i32 v[34:35], s[8:9], v1, s44, 0
	v_lshl_add_u64 v[34:35], v[34:35], 1, v[130:131]
	v_lshlrev_b32_e32 v44, 1, v46
	v_and_b32_e32 v1, 64, v219
	v_lshl_add_u64 v[144:145], v[34:35], 0, v[44:45]
	v_add_u32_e32 v1, 64, v1
	v_xor_b32_e32 v34, 32, v219
	v_cmp_lt_i32_e32 vcc, v34, v1
	s_lshl_b32 s8, s70, 6
	v_mov_b32_e32 v154, 0
	v_cndmask_b32_e32 v34, v219, v34, vcc
	v_lshlrev_b32_e32 v152, 2, v34
	v_xor_b32_e32 v34, 16, v219
	v_cmp_lt_i32_e32 vcc, v34, v1
	v_mov_b32_e32 v39, 0xfeffffff
	v_mov_b32_e32 v193, 0
	v_cndmask_b32_e32 v1, v219, v34, vcc
	v_lshlrev_b32_e32 v153, 2, v1
	v_mov_b32_e32 v34, 0
	v_mov_b32_e32 v156, 0
	;; [unrolled: 1-line block ×31, first 2 shown]
	s_ashr_i32 s9, s8, 31
	s_and_saveexec_b64 s[12:13], s[4:5]
	s_cbranch_execz .LBB29_34
.LBB29_33:                              ;   in Loop: Header=BB29_12 Depth=1
	v_lshl_add_u64 v[86:87], s[8:9], 1, v[144:145]
	global_load_dword v44, v[86:87], off
	s_waitcnt vmcnt(0)
	ds_write_b32 v183, v44 offset:33792
.LBB29_34:                              ;   Parent Loop BB29_12 Depth=1
                                        ; =>  This Inner Loop Header: Depth=2
	s_or_b64 exec, exec, s[12:13]
	s_mul_hi_i32 s13, s8, s38
	s_mul_i32 s12, s8, s38
	s_lshl_b64 s[12:13], s[12:13], 2
	v_lshl_add_u64 v[86:87], v[128:129], 0, s[12:13]
	v_lshl_add_u64 v[88:89], v[48:49], 2, v[86:87]
	v_lshlrev_b32_e32 v44, 2, v42
	v_lshl_add_u64 v[88:89], v[88:89], 0, v[44:45]
	v_lshl_add_u64 v[90:91], v[50:51], 2, v[86:87]
	;; [unrolled: 1-line block ×9, first 2 shown]
	global_load_dwordx4 v[86:89], v[88:89], off
	v_lshl_add_u64 v[90:91], v[90:91], 0, v[44:45]
	v_lshl_add_u64 v[92:93], v[92:93], 0, v[44:45]
	;; [unrolled: 1-line block ×6, first 2 shown]
	v_add_u32_e32 v47, 0x8400, v176
	s_mul_hi_i32 s13, s8, s14
	s_mul_i32 s12, s8, s14
	s_lshl_b64 s[12:13], s[12:13], 2
	s_add_i32 s70, s70, 1
	s_add_i32 s8, s8, 64
	s_waitcnt vmcnt(0)
	ds_write_b128 v174, v[86:89]
	global_load_dwordx4 v[86:89], v[90:91], off
	s_waitcnt vmcnt(0)
	ds_write_b128 v247, v[86:89]
	global_load_dwordx4 v[86:89], v[92:93], off
	;; [unrolled: 3-line block ×7, first 2 shown]
	s_waitcnt vmcnt(0)
	ds_write_b128 v253, v[86:89]
	s_waitcnt lgkmcnt(0)
	s_barrier
	ds_read2_b64 v[86:89], v175 offset1:4
	s_waitcnt lgkmcnt(0)
	v_mfma_f32_16x16x16_f16 a[0:3], v[86:87], v[30:31], 0
	v_mfma_f32_16x16x16_f16 a[0:3], v[88:89], v[32:33], a[0:3]
	ds_read2_b64 v[86:89], v175 offset0:8 offset1:12
	s_waitcnt lgkmcnt(0)
	v_mfma_f32_16x16x16_f16 a[0:3], v[86:87], v[26:27], a[0:3]
	v_mfma_f32_16x16x16_f16 a[0:3], v[88:89], v[28:29], a[0:3]
	ds_read2_b64 v[86:89], v175 offset0:16 offset1:20
	s_waitcnt lgkmcnt(0)
	v_mfma_f32_16x16x16_f16 a[0:3], v[86:87], v[22:23], a[0:3]
	v_mfma_f32_16x16x16_f16 a[0:3], v[88:89], v[24:25], a[0:3]
	ds_read2_b64 v[86:89], v175 offset0:24 offset1:28
	s_waitcnt lgkmcnt(0)
	v_mfma_f32_16x16x16_f16 a[0:3], v[86:87], v[18:19], a[0:3]
	v_mfma_f32_16x16x16_f16 a[0:3], v[88:89], v[20:21], a[0:3]
	ds_read2_b64 v[86:89], v175 offset0:32 offset1:36
	s_waitcnt lgkmcnt(0)
	v_mfma_f32_16x16x16_f16 a[0:3], v[86:87], v[14:15], a[0:3]
	v_mfma_f32_16x16x16_f16 a[0:3], v[88:89], v[16:17], a[0:3]
	ds_read2_b64 v[86:89], v175 offset0:40 offset1:44
	s_waitcnt lgkmcnt(0)
	v_mfma_f32_16x16x16_f16 a[0:3], v[86:87], v[10:11], a[0:3]
	v_mfma_f32_16x16x16_f16 a[0:3], v[88:89], v[12:13], a[0:3]
	ds_read2_b64 v[86:89], v175 offset0:48 offset1:52
	s_waitcnt lgkmcnt(0)
	v_mfma_f32_16x16x16_f16 a[0:3], v[86:87], v[6:7], a[0:3]
	v_mfma_f32_16x16x16_f16 a[0:3], v[88:89], v[8:9], a[0:3]
	ds_read2_b64 v[86:89], v175 offset0:56 offset1:60
	s_waitcnt lgkmcnt(0)
	s_barrier
	v_mfma_f32_16x16x16_f16 a[0:3], v[86:87], v[2:3], a[0:3]
	ds_read2_b32 v[86:87], v47 offset1:1
	s_waitcnt lgkmcnt(0)
	v_cvt_f32_f16_e32 v47, v86
	v_mfma_f32_16x16x16_f16 a[0:3], v[88:89], v[4:5], a[0:3]
	v_cvt_f32_f16_sdwa v86, v86 dst_sel:DWORD dst_unused:UNUSED_PAD src0_sel:WORD_1
	s_nop 6
	v_accvgpr_read_b32 v88, a0
	v_add_f32_e32 v47, v88, v47
	v_accvgpr_read_b32 v88, a1
	v_add_f32_e32 v88, v88, v86
	v_cvt_f32_f16_e32 v86, v87
	v_cvt_f32_f16_sdwa v87, v87 dst_sel:DWORD dst_unused:UNUSED_PAD src0_sel:WORD_1
	v_accvgpr_read_b32 v89, a2
	v_add_f32_e32 v89, v89, v86
	v_accvgpr_read_b32 v86, a3
	v_add_f32_e32 v90, v86, v87
	v_add_f32_e32 v86, 0x40051340, v47
	;; [unrolled: 1-line block ×3, first 2 shown]
	v_max3_f32 v86, v39, v86, v87
	v_add_f32_e32 v87, 0x40051340, v89
	v_add_f32_e32 v91, 0x40051340, v90
	v_max3_f32 v86, v86, v87, v91
	ds_bpermute_b32 v87, v152, v86
	s_waitcnt lgkmcnt(0)
	v_max_f32_e32 v87, v87, v87
	v_max_f32_e32 v86, v86, v87
	ds_bpermute_b32 v87, v153, v86
	s_waitcnt lgkmcnt(0)
	v_max_f32_e32 v87, v87, v87
	v_max_f32_e32 v149, v86, v87
	v_sub_f32_e32 v47, v47, v149
	v_mul_f32_e32 v86, 0x3fb8aa3b, v47
	v_fma_f32 v87, v47, s45, -v86
	v_rndne_f32_e32 v91, v86
	v_fmac_f32_e32 v87, 0x32a5705f, v47
	v_sub_f32_e32 v86, v86, v91
	v_add_f32_e32 v86, v86, v87
	v_exp_f32_e32 v86, v86
	v_cvt_i32_f32_e32 v87, v91
	v_cmp_ngt_f32_e32 vcc, s63, v47
	v_sub_f32_e32 v39, v39, v149
	v_ldexp_f32 v86, v86, v87
	v_cndmask_b32_e32 v86, 0, v86, vcc
	v_cmp_nlt_f32_e32 vcc, s89, v47
	v_sub_f32_e32 v47, v88, v149
	v_mul_f32_e32 v87, 0x3fb8aa3b, v47
	v_fma_f32 v88, v47, s45, -v87
	v_rndne_f32_e32 v91, v87
	v_fmac_f32_e32 v88, 0x32a5705f, v47
	v_sub_f32_e32 v87, v87, v91
	v_add_f32_e32 v87, v87, v88
	v_exp_f32_e32 v87, v87
	v_cvt_i32_f32_e32 v88, v91
	v_cndmask_b32_e32 v86, v244, v86, vcc
	v_cmp_ngt_f32_e32 vcc, s63, v47
	v_ldexp_f32 v87, v87, v88
	v_sub_f32_e32 v88, v89, v149
	v_mul_f32_e32 v89, 0x3fb8aa3b, v88
	v_fma_f32 v91, v88, s45, -v89
	v_rndne_f32_e32 v92, v89
	v_fmac_f32_e32 v91, 0x32a5705f, v88
	v_sub_f32_e32 v89, v89, v92
	v_add_f32_e32 v89, v89, v91
	v_exp_f32_e32 v89, v89
	v_cvt_i32_f32_e32 v91, v92
	v_cndmask_b32_e32 v87, 0, v87, vcc
	v_cmp_nlt_f32_e32 vcc, s89, v47
	v_ldexp_f32 v89, v89, v91
	s_nop 0
	v_cndmask_b32_e32 v87, v244, v87, vcc
	v_cmp_ngt_f32_e32 vcc, s63, v88
	v_add_f32_e32 v47, v86, v87
	s_nop 0
	v_cndmask_b32_e32 v89, 0, v89, vcc
	v_cmp_nlt_f32_e32 vcc, s89, v88
	v_sub_f32_e32 v88, v90, v149
	s_nop 0
	v_cndmask_b32_e32 v169, v244, v89, vcc
	v_mul_f32_e32 v89, 0x3fb8aa3b, v88
	v_fma_f32 v90, v88, s45, -v89
	v_rndne_f32_e32 v91, v89
	v_fmac_f32_e32 v90, 0x32a5705f, v88
	v_sub_f32_e32 v89, v89, v91
	v_add_f32_e32 v89, v89, v90
	v_exp_f32_e32 v89, v89
	v_cvt_i32_f32_e32 v90, v91
	v_cmp_ngt_f32_e32 vcc, s63, v88
	v_add_f32_e32 v47, v169, v47
	v_ldexp_f32 v89, v89, v90
	v_cndmask_b32_e32 v89, 0, v89, vcc
	v_cmp_nlt_f32_e32 vcc, s89, v88
	s_nop 1
	v_cndmask_b32_e32 v171, v244, v89, vcc
	v_add_f32_e32 v150, v171, v47
	v_mul_f32_e32 v47, 0x3fb8aa3b, v39
	v_fma_f32 v88, v39, s45, -v47
	v_rndne_f32_e32 v89, v47
	v_fmac_f32_e32 v88, 0x32a5705f, v39
	v_sub_f32_e32 v47, v47, v89
	v_add_f32_e32 v47, v47, v88
	v_exp_f32_e32 v47, v47
	v_cvt_i32_f32_e32 v88, v89
	v_cmp_ngt_f32_e32 vcc, s63, v39
	v_ldexp_f32 v47, v47, v88
	s_nop 0
	v_cndmask_b32_e32 v47, 0, v47, vcc
	v_cmp_nlt_f32_e32 vcc, s89, v39
	s_nop 1
	v_cndmask_b32_e32 v47, v244, v47, vcc
	v_cmp_le_f32_e32 vcc, s90, v39
	s_nop 1
	v_cndmask_b32_e32 v39, 0, v47, vcc
	v_fmac_f32_e32 v150, v34, v39
	v_cvt_f16_f32_e32 v34, v39
	v_cmp_lt_i32_e32 vcc, s70, v151
	s_and_b64 vcc, exec, vcc
	v_mul_u32_u24_e32 v34, 0x10001, v34
	v_pk_mul_f16 v195, v37, v34
	v_pk_mul_f16 v191, v36, v34
	;; [unrolled: 1-line block ×32, first 2 shown]
	v_lshl_add_u64 v[34:35], v[126:127], 0, s[12:13]
	v_lshl_add_u64 v[36:37], v[64:65], 2, v[34:35]
	;; [unrolled: 1-line block ×11, first 2 shown]
	global_load_dwordx4 v[34:37], v[36:37], off
	v_lshl_add_u64 v[88:89], v[88:89], 0, v[44:45]
	v_lshl_add_u64 v[90:91], v[90:91], 0, v[44:45]
	;; [unrolled: 1-line block ×6, first 2 shown]
	v_cvt_f32_f16_e32 v104, v158
	v_cvt_f32_f16_sdwa v105, v158 dst_sel:DWORD dst_unused:UNUSED_PAD src0_sel:WORD_1
	s_waitcnt vmcnt(0)
	ds_write_b128 v174, v[34:37]
	global_load_dwordx4 v[34:37], v[88:89], off
	v_cvt_f32_f16_e32 v89, v191
	v_accvgpr_write_b32 a2, v89
	s_waitcnt vmcnt(0)
	ds_write_b128 v247, v[34:37]
	global_load_dwordx4 v[34:37], v[90:91], off
	v_cvt_f32_f16_sdwa v90, v191 dst_sel:DWORD dst_unused:UNUSED_PAD src0_sel:WORD_1
	v_cvt_f32_f16_sdwa v91, v197 dst_sel:DWORD dst_unused:UNUSED_PAD src0_sel:WORD_1
	v_accvgpr_write_b32 a3, v90
	v_cvt_f32_f16_e32 v90, v47
	v_cvt_f32_f16_sdwa v47, v47 dst_sel:DWORD dst_unused:UNUSED_PAD src0_sel:WORD_1
	s_waitcnt vmcnt(0)
	ds_write_b128 v248, v[34:37]
	global_load_dwordx4 v[34:37], v[92:93], off
	v_cvt_f32_f16_e32 v92, v199
	v_cvt_f32_f16_sdwa v93, v199 dst_sel:DWORD dst_unused:UNUSED_PAD src0_sel:WORD_1
	s_waitcnt vmcnt(0)
	ds_write_b128 v249, v[34:37]
	global_load_dwordx4 v[34:37], v[94:95], off
	;; [unrolled: 5-line block ×5, first 2 shown]
	v_cvt_f32_f16_e32 v100, v160
	v_cvt_f32_f16_sdwa v101, v160 dst_sel:DWORD dst_unused:UNUSED_PAD src0_sel:WORD_1
	s_waitcnt vmcnt(0)
	ds_write_b128 v253, v[34:37]
	s_waitcnt lgkmcnt(0)
	s_barrier
	v_cvt_pk_f16_f32 v34, v86, v87
	ds_read_u16 v36, v177 offset:528
	ds_read_u16 v37, v177 offset:1056
	ds_read_u16 v44, v178
	ds_read_u16 v86, v178 offset:32
	v_cvt_f32_f16_sdwa v87, v195 dst_sel:DWORD dst_unused:UNUSED_PAD src0_sel:WORD_1
	v_cvt_pk_f16_f32 v35, v169, v171
	s_waitcnt lgkmcnt(1)
	v_perm_b32 v37, v44, v37, s91
	ds_read_u16 v44, v177
	ds_read_u16 v88, v177 offset:32
	v_accvgpr_write_b32 a1, v87
	ds_read_u16 v89, v177 offset:560
	ds_read_u16 v87, v177 offset:1088
	s_waitcnt lgkmcnt(3)
	v_perm_b32 v36, v36, v44, s91
	v_cvt_f32_f16_e32 v44, v195
	s_waitcnt lgkmcnt(0)
	v_perm_b32 v87, v86, v87, s91
	v_perm_b32 v86, v89, v88, s91
	v_accvgpr_write_b32 a0, v44
	v_cvt_f32_f16_e32 v88, v170
	v_cvt_f32_f16_sdwa v89, v170 dst_sel:DWORD dst_unused:UNUSED_PAD src0_sel:WORD_1
	v_mfma_f32_16x16x16_f16 a[0:3], v[36:37], v[34:35], a[0:3]
	s_nop 7
	v_accvgpr_read_b32 v36, a0
	v_accvgpr_read_b32 v37, a1
	;; [unrolled: 1-line block ×4, first 2 shown]
	v_accvgpr_write_b32 a0, v88
	v_accvgpr_write_b32 a1, v89
	;; [unrolled: 1-line block ×4, first 2 shown]
	v_cvt_f32_f16_sdwa v89, v204 dst_sel:DWORD dst_unused:UNUSED_PAD src0_sel:WORD_1
	v_cvt_f32_f16_e32 v90, v197
	v_mfma_f32_16x16x16_f16 a[0:3], v[86:87], v[34:35], a[0:3]
	ds_read_u16 v47, v177 offset:64
	ds_read_u16 v86, v177 offset:592
	ds_read_u16 v87, v177 offset:1120
	ds_read_u16 v88, v178 offset:64
	v_cvt_pk_f16_f32 v37, v36, v37
	v_cvt_pk_f16_f32 v36, v44, v169
	s_waitcnt lgkmcnt(2)
	v_perm_b32 v86, v86, v47, s91
	v_cvt_f32_f16_e32 v47, v39
	s_waitcnt lgkmcnt(0)
	v_perm_b32 v87, v88, v87, s91
	v_cvt_f32_f16_sdwa v39, v39 dst_sel:DWORD dst_unused:UNUSED_PAD src0_sel:WORD_1
	v_cvt_f32_f16_e32 v88, v1
	v_cvt_f32_f16_sdwa v1, v1 dst_sel:DWORD dst_unused:UNUSED_PAD src0_sel:WORD_1
	v_accvgpr_read_b32 v208, a0
	v_accvgpr_read_b32 v210, a1
	;; [unrolled: 1-line block ×4, first 2 shown]
	v_accvgpr_write_b32 a0, v47
	v_accvgpr_write_b32 a1, v39
	;; [unrolled: 1-line block ×4, first 2 shown]
	v_cvt_f32_f16_sdwa v88, v166 dst_sel:DWORD dst_unused:UNUSED_PAD src0_sel:WORD_1
	s_nop 0
	v_mfma_f32_16x16x16_f16 a[0:3], v[86:87], v[34:35], a[0:3]
	ds_read_u16 v1, v177 offset:96
	ds_read_u16 v39, v177 offset:624
	;; [unrolled: 1-line block ×4, first 2 shown]
	s_waitcnt lgkmcnt(0)
	v_perm_b32 v87, v86, v47, s91
	v_perm_b32 v86, v39, v1, s91
	v_cvt_f32_f16_e32 v1, v167
	v_cvt_f32_f16_sdwa v39, v167 dst_sel:DWORD dst_unused:UNUSED_PAD src0_sel:WORD_1
	v_cvt_f32_f16_e32 v47, v166
	v_accvgpr_read_b32 v212, a0
	v_accvgpr_read_b32 v214, a1
	;; [unrolled: 1-line block ×4, first 2 shown]
	v_accvgpr_write_b32 a0, v1
	v_accvgpr_write_b32 a1, v39
	;; [unrolled: 1-line block ×4, first 2 shown]
	v_cvt_f32_f16_sdwa v88, v194 dst_sel:DWORD dst_unused:UNUSED_PAD src0_sel:WORD_1
	s_nop 0
	v_mfma_f32_16x16x16_f16 a[0:3], v[86:87], v[34:35], a[0:3]
	ds_read_u16 v1, v177 offset:128
	ds_read_u16 v39, v177 offset:656
	;; [unrolled: 1-line block ×4, first 2 shown]
	s_waitcnt lgkmcnt(0)
	v_perm_b32 v87, v86, v47, s91
	v_perm_b32 v86, v39, v1, s91
	v_cvt_f32_f16_e32 v1, v207
	v_cvt_f32_f16_sdwa v39, v207 dst_sel:DWORD dst_unused:UNUSED_PAD src0_sel:WORD_1
	v_cvt_f32_f16_e32 v47, v194
	v_accvgpr_read_b32 v218, a0
	v_accvgpr_read_b32 v220, a1
	;; [unrolled: 1-line block ×4, first 2 shown]
	v_accvgpr_write_b32 a0, v1
	v_accvgpr_write_b32 a1, v39
	;; [unrolled: 1-line block ×4, first 2 shown]
	v_cvt_f32_f16_e32 v88, v204
	s_nop 0
	v_mfma_f32_16x16x16_f16 a[0:3], v[86:87], v[34:35], a[0:3]
	ds_read_u16 v39, v177 offset:160
	ds_read_u16 v47, v177 offset:688
	;; [unrolled: 1-line block ×4, first 2 shown]
	s_waitcnt lgkmcnt(0)
	v_perm_b32 v87, v87, v86, s91
	v_perm_b32 v86, v47, v39, s91
	v_cvt_f32_f16_e32 v39, v201
	v_cvt_f32_f16_sdwa v47, v201 dst_sel:DWORD dst_unused:UNUSED_PAD src0_sel:WORD_1
	v_accvgpr_read_b32 v166, a0
	v_accvgpr_read_b32 v167, a1
	;; [unrolled: 1-line block ×4, first 2 shown]
	v_accvgpr_write_b32 a0, v39
	v_accvgpr_write_b32 a1, v47
	;; [unrolled: 1-line block ×4, first 2 shown]
	s_nop 1
	v_mfma_f32_16x16x16_f16 a[0:3], v[86:87], v[34:35], a[0:3]
	ds_read_u16 v86, v177 offset:192
	ds_read_u16 v88, v177 offset:720
	;; [unrolled: 1-line block ×4, first 2 shown]
	s_waitcnt lgkmcnt(2)
	v_perm_b32 v86, v88, v86, s91
	v_cvt_f32_f16_e32 v88, v209
	s_waitcnt lgkmcnt(0)
	v_perm_b32 v87, v89, v87, s91
	v_cvt_f32_f16_sdwa v89, v209 dst_sel:DWORD dst_unused:UNUSED_PAD src0_sel:WORD_1
	v_accvgpr_read_b32 v39, a0
	v_accvgpr_read_b32 v47, a1
	;; [unrolled: 1-line block ×4, first 2 shown]
	v_accvgpr_write_b32 a0, v88
	v_accvgpr_write_b32 a1, v89
	;; [unrolled: 1-line block ×4, first 2 shown]
	v_cvt_f32_f16_e32 v90, v200
	v_cvt_f32_f16_sdwa v91, v200 dst_sel:DWORD dst_unused:UNUSED_PAD src0_sel:WORD_1
	v_mfma_f32_16x16x16_f16 a[0:3], v[86:87], v[34:35], a[0:3]
	ds_read_u16 v86, v177 offset:224
	ds_read_u16 v88, v177 offset:752
	;; [unrolled: 1-line block ×4, first 2 shown]
	s_waitcnt lgkmcnt(2)
	v_perm_b32 v86, v88, v86, s91
	v_cvt_f32_f16_e32 v88, v206
	s_waitcnt lgkmcnt(0)
	v_perm_b32 v87, v89, v87, s91
	v_cvt_f32_f16_sdwa v89, v206 dst_sel:DWORD dst_unused:UNUSED_PAD src0_sel:WORD_1
	v_accvgpr_read_b32 v171, a0
	v_accvgpr_read_b32 v195, a1
	;; [unrolled: 1-line block ×4, first 2 shown]
	v_accvgpr_write_b32 a0, v88
	v_accvgpr_write_b32 a1, v89
	;; [unrolled: 1-line block ×4, first 2 shown]
	ds_read_u16 v88, v177 offset:256
	ds_read_u16 v90, v177 offset:784
	;; [unrolled: 1-line block ×4, first 2 shown]
	v_mfma_f32_16x16x16_f16 a[0:3], v[86:87], v[34:35], a[0:3]
	v_cvt_pk_f16_f32 v196, v196, v197
	s_waitcnt lgkmcnt(2)
	v_perm_b32 v88, v90, v88, s91
	v_cvt_f32_f16_e32 v90, v203
	s_waitcnt lgkmcnt(0)
	v_perm_b32 v89, v91, v89, s91
	v_cvt_f32_f16_sdwa v91, v203 dst_sel:DWORD dst_unused:UNUSED_PAD src0_sel:WORD_1
	v_cvt_pk_f16_f32 v197, v191, v194
	v_cvt_pk_f16_f32 v194, v212, v214
	v_accvgpr_read_b32 v86, a0
	v_accvgpr_read_b32 v87, a1
	;; [unrolled: 1-line block ×4, first 2 shown]
	v_accvgpr_write_b32 a0, v90
	v_accvgpr_write_b32 a1, v91
	;; [unrolled: 1-line block ×4, first 2 shown]
	ds_read_u16 v90, v177 offset:288
	ds_read_u16 v92, v177 offset:816
	;; [unrolled: 1-line block ×4, first 2 shown]
	v_mfma_f32_16x16x16_f16 a[0:3], v[88:89], v[34:35], a[0:3]
	s_waitcnt lgkmcnt(2)
	v_perm_b32 v90, v92, v90, s91
	v_cvt_f32_f16_e32 v92, v205
	s_waitcnt lgkmcnt(0)
	v_perm_b32 v91, v93, v91, s91
	v_cvt_f32_f16_sdwa v93, v205 dst_sel:DWORD dst_unused:UNUSED_PAD src0_sel:WORD_1
	s_nop 1
	v_accvgpr_read_b32 v88, a0
	v_accvgpr_read_b32 v89, a1
	;; [unrolled: 1-line block ×4, first 2 shown]
	v_accvgpr_write_b32 a0, v92
	v_accvgpr_write_b32 a1, v93
	;; [unrolled: 1-line block ×4, first 2 shown]
	ds_read_u16 v92, v177 offset:320
	ds_read_u16 v94, v177 offset:848
	;; [unrolled: 1-line block ×4, first 2 shown]
	v_mfma_f32_16x16x16_f16 a[0:3], v[90:91], v[34:35], a[0:3]
	v_cvt_pk_f16_f32 v199, v199, v200
	s_waitcnt lgkmcnt(2)
	v_perm_b32 v92, v94, v92, s91
	v_cvt_f32_f16_e32 v94, v165
	s_waitcnt lgkmcnt(0)
	v_perm_b32 v93, v95, v93, s91
	v_cvt_f32_f16_sdwa v95, v165 dst_sel:DWORD dst_unused:UNUSED_PAD src0_sel:WORD_1
	v_cvt_pk_f16_f32 v200, v86, v87
	v_accvgpr_read_b32 v90, a0
	v_accvgpr_read_b32 v91, a1
	;; [unrolled: 1-line block ×4, first 2 shown]
	v_accvgpr_write_b32 a0, v94
	v_accvgpr_write_b32 a1, v95
	;; [unrolled: 1-line block ×4, first 2 shown]
	ds_read_u16 v94, v177 offset:352
	ds_read_u16 v96, v177 offset:880
	;; [unrolled: 1-line block ×4, first 2 shown]
	v_mfma_f32_16x16x16_f16 a[0:3], v[92:93], v[34:35], a[0:3]
	v_cvt_pk_f16_f32 v205, v90, v91
	s_waitcnt lgkmcnt(2)
	v_perm_b32 v94, v96, v94, s91
	v_cvt_f32_f16_e32 v96, v163
	s_waitcnt lgkmcnt(0)
	v_perm_b32 v95, v97, v95, s91
	v_cvt_f32_f16_sdwa v97, v163 dst_sel:DWORD dst_unused:UNUSED_PAD src0_sel:WORD_1
	v_cvt_pk_f16_f32 v202, v202, v203
	v_cvt_pk_f16_f32 v203, v88, v89
	v_accvgpr_read_b32 v92, a0
	v_accvgpr_read_b32 v93, a1
	;; [unrolled: 1-line block ×4, first 2 shown]
	v_accvgpr_write_b32 a0, v96
	v_accvgpr_write_b32 a1, v97
	;; [unrolled: 1-line block ×4, first 2 shown]
	ds_read_u16 v96, v177 offset:384
	ds_read_u16 v98, v177 offset:912
	;; [unrolled: 1-line block ×4, first 2 shown]
	v_mfma_f32_16x16x16_f16 a[0:3], v[94:95], v[34:35], a[0:3]
	v_cvt_pk_f16_f32 v229, v92, v93
	s_waitcnt lgkmcnt(2)
	v_perm_b32 v96, v98, v96, s91
	v_cvt_f32_f16_e32 v98, v161
	s_waitcnt lgkmcnt(0)
	v_perm_b32 v97, v99, v97, s91
	v_cvt_f32_f16_sdwa v99, v161 dst_sel:DWORD dst_unused:UNUSED_PAD src0_sel:WORD_1
	v_cvt_pk_f16_f32 v164, v164, v165
	v_cvt_pk_f16_f32 v165, v171, v195
	v_accvgpr_read_b32 v94, a0
	v_accvgpr_read_b32 v95, a1
	;; [unrolled: 1-line block ×4, first 2 shown]
	v_accvgpr_write_b32 a0, v98
	v_accvgpr_write_b32 a1, v99
	;; [unrolled: 1-line block ×4, first 2 shown]
	v_cvt_pk_f16_f32 v163, v94, v95
	v_cvt_pk_f16_f32 v162, v162, v204
	v_mfma_f32_16x16x16_f16 a[0:3], v[96:97], v[34:35], a[0:3]
	ds_read_u16 v96, v177 offset:416
	ds_read_u16 v102, v177 offset:944
	;; [unrolled: 1-line block ×4, first 2 shown]
	s_waitcnt lgkmcnt(2)
	v_perm_b32 v96, v102, v96, s91
	v_cvt_f32_f16_e32 v102, v159
	s_waitcnt lgkmcnt(0)
	v_perm_b32 v97, v103, v97, s91
	v_cvt_f32_f16_sdwa v103, v159 dst_sel:DWORD dst_unused:UNUSED_PAD src0_sel:WORD_1
	v_accvgpr_read_b32 v98, a0
	v_accvgpr_read_b32 v99, a1
	;; [unrolled: 1-line block ×4, first 2 shown]
	v_accvgpr_write_b32 a0, v102
	v_accvgpr_write_b32 a1, v103
	v_accvgpr_write_b32 a2, v104
	v_accvgpr_write_b32 a3, v105
	v_cvt_pk_f16_f32 v226, v98, v99
	s_nop 0
	v_mfma_f32_16x16x16_f16 a[0:3], v[96:97], v[34:35], a[0:3]
	ds_read_u16 v96, v177 offset:448
	ds_read_u16 v158, v177 offset:976
	ds_read_u16 v97, v177 offset:1504
	ds_read_u16 v159, v178 offset:448
	s_waitcnt lgkmcnt(2)
	v_perm_b32 v96, v158, v96, s91
	v_cvt_f32_f16_e32 v158, v157
	s_waitcnt lgkmcnt(0)
	v_perm_b32 v97, v159, v97, s91
	v_cvt_f32_f16_sdwa v157, v157 dst_sel:DWORD dst_unused:UNUSED_PAD src0_sel:WORD_1
	v_cvt_f32_f16_e32 v159, v156
	v_cvt_f32_f16_sdwa v156, v156 dst_sel:DWORD dst_unused:UNUSED_PAD src0_sel:WORD_1
	v_accvgpr_read_b32 v102, a0
	v_accvgpr_read_b32 v103, a1
	v_accvgpr_read_b32 v104, a2
	v_accvgpr_read_b32 v105, a3
	v_accvgpr_write_b32 a0, v158
	v_accvgpr_write_b32 a1, v157
	;; [unrolled: 1-line block ×4, first 2 shown]
	s_nop 1
	v_mfma_f32_16x16x16_f16 a[0:3], v[96:97], v[34:35], a[0:3]
	ds_read_u16 v96, v177 offset:480
	ds_read_u16 v160, v177 offset:1008
	;; [unrolled: 1-line block ×4, first 2 shown]
	s_waitcnt lgkmcnt(0)
	s_barrier
	v_perm_b32 v96, v160, v96, s91
	v_cvt_f32_f16_e32 v160, v155
	v_perm_b32 v97, v161, v97, s91
	v_cvt_f32_f16_sdwa v155, v155 dst_sel:DWORD dst_unused:UNUSED_PAD src0_sel:WORD_1
	v_cvt_f32_f16_e32 v161, v154
	v_cvt_f32_f16_sdwa v154, v154 dst_sel:DWORD dst_unused:UNUSED_PAD src0_sel:WORD_1
	v_accvgpr_read_b32 v156, a0
	v_accvgpr_read_b32 v157, a1
	v_accvgpr_read_b32 v158, a2
	v_accvgpr_read_b32 v159, a3
	v_accvgpr_write_b32 a0, v160
	v_accvgpr_write_b32 a1, v155
	;; [unrolled: 1-line block ×4, first 2 shown]
	v_cvt_pk_f16_f32 v156, v156, v157
	v_cvt_pk_f16_f32 v155, v158, v159
	v_mfma_f32_16x16x16_f16 a[0:3], v[96:97], v[34:35], a[0:3]
	v_cvt_pk_f16_f32 v159, v102, v103
	v_cvt_pk_f16_f32 v158, v104, v105
	;; [unrolled: 1-line block ×8, first 2 shown]
	v_accvgpr_read_b32 v34, a0
	v_accvgpr_read_b32 v35, a1
	;; [unrolled: 1-line block ×4, first 2 shown]
	v_cvt_pk_f16_f32 v154, v34, v35
	v_cvt_pk_f16_f32 v193, v96, v97
	;; [unrolled: 1-line block ×6, first 2 shown]
	s_cbranch_vccz .LBB29_38
; %bb.35:                               ;   in Loop: Header=BB29_34 Depth=2
	v_mov_b32_e32 v34, v150
	v_mov_b32_e32 v39, v149
	s_ashr_i32 s9, s8, 31
	s_and_saveexec_b64 s[12:13], s[4:5]
	s_cbranch_execnz .LBB29_33
	s_branch .LBB29_34
.LBB29_36:                              ;   in Loop: Header=BB29_12 Depth=1
	s_cbranch_execz .LBB29_11
	s_branch .LBB29_129
.LBB29_37:                              ;   in Loop: Header=BB29_12 Depth=1
	v_mov_b32_e32 v149, 0xfeffffff
	v_mov_b32_e32 v150, 0
	;; [unrolled: 1-line block ×34, first 2 shown]
.LBB29_38:                              ;   in Loop: Header=BB29_12 Depth=1
	s_lshl_b32 s8, s70, 6
	s_ashr_i32 s9, s8, 31
	s_and_saveexec_b64 s[12:13], s[4:5]
	s_cbranch_execz .LBB29_40
; %bb.39:                               ;   in Loop: Header=BB29_12 Depth=1
	v_or_b32_e32 v34, v216, v173
	v_mul_hi_u32 v39, s34, v34
	v_add_u32_e32 v39, v34, v39
	v_lshrrev_b32_e32 v39, s35, v39
	v_mul_lo_u32 v39, v39, s36
	s_lshl_b64 s[70:71], s[8:9], 1
	v_sub_u32_e32 v34, v34, v39
	v_lshl_add_u64 v[86:87], v[130:131], 0, s[70:71]
	v_mad_i64_i32 v[88:89], s[70:71], v34, s44, 0
	v_lshl_add_u64 v[86:87], v[88:89], 1, v[86:87]
	v_lshlrev_b32_e32 v44, 1, v46
	v_lshl_add_u64 v[86:87], v[86:87], 0, v[44:45]
	global_load_dword v34, v[86:87], off
	s_waitcnt vmcnt(0)
	ds_write_b32 v183, v34 offset:33792
.LBB29_40:                              ;   in Loop: Header=BB29_12 Depth=1
	s_or_b64 exec, exec, s[12:13]
	s_mul_hi_i32 s13, s8, s38
	s_mul_i32 s12, s8, s38
	s_lshl_b64 s[12:13], s[12:13], 2
	v_lshl_add_u64 v[86:87], v[128:129], 0, s[12:13]
	v_lshl_add_u64 v[88:89], v[48:49], 2, v[86:87]
	v_lshlrev_b32_e32 v44, 2, v42
	v_lshl_add_u64 v[88:89], v[88:89], 0, v[44:45]
	v_lshl_add_u64 v[90:91], v[50:51], 2, v[86:87]
	;; [unrolled: 1-line block ×9, first 2 shown]
	global_load_dwordx4 v[86:89], v[88:89], off
	v_lshl_add_u64 v[90:91], v[90:91], 0, v[44:45]
	v_lshl_add_u64 v[92:93], v[92:93], 0, v[44:45]
	;; [unrolled: 1-line block ×6, first 2 shown]
	s_mul_hi_i32 s9, s8, s14
	s_mul_i32 s8, s8, s14
	s_lshl_b64 s[8:9], s[8:9], 2
	s_waitcnt vmcnt(0)
	ds_write_b128 v174, v[86:89]
	global_load_dwordx4 v[86:89], v[90:91], off
	s_waitcnt vmcnt(0)
	ds_write_b128 v247, v[86:89]
	global_load_dwordx4 v[86:89], v[92:93], off
	;; [unrolled: 3-line block ×7, first 2 shown]
	s_waitcnt vmcnt(0)
	ds_write_b128 v253, v[86:89]
	s_waitcnt lgkmcnt(0)
	s_barrier
	ds_read2_b64 v[86:89], v175 offset1:4
	s_waitcnt lgkmcnt(0)
	v_mfma_f32_16x16x16_f16 a[0:3], v[86:87], v[30:31], 0
	v_mfma_f32_16x16x16_f16 a[0:3], v[88:89], v[32:33], a[0:3]
	ds_read2_b64 v[30:33], v175 offset0:8 offset1:12
	s_waitcnt lgkmcnt(0)
	v_mfma_f32_16x16x16_f16 a[0:3], v[30:31], v[26:27], a[0:3]
	v_mfma_f32_16x16x16_f16 a[0:3], v[32:33], v[28:29], a[0:3]
	ds_read2_b64 v[26:29], v175 offset0:16 offset1:20
	;; [unrolled: 4-line block ×7, first 2 shown]
	s_waitcnt lgkmcnt(0)
	s_barrier
	v_mfma_f32_16x16x16_f16 a[0:3], v[6:7], v[2:3], a[0:3]
	v_add_u32_e32 v2, 0x8400, v176
	ds_read2_b32 v[2:3], v2 offset1:1
	v_mfma_f32_16x16x16_f16 a[0:3], v[8:9], v[4:5], a[0:3]
	s_waitcnt lgkmcnt(0)
	v_cvt_f32_f16_e32 v4, v2
	v_cvt_f32_f16_sdwa v2, v2 dst_sel:DWORD dst_unused:UNUSED_PAD src0_sel:WORD_1
	s_nop 4
	v_accvgpr_read_b32 v5, a0
	v_add_f32_e32 v4, v5, v4
	v_accvgpr_read_b32 v5, a1
	v_add_f32_e32 v2, v5, v2
	v_cvt_f32_f16_e32 v5, v3
	v_cvt_f32_f16_sdwa v3, v3 dst_sel:DWORD dst_unused:UNUSED_PAD src0_sel:WORD_1
	v_accvgpr_read_b32 v6, a2
	v_add_f32_e32 v7, 0x40051340, v2
	v_add_f32_e32 v5, v6, v5
	v_accvgpr_read_b32 v6, a3
	v_add_f32_e32 v3, v6, v3
	v_add_f32_e32 v6, 0x40051340, v4
	v_max3_f32 v6, v149, v6, v7
	v_add_f32_e32 v7, 0x40051340, v5
	v_add_f32_e32 v8, 0x40051340, v3
	v_max3_f32 v6, v6, v7, v8
	v_and_b32_e32 v7, 64, v219
	v_add_u32_e32 v7, 64, v7
	v_xor_b32_e32 v8, 32, v219
	v_cmp_lt_i32_e32 vcc, v8, v7
	s_nop 1
	v_cndmask_b32_e32 v8, v219, v8, vcc
	v_lshlrev_b32_e32 v8, 2, v8
	ds_bpermute_b32 v9, v8, v6
	s_waitcnt lgkmcnt(0)
	v_max_f32_e32 v9, v9, v9
	v_max_f32_e32 v6, v6, v9
	v_xor_b32_e32 v9, 16, v219
	v_cmp_lt_i32_e32 vcc, v9, v7
	s_nop 1
	v_cndmask_b32_e32 v7, v219, v9, vcc
	v_lshlrev_b32_e32 v9, 2, v7
	ds_bpermute_b32 v7, v9, v6
	s_waitcnt lgkmcnt(0)
	v_max_f32_e32 v7, v7, v7
	v_max_f32_e32 v6, v6, v7
	v_sub_f32_e32 v4, v4, v6
	v_mul_f32_e32 v7, 0x3fb8aa3b, v4
	v_fma_f32 v10, v4, s45, -v7
	v_rndne_f32_e32 v11, v7
	v_fmac_f32_e32 v10, 0x32a5705f, v4
	v_sub_f32_e32 v7, v7, v11
	v_add_f32_e32 v7, v7, v10
	v_exp_f32_e32 v7, v7
	v_cvt_i32_f32_e32 v10, v11
	v_cmp_ngt_f32_e32 vcc, s63, v4
	v_sub_f32_e32 v2, v2, v6
	v_sub_f32_e32 v3, v3, v6
	v_ldexp_f32 v7, v7, v10
	v_cndmask_b32_e32 v7, 0, v7, vcc
	v_cmp_nlt_f32_e32 vcc, s89, v4
	v_mul_f32_e32 v4, 0x3fb8aa3b, v2
	v_rndne_f32_e32 v10, v4
	v_cndmask_b32_e32 v12, v244, v7, vcc
	v_fma_f32 v7, v2, s45, -v4
	v_fmac_f32_e32 v7, 0x32a5705f, v2
	v_sub_f32_e32 v4, v4, v10
	v_add_f32_e32 v4, v4, v7
	v_exp_f32_e32 v4, v4
	v_cvt_i32_f32_e32 v7, v10
	v_cmp_ngt_f32_e32 vcc, s63, v2
	v_ldexp_f32 v4, v4, v7
	s_nop 0
	v_cndmask_b32_e32 v4, 0, v4, vcc
	v_cmp_nlt_f32_e32 vcc, s89, v2
	s_nop 1
	v_cndmask_b32_e32 v33, v244, v4, vcc
	v_sub_f32_e32 v4, v5, v6
	v_mul_f32_e32 v5, 0x3fb8aa3b, v4
	v_fma_f32 v7, v4, s45, -v5
	v_rndne_f32_e32 v10, v5
	v_fmac_f32_e32 v7, 0x32a5705f, v4
	v_sub_f32_e32 v5, v5, v10
	v_add_f32_e32 v5, v5, v7
	v_exp_f32_e32 v5, v5
	v_cvt_i32_f32_e32 v7, v10
	v_cmp_ngt_f32_e32 vcc, s63, v4
	v_add_f32_e32 v2, v12, v33
	v_ldexp_f32 v5, v5, v7
	v_cndmask_b32_e32 v5, 0, v5, vcc
	v_cmp_nlt_f32_e32 vcc, s89, v4
	v_mul_f32_e32 v4, 0x3fb8aa3b, v3
	v_rndne_f32_e32 v7, v4
	v_cndmask_b32_e32 v34, v244, v5, vcc
	v_fma_f32 v5, v3, s45, -v4
	v_fmac_f32_e32 v5, 0x32a5705f, v3
	v_sub_f32_e32 v4, v4, v7
	v_add_f32_e32 v4, v4, v5
	v_exp_f32_e32 v4, v4
	v_cvt_i32_f32_e32 v5, v7
	v_cmp_ngt_f32_e32 vcc, s63, v3
	v_add_f32_e32 v2, v34, v2
	v_ldexp_f32 v4, v4, v5
	v_cndmask_b32_e32 v4, 0, v4, vcc
	v_cmp_nlt_f32_e32 vcc, s89, v3
	s_nop 1
	v_cndmask_b32_e32 v39, v244, v4, vcc
	v_add_f32_e32 v7, v39, v2
	v_sub_f32_e32 v2, v149, v6
	v_mul_f32_e32 v3, 0x3fb8aa3b, v2
	v_fma_f32 v4, v2, s45, -v3
	v_rndne_f32_e32 v5, v3
	v_fmac_f32_e32 v4, 0x32a5705f, v2
	v_sub_f32_e32 v3, v3, v5
	v_add_f32_e32 v3, v3, v4
	v_exp_f32_e32 v3, v3
	v_cvt_i32_f32_e32 v4, v5
	v_cmp_ngt_f32_e32 vcc, s63, v2
	v_ldexp_f32 v3, v3, v4
	s_nop 0
	v_cndmask_b32_e32 v3, 0, v3, vcc
	v_cmp_nlt_f32_e32 vcc, s89, v2
	s_nop 1
	v_cndmask_b32_e32 v3, v244, v3, vcc
	v_cmp_le_f32_e32 vcc, s90, v2
	s_nop 1
	v_cndmask_b32_e32 v2, 0, v3, vcc
	v_fmac_f32_e32 v7, v150, v2
	v_cvt_f16_f32_e32 v2, v2
	v_cmp_ne_u64_e32 vcc, 0, v[124:125]
	s_and_b64 s[12:13], s[0:1], vcc
	v_mul_u32_u24_e32 v2, 0x10001, v2
	v_pk_mul_f16 v86, v37, v2
	v_pk_mul_f16 v47, v36, v2
	;; [unrolled: 1-line block ×32, first 2 shown]
	v_lshl_add_u64 v[2:3], v[126:127], 0, s[8:9]
	v_lshl_add_u64 v[4:5], v[64:65], 2, v[2:3]
	;; [unrolled: 1-line block ×11, first 2 shown]
	global_load_dwordx4 v[2:5], v[4:5], off
	v_lshl_add_u64 v[88:89], v[88:89], 0, v[44:45]
	v_lshl_add_u64 v[90:91], v[90:91], 0, v[44:45]
	v_lshl_add_u64 v[92:93], v[92:93], 0, v[44:45]
	v_lshl_add_u64 v[94:95], v[94:95], 0, v[44:45]
	v_lshl_add_u64 v[96:97], v[96:97], 0, v[44:45]
	v_lshl_add_u64 v[98:99], v[98:99], 0, v[44:45]
	s_waitcnt vmcnt(0)
	ds_write_b128 v174, v[2:5]
	global_load_dwordx4 v[2:5], v[88:89], off
	s_waitcnt vmcnt(0)
	ds_write_b128 v247, v[2:5]
	global_load_dwordx4 v[2:5], v[90:91], off
	;; [unrolled: 3-line block ×7, first 2 shown]
	s_waitcnt vmcnt(0)
	ds_write_b128 v253, v[2:5]
	s_waitcnt lgkmcnt(0)
	s_barrier
	v_cvt_pk_f16_f32 v3, v34, v39
	v_cvt_pk_f16_f32 v2, v12, v33
	ds_read_u16 v4, v177 offset:528
	ds_read_u16 v5, v177 offset:1056
	ds_read_u16 v12, v178
	ds_read_u16 v39, v178 offset:32
	v_cvt_f32_f16_sdwa v33, v86 dst_sel:DWORD dst_unused:UNUSED_PAD src0_sel:WORD_1
	v_cvt_f32_f16_e32 v34, v47
	v_cvt_f32_f16_sdwa v47, v47 dst_sel:DWORD dst_unused:UNUSED_PAD src0_sel:WORD_1
	s_waitcnt lgkmcnt(1)
	v_perm_b32 v5, v12, v5, s91
	ds_read_u16 v12, v177
	ds_read_u16 v44, v177 offset:32
	v_accvgpr_write_b32 a1, v33
	v_accvgpr_write_b32 a2, v34
	;; [unrolled: 1-line block ×3, first 2 shown]
	s_waitcnt lgkmcnt(1)
	v_perm_b32 v4, v4, v12, s91
	v_cvt_f32_f16_e32 v12, v86
	v_accvgpr_write_b32 a0, v12
	s_nop 1
	v_mfma_f32_16x16x16_f16 a[0:3], v[4:5], v[2:3], a[0:3]
	s_nop 7
	v_accvgpr_read_b32 v12, a2
	v_accvgpr_read_b32 v47, a3
	v_cvt_f16_f32_e32 v12, v12
	v_cvt_f16_f32_e32 v47, v47
	v_accvgpr_read_b32 v4, a0
	v_accvgpr_read_b32 v5, a1
	v_cvt_f16_f32_e32 v33, v4
	v_perm_b32 v12, v47, v12, s91
	ds_read_u16 v47, v177 offset:560
	ds_read_u16 v86, v177 offset:1088
	v_cvt_f16_f32_e32 v34, v5
	s_waitcnt lgkmcnt(0)
	v_perm_b32 v87, v39, v86, s91
	v_perm_b32 v86, v47, v44, s91
	v_cvt_f32_f16_e32 v39, v37
	v_cvt_f32_f16_sdwa v37, v37 dst_sel:DWORD dst_unused:UNUSED_PAD src0_sel:WORD_1
	v_cvt_f32_f16_e32 v44, v13
	v_cvt_f32_f16_sdwa v13, v13 dst_sel:DWORD dst_unused:UNUSED_PAD src0_sel:WORD_1
	v_accvgpr_write_b32 a0, v39
	v_accvgpr_write_b32 a1, v37
	v_accvgpr_write_b32 a2, v44
	v_accvgpr_write_b32 a3, v13
	v_perm_b32 v33, v34, v33, s91
	s_nop 0
	v_mfma_f32_16x16x16_f16 a[0:3], v[86:87], v[2:3], a[0:3]
	s_nop 7
	v_accvgpr_read_b32 v13, a2
	v_accvgpr_read_b32 v39, a3
	v_cvt_f16_f32_e32 v13, v13
	v_cvt_f16_f32_e32 v39, v39
	v_accvgpr_read_b32 v37, a0
	v_accvgpr_read_b32 v44, a1
	v_cvt_f16_f32_e32 v144, v37
	v_perm_b32 v13, v39, v13, s91
	ds_read_u16 v39, v177 offset:64
	ds_read_u16 v47, v177 offset:592
	ds_read_u16 v86, v177 offset:1120
	ds_read_u16 v87, v178 offset:64
	v_cvt_f16_f32_e32 v145, v44
	s_waitcnt lgkmcnt(0)
	v_perm_b32 v87, v87, v86, s91
	v_perm_b32 v86, v47, v39, s91
	v_cvt_f32_f16_e32 v39, v14
	v_cvt_f32_f16_sdwa v14, v14 dst_sel:DWORD dst_unused:UNUSED_PAD src0_sel:WORD_1
	v_cvt_f32_f16_e32 v47, v1
	v_cvt_f32_f16_sdwa v1, v1 dst_sel:DWORD dst_unused:UNUSED_PAD src0_sel:WORD_1
	v_accvgpr_write_b32 a0, v39
	v_accvgpr_write_b32 a1, v14
	v_accvgpr_write_b32 a2, v47
	v_accvgpr_write_b32 a3, v1
	v_perm_b32 v144, v145, v144, s91
	s_nop 0
	v_mfma_f32_16x16x16_f16 a[0:3], v[86:87], v[2:3], a[0:3]
	s_nop 7
	v_accvgpr_read_b32 v1, a2
	v_accvgpr_read_b32 v14, a3
	v_cvt_f16_f32_e32 v1, v1
	v_cvt_f16_f32_e32 v14, v14
	v_accvgpr_read_b32 v149, a0
	v_accvgpr_read_b32 v150, a1
	v_cvt_f16_f32_e32 v151, v149
	v_perm_b32 v14, v14, v1, s91
	ds_read_u16 v1, v177 offset:96
	ds_read_u16 v39, v177 offset:624
	;; [unrolled: 28-line block ×5, first 2 shown]
	ds_read_u16 v47, v177 offset:1248
	ds_read_u16 v86, v178 offset:192
	v_cvt_f16_f32_e32 v164, v162
	s_waitcnt lgkmcnt(0)
	v_perm_b32 v87, v86, v47, s91
	v_perm_b32 v86, v39, v1, s91
	v_cvt_f32_f16_e32 v1, v165
	v_cvt_f32_f16_sdwa v39, v165 dst_sel:DWORD dst_unused:UNUSED_PAD src0_sel:WORD_1
	v_cvt_f32_f16_e32 v47, v26
	v_cvt_f32_f16_sdwa v26, v26 dst_sel:DWORD dst_unused:UNUSED_PAD src0_sel:WORD_1
	v_accvgpr_write_b32 a0, v1
	v_accvgpr_write_b32 a1, v39
	v_accvgpr_write_b32 a2, v47
	v_accvgpr_write_b32 a3, v26
	s_nop 1
	v_mfma_f32_16x16x16_f16 a[0:3], v[86:87], v[2:3], a[0:3]
	s_nop 7
	v_accvgpr_read_b32 v1, a2
	v_accvgpr_read_b32 v26, a3
	v_cvt_f16_f32_e32 v1, v1
	v_cvt_f16_f32_e32 v26, v26
	v_accvgpr_read_b32 v165, a0
	v_accvgpr_read_b32 v169, a1
	v_cvt_f16_f32_e32 v197, v165
	v_perm_b32 v26, v26, v1, s91
	ds_read_u16 v1, v177 offset:224
	ds_read_u16 v39, v177 offset:752
	;; [unrolled: 1-line block ×4, first 2 shown]
	v_cvt_f16_f32_e32 v199, v169
	s_waitcnt lgkmcnt(0)
	v_perm_b32 v87, v86, v47, s91
	v_perm_b32 v86, v39, v1, s91
	v_cvt_f32_f16_e32 v1, v36
	v_cvt_f32_f16_sdwa v36, v36 dst_sel:DWORD dst_unused:UNUSED_PAD src0_sel:WORD_1
	v_cvt_f32_f16_e32 v39, v35
	v_cvt_f32_f16_sdwa v35, v35 dst_sel:DWORD dst_unused:UNUSED_PAD src0_sel:WORD_1
	v_accvgpr_write_b32 a0, v1
	v_accvgpr_write_b32 a1, v36
	;; [unrolled: 1-line block ×4, first 2 shown]
	s_nop 1
	v_mfma_f32_16x16x16_f16 a[0:3], v[86:87], v[2:3], a[0:3]
	s_nop 7
	v_accvgpr_read_b32 v1, a2
	v_accvgpr_read_b32 v35, a3
	v_cvt_f16_f32_e32 v1, v1
	v_cvt_f16_f32_e32 v35, v35
	v_accvgpr_read_b32 v36, a0
	v_accvgpr_read_b32 v39, a1
	v_cvt_f16_f32_e32 v86, v36
	v_perm_b32 v35, v35, v1, s91
	ds_read_u16 v1, v177 offset:256
	ds_read_u16 v47, v177 offset:784
	;; [unrolled: 1-line block ×4, first 2 shown]
	v_cvt_f16_f32_e32 v87, v39
	s_waitcnt lgkmcnt(0)
	v_perm_b32 v89, v89, v88, s91
	v_perm_b32 v88, v47, v1, s91
	v_cvt_f32_f16_e32 v1, v32
	v_cvt_f32_f16_sdwa v32, v32 dst_sel:DWORD dst_unused:UNUSED_PAD src0_sel:WORD_1
	v_cvt_f32_f16_e32 v47, v31
	v_cvt_f32_f16_sdwa v31, v31 dst_sel:DWORD dst_unused:UNUSED_PAD src0_sel:WORD_1
	v_accvgpr_write_b32 a0, v1
	v_accvgpr_write_b32 a1, v32
	;; [unrolled: 1-line block ×4, first 2 shown]
	v_perm_b32 v86, v87, v86, s91
	v_perm_b32 v87, v199, v197, s91
	v_mfma_f32_16x16x16_f16 a[0:3], v[88:89], v[2:3], a[0:3]
	s_nop 7
	v_accvgpr_read_b32 v1, a2
	v_accvgpr_read_b32 v31, a3
	v_cvt_f16_f32_e32 v1, v1
	v_cvt_f16_f32_e32 v31, v31
	v_accvgpr_read_b32 v32, a0
	v_accvgpr_read_b32 v47, a1
	v_cvt_f16_f32_e32 v166, v32
	v_perm_b32 v31, v31, v1, s91
	ds_read_u16 v1, v177 offset:288
	ds_read_u16 v88, v177 offset:816
	ds_read_u16 v89, v177 offset:1344
	ds_read_u16 v90, v178 offset:288
	v_cvt_f16_f32_e32 v167, v47
	s_waitcnt lgkmcnt(2)
	v_perm_b32 v88, v88, v1, s91
	v_cvt_f32_f16_e32 v1, v30
	s_waitcnt lgkmcnt(0)
	v_perm_b32 v89, v90, v89, s91
	v_cvt_f32_f16_sdwa v30, v30 dst_sel:DWORD dst_unused:UNUSED_PAD src0_sel:WORD_1
	v_cvt_f32_f16_e32 v90, v29
	v_cvt_f32_f16_sdwa v29, v29 dst_sel:DWORD dst_unused:UNUSED_PAD src0_sel:WORD_1
	v_accvgpr_write_b32 a0, v1
	v_accvgpr_write_b32 a1, v30
	v_accvgpr_write_b32 a2, v90
	v_accvgpr_write_b32 a3, v29
	s_nop 1
	v_mfma_f32_16x16x16_f16 a[0:3], v[88:89], v[2:3], a[0:3]
	s_nop 7
	v_accvgpr_read_b32 v1, a2
	v_accvgpr_read_b32 v29, a3
	v_cvt_f16_f32_e32 v1, v1
	v_cvt_f16_f32_e32 v29, v29
	v_accvgpr_read_b32 v30, a0
	v_accvgpr_read_b32 v170, a1
	v_cvt_f16_f32_e32 v171, v30
	v_perm_b32 v29, v29, v1, s91
	ds_read_u16 v1, v177 offset:320
	ds_read_u16 v88, v177 offset:848
	ds_read_u16 v89, v177 offset:1376
	ds_read_u16 v90, v178 offset:320
	v_cvt_f16_f32_e32 v191, v170
	s_waitcnt lgkmcnt(2)
	v_perm_b32 v88, v88, v1, s91
	v_cvt_f32_f16_e32 v1, v28
	s_waitcnt lgkmcnt(0)
	v_perm_b32 v89, v90, v89, s91
	v_cvt_f32_f16_sdwa v28, v28 dst_sel:DWORD dst_unused:UNUSED_PAD src0_sel:WORD_1
	v_cvt_f32_f16_e32 v90, v27
	v_cvt_f32_f16_sdwa v27, v27 dst_sel:DWORD dst_unused:UNUSED_PAD src0_sel:WORD_1
	v_accvgpr_write_b32 a0, v1
	v_accvgpr_write_b32 a1, v28
	v_accvgpr_write_b32 a2, v90
	v_accvgpr_write_b32 a3, v27
	s_nop 1
	;; [unrolled: 28-line block ×3, first 2 shown]
	v_mfma_f32_16x16x16_f16 a[0:3], v[88:89], v[2:3], a[0:3]
	s_nop 7
	v_accvgpr_read_b32 v1, a2
	v_accvgpr_read_b32 v24, a3
	v_cvt_f16_f32_e32 v1, v1
	v_cvt_f16_f32_e32 v24, v24
	v_accvgpr_read_b32 v25, a0
	v_accvgpr_read_b32 v195, a1
	v_cvt_f16_f32_e32 v88, v25
	v_perm_b32 v24, v24, v1, s91
	ds_read_u16 v1, v177 offset:384
	ds_read_u16 v90, v177 offset:912
	;; [unrolled: 1-line block ×4, first 2 shown]
	v_cvt_f16_f32_e32 v89, v195
	s_waitcnt lgkmcnt(2)
	v_perm_b32 v90, v90, v1, s91
	v_cvt_f32_f16_e32 v1, v22
	s_waitcnt lgkmcnt(0)
	v_perm_b32 v91, v92, v91, s91
	v_cvt_f32_f16_sdwa v22, v22 dst_sel:DWORD dst_unused:UNUSED_PAD src0_sel:WORD_1
	v_cvt_f32_f16_e32 v92, v21
	v_cvt_f32_f16_sdwa v21, v21 dst_sel:DWORD dst_unused:UNUSED_PAD src0_sel:WORD_1
	v_accvgpr_write_b32 a0, v1
	v_accvgpr_write_b32 a1, v22
	;; [unrolled: 1-line block ×4, first 2 shown]
	v_perm_b32 v88, v89, v88, s91
	v_perm_b32 v89, v194, v193, s91
	v_mfma_f32_16x16x16_f16 a[0:3], v[90:91], v[2:3], a[0:3]
	s_nop 7
	v_accvgpr_read_b32 v1, a2
	v_accvgpr_read_b32 v21, a3
	v_cvt_f16_f32_e32 v1, v1
	v_cvt_f16_f32_e32 v21, v21
	v_accvgpr_read_b32 v22, a0
	v_accvgpr_read_b32 v90, a1
	v_cvt_f16_f32_e32 v91, v22
	v_perm_b32 v21, v21, v1, s91
	ds_read_u16 v1, v177 offset:416
	ds_read_u16 v93, v177 offset:944
	;; [unrolled: 1-line block ×4, first 2 shown]
	v_cvt_f16_f32_e32 v92, v90
	s_waitcnt lgkmcnt(0)
	v_perm_b32 v95, v95, v94, s91
	v_perm_b32 v94, v93, v1, s91
	v_cvt_f32_f16_e32 v1, v19
	v_cvt_f32_f16_sdwa v19, v19 dst_sel:DWORD dst_unused:UNUSED_PAD src0_sel:WORD_1
	v_cvt_f32_f16_e32 v93, v18
	v_cvt_f32_f16_sdwa v18, v18 dst_sel:DWORD dst_unused:UNUSED_PAD src0_sel:WORD_1
	v_accvgpr_write_b32 a0, v1
	v_accvgpr_write_b32 a1, v19
	;; [unrolled: 1-line block ×4, first 2 shown]
	v_perm_b32 v91, v92, v91, s91
	v_perm_b32 v92, v191, v171, s91
	v_mfma_f32_16x16x16_f16 a[0:3], v[94:95], v[2:3], a[0:3]
	s_nop 7
	v_accvgpr_read_b32 v1, a2
	v_accvgpr_read_b32 v18, a3
	v_cvt_f16_f32_e32 v1, v1
	v_cvt_f16_f32_e32 v18, v18
	v_accvgpr_read_b32 v19, a0
	v_accvgpr_read_b32 v93, a1
	v_cvt_f16_f32_e32 v94, v19
	v_perm_b32 v18, v18, v1, s91
	ds_read_u16 v1, v177 offset:448
	ds_read_u16 v96, v177 offset:976
	;; [unrolled: 1-line block ×4, first 2 shown]
	v_cvt_f16_f32_e32 v95, v93
	s_waitcnt lgkmcnt(2)
	v_perm_b32 v96, v96, v1, s91
	v_cvt_f32_f16_e32 v1, v16
	s_waitcnt lgkmcnt(0)
	v_perm_b32 v97, v98, v97, s91
	v_cvt_f32_f16_sdwa v16, v16 dst_sel:DWORD dst_unused:UNUSED_PAD src0_sel:WORD_1
	v_cvt_f32_f16_e32 v98, v15
	v_cvt_f32_f16_sdwa v15, v15 dst_sel:DWORD dst_unused:UNUSED_PAD src0_sel:WORD_1
	v_accvgpr_write_b32 a0, v1
	v_accvgpr_write_b32 a1, v16
	v_accvgpr_write_b32 a2, v98
	v_accvgpr_write_b32 a3, v15
	v_perm_b32 v94, v95, v94, s91
	v_perm_b32 v95, v167, v166, s91
	v_mfma_f32_16x16x16_f16 a[0:3], v[96:97], v[2:3], a[0:3]
	s_nop 7
	v_accvgpr_read_b32 v1, a2
	v_accvgpr_read_b32 v96, a3
	v_cvt_f16_f32_e32 v1, v1
	v_cvt_f16_f32_e32 v96, v96
	v_accvgpr_read_b32 v15, a0
	v_accvgpr_read_b32 v16, a1
	v_cvt_f16_f32_e32 v98, v15
	v_perm_b32 v1, v96, v1, s91
	ds_read_u16 v96, v177 offset:480
	ds_read_u16 v100, v177 offset:1008
	;; [unrolled: 1-line block ×4, first 2 shown]
	v_cvt_f16_f32_e32 v99, v16
	s_waitcnt lgkmcnt(0)
	v_perm_b32 v96, v100, v96, s91
	v_cvt_f32_f16_e32 v100, v11
	v_perm_b32 v97, v101, v97, s91
	v_cvt_f32_f16_sdwa v11, v11 dst_sel:DWORD dst_unused:UNUSED_PAD src0_sel:WORD_1
	v_cvt_f32_f16_e32 v101, v10
	v_cvt_f32_f16_sdwa v10, v10 dst_sel:DWORD dst_unused:UNUSED_PAD src0_sel:WORD_1
	v_accvgpr_write_b32 a0, v100
	v_accvgpr_write_b32 a1, v11
	v_accvgpr_write_b32 a2, v101
	v_accvgpr_write_b32 a3, v10
	s_barrier
	s_nop 0
	v_mfma_f32_16x16x16_f16 a[0:3], v[96:97], v[2:3], a[0:3]
	s_nop 7
	v_accvgpr_read_b32 v10, a2
	v_accvgpr_read_b32 v97, a3
	v_cvt_f16_f32_e32 v10, v10
	v_cvt_f16_f32_e32 v97, v97
	v_accvgpr_read_b32 v2, a0
	v_accvgpr_read_b32 v3, a1
	v_cvt_f16_f32_e32 v11, v2
	v_perm_b32 v10, v97, v10, s91
	ds_bpermute_b32 v97, v8, v7
	v_cvt_f16_f32_e32 v96, v3
	s_waitcnt lgkmcnt(0)
	v_add_f32_e32 v7, v7, v97
	ds_bpermute_b32 v97, v9, v7
	v_perm_b32 v11, v96, v11, s91
	v_perm_b32 v96, v99, v98, s91
	s_waitcnt lgkmcnt(0)
	v_add_f32_e32 v7, v7, v97
	v_perm_b32 v97, v164, v163, s91
	s_and_saveexec_b64 s[8:9], s[12:13]
	s_cbranch_execz .LBB29_42
; %bb.41:                               ;   in Loop: Header=BB29_12 Depth=1
	v_cvt_pk_f16_f32 v3, v2, v3
	v_lshlrev_b32_e32 v2, 2, v84
	v_readfirstlane_b32 s12, v124
	v_readfirstlane_b32 s13, v125
	v_cvt_pk_f16_f32 v15, v15, v16
	v_max_f32_e32 v33, v6, v6
	v_cvt_pk_f16_f32 v36, v36, v39
	v_cvt_pk_f16_f32 v32, v32, v47
	;; [unrolled: 1-line block ×3, first 2 shown]
	global_load_dword v16, v2, s[12:13]
	v_cvt_pk_f16_f32 v4, v4, v5
	v_cvt_pk_f16_f32 v5, v37, v44
	;; [unrolled: 1-line block ×11, first 2 shown]
	s_waitcnt vmcnt(0)
	v_max_f32_e32 v2, v16, v16
	v_max_f32_e32 v2, v33, v2
	v_sub_f32_e32 v6, v6, v2
	v_mul_f32_e32 v33, 0x3fb8aa3b, v6
	v_fma_f32 v39, v6, s45, -v33
	v_rndne_f32_e32 v47, v33
	v_fmac_f32_e32 v39, 0x32a5705f, v6
	v_sub_f32_e32 v33, v33, v47
	v_add_f32_e32 v33, v33, v39
	v_exp_f32_e32 v33, v33
	v_cvt_i32_f32_e32 v39, v47
	v_cmp_ngt_f32_e32 vcc, s63, v6
	v_sub_f32_e32 v16, v16, v2
	v_ldexp_f32 v33, v33, v39
	v_cndmask_b32_e32 v33, 0, v33, vcc
	v_cmp_nlt_f32_e32 vcc, s89, v6
	s_nop 1
	v_cndmask_b32_e32 v33, v244, v33, vcc
	v_cmp_le_f32_e32 vcc, s90, v6
	s_nop 1
	v_cndmask_b32_e32 v6, 0, v33, vcc
	v_cvt_f16_f32_e32 v33, v6
	v_cmp_ngt_f32_e32 vcc, s63, v16
	v_mul_u32_u24_e32 v39, 0x10001, v33
	v_pk_mul_f16 v151, v11, v39
	v_pk_mul_f16 v11, v3, v39
	v_mul_f32_e32 v3, 0x3fb8aa3b, v16
	v_pk_mul_f16 v33, v4, v39
	v_pk_mul_f16 v144, v5, v39
	v_fma_f32 v4, v16, s45, -v3
	v_rndne_f32_e32 v5, v3
	v_fmac_f32_e32 v4, 0x32a5705f, v16
	v_sub_f32_e32 v3, v3, v5
	v_add_f32_e32 v3, v3, v4
	v_exp_f32_e32 v3, v3
	v_cvt_i32_f32_e32 v4, v5
	v_pk_mul_f16 v12, v12, v39
	v_pk_mul_f16 v13, v13, v39
	;; [unrolled: 1-line block ×3, first 2 shown]
	v_ldexp_f32 v3, v3, v4
	v_cndmask_b32_e32 v3, 0, v3, vcc
	v_cmp_nlt_f32_e32 vcc, s89, v16
	v_pk_mul_f16 v155, v34, v39
	v_pk_mul_f16 v17, v17, v39
	v_cndmask_b32_e32 v3, v244, v3, vcc
	v_fmac_f32_e32 v3, v7, v6
	v_pk_mul_f16 v159, v37, v39
	v_pk_mul_f16 v20, v20, v39
	;; [unrolled: 1-line block ×23, first 2 shown]
	v_mov_b64_e32 v[6:7], v[2:3]
.LBB29_42:                              ;   in Loop: Header=BB29_12 Depth=1
	s_or_b64 exec, exec, s[8:9]
	s_and_saveexec_b64 s[8:9], s[6:7]
; %bb.43:                               ;   in Loop: Header=BB29_12 Depth=1
	v_add_u32_e32 v2, 0, v184
	ds_write2_b32 v2, v6, v7 offset0:128 offset1:129
; %bb.44:                               ;   in Loop: Header=BB29_12 Depth=1
	s_or_b64 exec, exec, s[8:9]
	s_waitcnt lgkmcnt(0)
	s_barrier
	s_and_saveexec_b64 s[8:9], s[10:11]
	s_xor_b64 s[8:9], exec, s[8:9]
	s_cbranch_execz .LBB29_46
; %bb.45:                               ;   in Loop: Header=BB29_12 Depth=1
	s_barrier
                                        ; implicit-def: $vgpr8
                                        ; implicit-def: $vgpr9
.LBB29_46:                              ;   in Loop: Header=BB29_12 Depth=1
	s_andn2_saveexec_b64 s[8:9], s[8:9]
	s_cbranch_execz .LBB29_50
; %bb.47:                               ;   in Loop: Header=BB29_12 Depth=1
	v_add_u32_e32 v3, 0, v184
	ds_read_b64 v[4:5], v3 offset:512
	s_waitcnt lgkmcnt(0)
	s_barrier
	ds_bpermute_b32 v2, v8, v4
	v_max_f32_e32 v6, v4, v4
	s_waitcnt lgkmcnt(0)
	v_max_f32_e32 v2, v2, v2
	v_max_f32_e32 v2, v6, v2
	ds_bpermute_b32 v6, v9, v2
	s_waitcnt lgkmcnt(0)
	v_max_f32_e32 v6, v6, v6
	v_max_f32_e32 v2, v2, v6
	v_sub_f32_e32 v4, v4, v2
	v_mul_f32_e32 v6, 0x3fb8aa3b, v4
	v_fma_f32 v7, v4, s45, -v6
	v_rndne_f32_e32 v15, v6
	v_fmac_f32_e32 v7, 0x32a5705f, v4
	v_sub_f32_e32 v6, v6, v15
	v_add_f32_e32 v6, v6, v7
	v_cvt_i32_f32_e32 v15, v15
	v_exp_f32_e32 v6, v6
	v_cmp_ngt_f32_e32 vcc, s63, v4
	v_ldexp_f32 v6, v6, v15
	s_nop 0
	v_cndmask_b32_e32 v6, 0, v6, vcc
	v_cmp_nlt_f32_e32 vcc, s89, v4
	s_nop 1
	v_cndmask_b32_e32 v4, v244, v6, vcc
	v_mul_f32_e32 v6, v5, v4
	ds_bpermute_b32 v6, v8, v6
	s_waitcnt lgkmcnt(0)
	v_fmac_f32_e32 v6, v5, v4
	ds_bpermute_b32 v5, v9, v6
	s_waitcnt lgkmcnt(0)
	v_add_f32_e32 v5, v6, v5
	ds_write_b64 v3, v[4:5] offset:512
	s_and_saveexec_b64 s[12:13], s[6:7]
	s_cbranch_execz .LBB29_49
; %bb.48:                               ;   in Loop: Header=BB29_12 Depth=1
	v_mov_b32_e32 v3, v5
	v_accvgpr_read_b32 v4, a64
	v_accvgpr_read_b32 v5, a65
	global_store_dwordx2 v[4:5], v[2:3], off
.LBB29_49:                              ;   in Loop: Header=BB29_12 Depth=1
	s_or_b64 exec, exec, s[12:13]
.LBB29_50:                              ;   in Loop: Header=BB29_12 Depth=1
	s_or_b64 exec, exec, s[8:9]
	v_add_u32_e32 v2, v185, v186
	ds_write2_b32 v2, v33, v12 offset1:1
	ds_write2_b32 v2, v144, v13 offset0:8 offset1:9
	ds_write2_b32 v2, v151, v14 offset0:16 offset1:17
	;; [unrolled: 1-line block ×15, first 2 shown]
	s_waitcnt lgkmcnt(0)
	s_barrier
	s_and_saveexec_b64 s[70:71], s[0:1]
	s_cbranch_execz .LBB29_128
; %bb.51:                               ;   in Loop: Header=BB29_12 Depth=1
	v_add_u32_e32 v2, v222, v216
	v_or_b32_e32 v1, v245, v43
	v_cmp_gt_i32_e64 s[8:9], s36, v2
	v_cmp_gt_i32_e32 vcc, s3, v1
	s_and_b64 s[12:13], s[8:9], vcc
	v_mov_b32_e32 v1, 0x47
	s_and_saveexec_b64 s[8:9], s[12:13]
	s_cbranch_execz .LBB29_53
; %bb.52:                               ;   in Loop: Header=BB29_12 Depth=1
	ds_read2st64_b32 v[4:5], v187 offset0:2 offset1:35
	ds_read2st64_b32 v[6:7], v231 offset1:1
	ds_read2st64_b32 v[8:9], v187 offset0:68 offset1:101
	ds_read2st64_b32 v[10:11], v231 offset0:33 offset1:34
	;; [unrolled: 1-line block ×4, first 2 shown]
	s_waitcnt lgkmcnt(4)
	v_cvt_f32_f16_sdwa v17, v6 dst_sel:DWORD dst_unused:UNUSED_PAD src0_sel:WORD_1
	v_cvt_f32_f16_e32 v16, v6
	s_waitcnt lgkmcnt(2)
	v_cvt_f32_f16_sdwa v21, v10 dst_sel:DWORD dst_unused:UNUSED_PAD src0_sel:WORD_1
	v_cvt_f32_f16_e32 v20, v10
	;; [unrolled: 3-line block ×3, first 2 shown]
	v_mul_lo_u32 v1, v2, s37
	s_waitcnt lgkmcnt(0)
	v_cvt_f32_f16_sdwa v25, v14 dst_sel:DWORD dst_unused:UNUSED_PAD src0_sel:WORD_1
	v_cvt_f32_f16_e32 v24, v14
	v_add_lshl_u32 v2, v1, v245, 7
	v_pk_fma_f32 v[16:17], v[4:5], v[16:17], 0 op_sel_hi:[0,1,0]
	v_mov_b32_e32 v6, v5
	v_add_u32_e32 v18, v40, v2
	v_pk_fma_f32 v[16:17], v[6:7], v[20:21], v[16:17] op_sel_hi:[0,1,1]
	v_ashrrev_i32_e32 v19, 31, v18
	v_pk_fma_f32 v[16:17], v[8:9], v[22:23], v[16:17] op_sel_hi:[0,1,1]
	v_mov_b32_e32 v10, v9
	v_lshl_add_u64 v[18:19], v[18:19], 3, v[122:123]
	v_pk_fma_f32 v[16:17], v[10:11], v[24:25], v[16:17] op_sel_hi:[0,1,1]
	global_store_dwordx2 v[18:19], v[16:17], off
	v_cvt_f32_f16_sdwa v17, v7 dst_sel:DWORD dst_unused:UNUSED_PAD src0_sel:WORD_1
	v_cvt_f32_f16_e32 v16, v7
	v_cvt_f32_f16_sdwa v19, v11 dst_sel:DWORD dst_unused:UNUSED_PAD src0_sel:WORD_1
	v_cvt_f32_f16_e32 v18, v11
	;; [unrolled: 2-line block ×4, first 2 shown]
	v_pk_fma_f32 v[4:5], v[4:5], v[16:17], 0 op_sel_hi:[0,1,0]
	v_ashrrev_i32_e32 v3, 31, v2
	v_pk_fma_f32 v[4:5], v[6:7], v[18:19], v[4:5] op_sel_hi:[0,1,1]
	v_lshl_add_u64 v[2:3], v[40:41], 0, v[2:3]
	v_pk_fma_f32 v[4:5], v[8:9], v[20:21], v[4:5] op_sel_hi:[0,1,1]
	v_lshl_add_u64 v[2:3], v[2:3], 3, v[122:123]
	v_pk_fma_f32 v[4:5], v[10:11], v[12:13], v[4:5] op_sel_hi:[0,1,1]
	v_mov_b32_e32 v1, 0
	global_store_dwordx2 v[2:3], v[4:5], off offset:512
.LBB29_53:                              ;   in Loop: Header=BB29_12 Depth=1
	s_or_b64 exec, exec, s[8:9]
	v_cmp_gt_i32_e64 s[8:9], s92, v1
	s_mov_b64 s[12:13], -1
	s_and_saveexec_b64 s[72:73], s[8:9]
; %bb.54:                               ;   in Loop: Header=BB29_12 Depth=1
	v_cmp_eq_u32_e64 s[8:9], 0, v1
	s_orn2_b64 s[12:13], s[8:9], exec
; %bb.55:                               ;   in Loop: Header=BB29_12 Depth=1
	s_or_b64 exec, exec, s[72:73]
	s_and_b64 exec, exec, s[12:13]
	s_cbranch_execz .LBB29_128
; %bb.56:                               ;   in Loop: Header=BB29_12 Depth=1
	v_add_u32_e32 v2, v188, v216
	v_or_b32_e32 v1, v189, v43
	v_cmp_gt_i32_e64 s[8:9], s36, v2
	v_cmp_gt_i32_e64 s[12:13], s3, v1
	s_and_b64 s[12:13], s[8:9], s[12:13]
	v_mov_b32_e32 v1, 0x47
	s_and_saveexec_b64 s[8:9], s[12:13]
	s_cbranch_execz .LBB29_58
; %bb.57:                               ;   in Loop: Header=BB29_12 Depth=1
	ds_read2st64_b32 v[4:5], v190 offset0:2 offset1:35
	ds_read2st64_b32 v[6:7], v232 offset1:1
	ds_read2st64_b32 v[8:9], v190 offset0:68 offset1:101
	ds_read2st64_b32 v[10:11], v232 offset0:33 offset1:34
	;; [unrolled: 1-line block ×4, first 2 shown]
	s_waitcnt lgkmcnt(4)
	v_cvt_f32_f16_sdwa v17, v6 dst_sel:DWORD dst_unused:UNUSED_PAD src0_sel:WORD_1
	v_cvt_f32_f16_e32 v16, v6
	s_waitcnt lgkmcnt(2)
	v_cvt_f32_f16_sdwa v21, v10 dst_sel:DWORD dst_unused:UNUSED_PAD src0_sel:WORD_1
	v_cvt_f32_f16_e32 v20, v10
	;; [unrolled: 3-line block ×3, first 2 shown]
	v_mul_lo_u32 v1, v2, s37
	s_waitcnt lgkmcnt(0)
	v_cvt_f32_f16_sdwa v25, v14 dst_sel:DWORD dst_unused:UNUSED_PAD src0_sel:WORD_1
	v_cvt_f32_f16_e32 v24, v14
	v_add_lshl_u32 v2, v1, v189, 7
	v_pk_fma_f32 v[16:17], v[4:5], v[16:17], 0 op_sel_hi:[0,1,0]
	v_mov_b32_e32 v6, v5
	v_add_u32_e32 v18, v40, v2
	v_pk_fma_f32 v[16:17], v[6:7], v[20:21], v[16:17] op_sel_hi:[0,1,1]
	v_ashrrev_i32_e32 v19, 31, v18
	v_pk_fma_f32 v[16:17], v[8:9], v[22:23], v[16:17] op_sel_hi:[0,1,1]
	v_mov_b32_e32 v10, v9
	v_lshl_add_u64 v[18:19], v[18:19], 3, v[122:123]
	v_pk_fma_f32 v[16:17], v[10:11], v[24:25], v[16:17] op_sel_hi:[0,1,1]
	global_store_dwordx2 v[18:19], v[16:17], off
	v_cvt_f32_f16_sdwa v17, v7 dst_sel:DWORD dst_unused:UNUSED_PAD src0_sel:WORD_1
	v_cvt_f32_f16_e32 v16, v7
	v_cvt_f32_f16_sdwa v19, v11 dst_sel:DWORD dst_unused:UNUSED_PAD src0_sel:WORD_1
	v_cvt_f32_f16_e32 v18, v11
	;; [unrolled: 2-line block ×4, first 2 shown]
	v_pk_fma_f32 v[4:5], v[4:5], v[16:17], 0 op_sel_hi:[0,1,0]
	v_ashrrev_i32_e32 v3, 31, v2
	v_pk_fma_f32 v[4:5], v[6:7], v[18:19], v[4:5] op_sel_hi:[0,1,1]
	v_lshl_add_u64 v[2:3], v[40:41], 0, v[2:3]
	v_pk_fma_f32 v[4:5], v[8:9], v[20:21], v[4:5] op_sel_hi:[0,1,1]
	v_lshl_add_u64 v[2:3], v[2:3], 3, v[122:123]
	v_pk_fma_f32 v[4:5], v[10:11], v[12:13], v[4:5] op_sel_hi:[0,1,1]
	v_mov_b32_e32 v1, 0
	global_store_dwordx2 v[2:3], v[4:5], off offset:512
.LBB29_58:                              ;   in Loop: Header=BB29_12 Depth=1
	s_or_b64 exec, exec, s[8:9]
	v_cmp_gt_i32_e64 s[8:9], s92, v1
	s_mov_b64 s[12:13], -1
	s_and_saveexec_b64 s[72:73], s[8:9]
; %bb.59:                               ;   in Loop: Header=BB29_12 Depth=1
	v_cmp_eq_u32_e64 s[8:9], 0, v1
	s_orn2_b64 s[12:13], s[8:9], exec
; %bb.60:                               ;   in Loop: Header=BB29_12 Depth=1
	s_or_b64 exec, exec, s[72:73]
	s_and_b64 exec, exec, s[12:13]
	s_cbranch_execz .LBB29_128
; %bb.61:                               ;   in Loop: Header=BB29_12 Depth=1
	v_accvgpr_read_b32 v1, a12
	v_add_u32_e32 v2, v1, v216
	v_accvgpr_read_b32 v1, a13
	v_or_b32_e32 v1, v1, v43
	v_cmp_gt_i32_e64 s[8:9], s36, v2
	v_cmp_gt_i32_e64 s[12:13], s3, v1
	s_and_b64 s[12:13], s[8:9], s[12:13]
	v_mov_b32_e32 v1, 0x47
	s_and_saveexec_b64 s[8:9], s[12:13]
	s_cbranch_execz .LBB29_63
; %bb.62:                               ;   in Loop: Header=BB29_12 Depth=1
	v_mul_lo_u32 v1, v2, s37
	v_accvgpr_read_b32 v2, a13
	v_add_lshl_u32 v2, v1, v2, 7
	v_accvgpr_read_b32 v1, a14
	ds_read2st64_b32 v[4:5], v1 offset0:2 offset1:35
	ds_read2st64_b32 v[6:7], v233 offset1:1
	ds_read2st64_b32 v[8:9], v1 offset0:68 offset1:101
	ds_read2st64_b32 v[10:11], v233 offset0:33 offset1:34
	;; [unrolled: 1-line block ×4, first 2 shown]
	s_waitcnt lgkmcnt(4)
	v_cvt_f32_f16_sdwa v17, v6 dst_sel:DWORD dst_unused:UNUSED_PAD src0_sel:WORD_1
	v_cvt_f32_f16_e32 v16, v6
	s_waitcnt lgkmcnt(2)
	v_cvt_f32_f16_sdwa v21, v10 dst_sel:DWORD dst_unused:UNUSED_PAD src0_sel:WORD_1
	v_cvt_f32_f16_e32 v20, v10
	;; [unrolled: 3-line block ×4, first 2 shown]
	v_pk_fma_f32 v[16:17], v[4:5], v[16:17], 0 op_sel_hi:[0,1,0]
	v_mov_b32_e32 v6, v5
	v_add_u32_e32 v18, v40, v2
	v_pk_fma_f32 v[16:17], v[6:7], v[20:21], v[16:17] op_sel_hi:[0,1,1]
	v_ashrrev_i32_e32 v19, 31, v18
	v_pk_fma_f32 v[16:17], v[8:9], v[22:23], v[16:17] op_sel_hi:[0,1,1]
	v_mov_b32_e32 v10, v9
	v_lshl_add_u64 v[18:19], v[18:19], 3, v[122:123]
	v_pk_fma_f32 v[16:17], v[10:11], v[24:25], v[16:17] op_sel_hi:[0,1,1]
	global_store_dwordx2 v[18:19], v[16:17], off
	v_cvt_f32_f16_sdwa v17, v7 dst_sel:DWORD dst_unused:UNUSED_PAD src0_sel:WORD_1
	v_cvt_f32_f16_e32 v16, v7
	v_cvt_f32_f16_sdwa v19, v11 dst_sel:DWORD dst_unused:UNUSED_PAD src0_sel:WORD_1
	v_cvt_f32_f16_e32 v18, v11
	;; [unrolled: 2-line block ×4, first 2 shown]
	v_pk_fma_f32 v[4:5], v[4:5], v[16:17], 0 op_sel_hi:[0,1,0]
	v_ashrrev_i32_e32 v3, 31, v2
	v_pk_fma_f32 v[4:5], v[6:7], v[18:19], v[4:5] op_sel_hi:[0,1,1]
	v_lshl_add_u64 v[2:3], v[40:41], 0, v[2:3]
	v_pk_fma_f32 v[4:5], v[8:9], v[20:21], v[4:5] op_sel_hi:[0,1,1]
	v_lshl_add_u64 v[2:3], v[2:3], 3, v[122:123]
	v_pk_fma_f32 v[4:5], v[10:11], v[12:13], v[4:5] op_sel_hi:[0,1,1]
	v_mov_b32_e32 v1, 0
	global_store_dwordx2 v[2:3], v[4:5], off offset:512
.LBB29_63:                              ;   in Loop: Header=BB29_12 Depth=1
	s_or_b64 exec, exec, s[8:9]
	v_cmp_gt_i32_e64 s[8:9], s92, v1
	s_mov_b64 s[12:13], -1
	s_and_saveexec_b64 s[72:73], s[8:9]
; %bb.64:                               ;   in Loop: Header=BB29_12 Depth=1
	v_cmp_eq_u32_e64 s[8:9], 0, v1
	s_orn2_b64 s[12:13], s[8:9], exec
; %bb.65:                               ;   in Loop: Header=BB29_12 Depth=1
	s_or_b64 exec, exec, s[72:73]
	s_and_b64 exec, exec, s[12:13]
	s_cbranch_execz .LBB29_128
; %bb.66:                               ;   in Loop: Header=BB29_12 Depth=1
	v_accvgpr_read_b32 v1, a15
	v_add_u32_e32 v2, v1, v216
	v_accvgpr_read_b32 v1, a16
	v_or_b32_e32 v1, v1, v43
	v_cmp_gt_i32_e64 s[8:9], s36, v2
	v_cmp_gt_i32_e64 s[12:13], s3, v1
	s_and_b64 s[12:13], s[8:9], s[12:13]
	v_mov_b32_e32 v1, 0x47
	s_and_saveexec_b64 s[8:9], s[12:13]
	s_cbranch_execz .LBB29_68
; %bb.67:                               ;   in Loop: Header=BB29_12 Depth=1
	v_mul_lo_u32 v1, v2, s37
	v_accvgpr_read_b32 v2, a16
	v_add_lshl_u32 v2, v1, v2, 7
	v_accvgpr_read_b32 v1, a17
	v_accvgpr_read_b32 v3, a51
	ds_read2st64_b32 v[4:5], v1 offset0:2 offset1:35
	ds_read2st64_b32 v[6:7], v3 offset1:1
	ds_read2st64_b32 v[8:9], v1 offset0:68 offset1:101
	ds_read2st64_b32 v[10:11], v3 offset0:33 offset1:34
	;; [unrolled: 1-line block ×4, first 2 shown]
	s_waitcnt lgkmcnt(4)
	v_cvt_f32_f16_sdwa v17, v6 dst_sel:DWORD dst_unused:UNUSED_PAD src0_sel:WORD_1
	v_cvt_f32_f16_e32 v16, v6
	s_waitcnt lgkmcnt(2)
	v_cvt_f32_f16_sdwa v21, v10 dst_sel:DWORD dst_unused:UNUSED_PAD src0_sel:WORD_1
	v_cvt_f32_f16_e32 v20, v10
	;; [unrolled: 3-line block ×4, first 2 shown]
	v_pk_fma_f32 v[16:17], v[4:5], v[16:17], 0 op_sel_hi:[0,1,0]
	v_mov_b32_e32 v6, v5
	v_add_u32_e32 v18, v40, v2
	v_pk_fma_f32 v[16:17], v[6:7], v[20:21], v[16:17] op_sel_hi:[0,1,1]
	v_ashrrev_i32_e32 v19, 31, v18
	v_pk_fma_f32 v[16:17], v[8:9], v[22:23], v[16:17] op_sel_hi:[0,1,1]
	v_mov_b32_e32 v10, v9
	v_lshl_add_u64 v[18:19], v[18:19], 3, v[122:123]
	v_pk_fma_f32 v[16:17], v[10:11], v[24:25], v[16:17] op_sel_hi:[0,1,1]
	global_store_dwordx2 v[18:19], v[16:17], off
	v_cvt_f32_f16_sdwa v17, v7 dst_sel:DWORD dst_unused:UNUSED_PAD src0_sel:WORD_1
	v_cvt_f32_f16_e32 v16, v7
	v_cvt_f32_f16_sdwa v19, v11 dst_sel:DWORD dst_unused:UNUSED_PAD src0_sel:WORD_1
	v_cvt_f32_f16_e32 v18, v11
	;; [unrolled: 2-line block ×4, first 2 shown]
	v_pk_fma_f32 v[4:5], v[4:5], v[16:17], 0 op_sel_hi:[0,1,0]
	v_ashrrev_i32_e32 v3, 31, v2
	v_pk_fma_f32 v[4:5], v[6:7], v[18:19], v[4:5] op_sel_hi:[0,1,1]
	v_lshl_add_u64 v[2:3], v[40:41], 0, v[2:3]
	v_pk_fma_f32 v[4:5], v[8:9], v[20:21], v[4:5] op_sel_hi:[0,1,1]
	v_lshl_add_u64 v[2:3], v[2:3], 3, v[122:123]
	v_pk_fma_f32 v[4:5], v[10:11], v[12:13], v[4:5] op_sel_hi:[0,1,1]
	v_mov_b32_e32 v1, 0
	global_store_dwordx2 v[2:3], v[4:5], off offset:512
.LBB29_68:                              ;   in Loop: Header=BB29_12 Depth=1
	s_or_b64 exec, exec, s[8:9]
	v_cmp_gt_i32_e64 s[8:9], s92, v1
	s_mov_b64 s[12:13], -1
	s_and_saveexec_b64 s[72:73], s[8:9]
; %bb.69:                               ;   in Loop: Header=BB29_12 Depth=1
	v_cmp_eq_u32_e64 s[8:9], 0, v1
	s_orn2_b64 s[12:13], s[8:9], exec
; %bb.70:                               ;   in Loop: Header=BB29_12 Depth=1
	s_or_b64 exec, exec, s[72:73]
	s_and_b64 exec, exec, s[12:13]
	s_cbranch_execz .LBB29_128
; %bb.71:                               ;   in Loop: Header=BB29_12 Depth=1
	v_accvgpr_read_b32 v1, a18
	v_add_u32_e32 v2, v1, v216
	v_cmp_gt_i32_e64 s[8:9], s36, v2
	s_and_b64 s[12:13], s[8:9], vcc
	v_mov_b32_e32 v1, 0x47
	s_and_saveexec_b64 s[8:9], s[12:13]
	s_cbranch_execz .LBB29_73
; %bb.72:                               ;   in Loop: Header=BB29_12 Depth=1
	v_mul_lo_u32 v1, v2, s37
	v_add_lshl_u32 v2, v1, v245, 7
	v_accvgpr_read_b32 v1, a19
	v_accvgpr_read_b32 v3, a52
	ds_read2st64_b32 v[4:5], v1 offset0:2 offset1:35
	ds_read2st64_b32 v[6:7], v3 offset1:1
	ds_read2st64_b32 v[8:9], v1 offset0:68 offset1:101
	ds_read2st64_b32 v[10:11], v3 offset0:33 offset1:34
	;; [unrolled: 1-line block ×4, first 2 shown]
	s_waitcnt lgkmcnt(4)
	v_cvt_f32_f16_sdwa v17, v6 dst_sel:DWORD dst_unused:UNUSED_PAD src0_sel:WORD_1
	v_cvt_f32_f16_e32 v16, v6
	s_waitcnt lgkmcnt(2)
	v_cvt_f32_f16_sdwa v21, v10 dst_sel:DWORD dst_unused:UNUSED_PAD src0_sel:WORD_1
	v_cvt_f32_f16_e32 v20, v10
	;; [unrolled: 3-line block ×4, first 2 shown]
	v_pk_fma_f32 v[16:17], v[4:5], v[16:17], 0 op_sel_hi:[0,1,0]
	v_mov_b32_e32 v6, v5
	v_add_u32_e32 v18, v40, v2
	v_pk_fma_f32 v[16:17], v[6:7], v[20:21], v[16:17] op_sel_hi:[0,1,1]
	v_ashrrev_i32_e32 v19, 31, v18
	v_pk_fma_f32 v[16:17], v[8:9], v[22:23], v[16:17] op_sel_hi:[0,1,1]
	v_mov_b32_e32 v10, v9
	v_lshl_add_u64 v[18:19], v[18:19], 3, v[122:123]
	v_pk_fma_f32 v[16:17], v[10:11], v[24:25], v[16:17] op_sel_hi:[0,1,1]
	global_store_dwordx2 v[18:19], v[16:17], off
	v_cvt_f32_f16_sdwa v17, v7 dst_sel:DWORD dst_unused:UNUSED_PAD src0_sel:WORD_1
	v_cvt_f32_f16_e32 v16, v7
	v_cvt_f32_f16_sdwa v19, v11 dst_sel:DWORD dst_unused:UNUSED_PAD src0_sel:WORD_1
	v_cvt_f32_f16_e32 v18, v11
	;; [unrolled: 2-line block ×4, first 2 shown]
	v_pk_fma_f32 v[4:5], v[4:5], v[16:17], 0 op_sel_hi:[0,1,0]
	v_ashrrev_i32_e32 v3, 31, v2
	v_pk_fma_f32 v[4:5], v[6:7], v[18:19], v[4:5] op_sel_hi:[0,1,1]
	v_lshl_add_u64 v[2:3], v[40:41], 0, v[2:3]
	v_pk_fma_f32 v[4:5], v[8:9], v[20:21], v[4:5] op_sel_hi:[0,1,1]
	v_lshl_add_u64 v[2:3], v[2:3], 3, v[122:123]
	v_pk_fma_f32 v[4:5], v[10:11], v[12:13], v[4:5] op_sel_hi:[0,1,1]
	v_mov_b32_e32 v1, 0
	global_store_dwordx2 v[2:3], v[4:5], off offset:512
.LBB29_73:                              ;   in Loop: Header=BB29_12 Depth=1
	s_or_b64 exec, exec, s[8:9]
	v_cmp_gt_i32_e64 s[8:9], s92, v1
	s_mov_b64 s[12:13], -1
	s_and_saveexec_b64 s[72:73], s[8:9]
; %bb.74:                               ;   in Loop: Header=BB29_12 Depth=1
	v_cmp_eq_u32_e64 s[8:9], 0, v1
	s_orn2_b64 s[12:13], s[8:9], exec
; %bb.75:                               ;   in Loop: Header=BB29_12 Depth=1
	s_or_b64 exec, exec, s[72:73]
	s_and_b64 exec, exec, s[12:13]
	s_cbranch_execz .LBB29_128
; %bb.76:                               ;   in Loop: Header=BB29_12 Depth=1
	v_accvgpr_read_b32 v1, a20
	v_add_u32_e32 v2, v1, v216
	v_accvgpr_read_b32 v1, a21
	v_or_b32_e32 v1, v1, v43
	v_cmp_gt_i32_e64 s[8:9], s36, v2
	v_cmp_gt_i32_e64 s[12:13], s3, v1
	s_and_b64 s[12:13], s[8:9], s[12:13]
	v_mov_b32_e32 v1, 0x47
	s_and_saveexec_b64 s[8:9], s[12:13]
	s_cbranch_execz .LBB29_78
; %bb.77:                               ;   in Loop: Header=BB29_12 Depth=1
	v_mul_lo_u32 v1, v2, s37
	v_accvgpr_read_b32 v2, a21
	v_add_lshl_u32 v2, v1, v2, 7
	v_accvgpr_read_b32 v1, a22
	v_accvgpr_read_b32 v3, a53
	ds_read2st64_b32 v[4:5], v1 offset0:2 offset1:35
	ds_read2st64_b32 v[6:7], v3 offset1:1
	ds_read2st64_b32 v[8:9], v1 offset0:68 offset1:101
	ds_read2st64_b32 v[10:11], v3 offset0:33 offset1:34
	ds_read2st64_b32 v[12:13], v3 offset0:66 offset1:67
	ds_read2st64_b32 v[14:15], v3 offset0:99 offset1:100
	s_waitcnt lgkmcnt(4)
	v_cvt_f32_f16_sdwa v17, v6 dst_sel:DWORD dst_unused:UNUSED_PAD src0_sel:WORD_1
	v_cvt_f32_f16_e32 v16, v6
	s_waitcnt lgkmcnt(2)
	v_cvt_f32_f16_sdwa v21, v10 dst_sel:DWORD dst_unused:UNUSED_PAD src0_sel:WORD_1
	v_cvt_f32_f16_e32 v20, v10
	;; [unrolled: 3-line block ×4, first 2 shown]
	v_pk_fma_f32 v[16:17], v[4:5], v[16:17], 0 op_sel_hi:[0,1,0]
	v_mov_b32_e32 v6, v5
	v_add_u32_e32 v18, v40, v2
	v_pk_fma_f32 v[16:17], v[6:7], v[20:21], v[16:17] op_sel_hi:[0,1,1]
	v_ashrrev_i32_e32 v19, 31, v18
	v_pk_fma_f32 v[16:17], v[8:9], v[22:23], v[16:17] op_sel_hi:[0,1,1]
	v_mov_b32_e32 v10, v9
	v_lshl_add_u64 v[18:19], v[18:19], 3, v[122:123]
	v_pk_fma_f32 v[16:17], v[10:11], v[24:25], v[16:17] op_sel_hi:[0,1,1]
	global_store_dwordx2 v[18:19], v[16:17], off
	v_cvt_f32_f16_sdwa v17, v7 dst_sel:DWORD dst_unused:UNUSED_PAD src0_sel:WORD_1
	v_cvt_f32_f16_e32 v16, v7
	v_cvt_f32_f16_sdwa v19, v11 dst_sel:DWORD dst_unused:UNUSED_PAD src0_sel:WORD_1
	v_cvt_f32_f16_e32 v18, v11
	;; [unrolled: 2-line block ×4, first 2 shown]
	v_pk_fma_f32 v[4:5], v[4:5], v[16:17], 0 op_sel_hi:[0,1,0]
	v_ashrrev_i32_e32 v3, 31, v2
	v_pk_fma_f32 v[4:5], v[6:7], v[18:19], v[4:5] op_sel_hi:[0,1,1]
	v_lshl_add_u64 v[2:3], v[40:41], 0, v[2:3]
	v_pk_fma_f32 v[4:5], v[8:9], v[20:21], v[4:5] op_sel_hi:[0,1,1]
	v_lshl_add_u64 v[2:3], v[2:3], 3, v[122:123]
	v_pk_fma_f32 v[4:5], v[10:11], v[12:13], v[4:5] op_sel_hi:[0,1,1]
	v_mov_b32_e32 v1, 0
	global_store_dwordx2 v[2:3], v[4:5], off offset:512
.LBB29_78:                              ;   in Loop: Header=BB29_12 Depth=1
	s_or_b64 exec, exec, s[8:9]
	v_cmp_gt_i32_e64 s[8:9], s92, v1
	s_mov_b64 s[12:13], -1
	s_and_saveexec_b64 s[72:73], s[8:9]
; %bb.79:                               ;   in Loop: Header=BB29_12 Depth=1
	v_cmp_eq_u32_e64 s[8:9], 0, v1
	s_orn2_b64 s[12:13], s[8:9], exec
; %bb.80:                               ;   in Loop: Header=BB29_12 Depth=1
	s_or_b64 exec, exec, s[72:73]
	s_and_b64 exec, exec, s[12:13]
	s_cbranch_execz .LBB29_128
; %bb.81:                               ;   in Loop: Header=BB29_12 Depth=1
	v_accvgpr_read_b32 v1, a23
	v_add_u32_e32 v2, v1, v216
	v_accvgpr_read_b32 v1, a24
	v_or_b32_e32 v1, v1, v43
	v_cmp_gt_i32_e64 s[8:9], s36, v2
	v_cmp_gt_i32_e64 s[12:13], s3, v1
	s_and_b64 s[12:13], s[8:9], s[12:13]
	v_mov_b32_e32 v1, 0x47
	s_and_saveexec_b64 s[8:9], s[12:13]
	s_cbranch_execz .LBB29_83
; %bb.82:                               ;   in Loop: Header=BB29_12 Depth=1
	v_mul_lo_u32 v1, v2, s37
	v_accvgpr_read_b32 v2, a24
	v_add_lshl_u32 v2, v1, v2, 7
	v_accvgpr_read_b32 v1, a25
	v_accvgpr_read_b32 v3, a54
	ds_read2st64_b32 v[4:5], v1 offset0:2 offset1:35
	ds_read2st64_b32 v[6:7], v3 offset1:1
	ds_read2st64_b32 v[8:9], v1 offset0:68 offset1:101
	ds_read2st64_b32 v[10:11], v3 offset0:33 offset1:34
	;; [unrolled: 1-line block ×4, first 2 shown]
	s_waitcnt lgkmcnt(4)
	v_cvt_f32_f16_sdwa v17, v6 dst_sel:DWORD dst_unused:UNUSED_PAD src0_sel:WORD_1
	v_cvt_f32_f16_e32 v16, v6
	s_waitcnt lgkmcnt(2)
	v_cvt_f32_f16_sdwa v21, v10 dst_sel:DWORD dst_unused:UNUSED_PAD src0_sel:WORD_1
	v_cvt_f32_f16_e32 v20, v10
	;; [unrolled: 3-line block ×4, first 2 shown]
	v_pk_fma_f32 v[16:17], v[4:5], v[16:17], 0 op_sel_hi:[0,1,0]
	v_mov_b32_e32 v6, v5
	v_add_u32_e32 v18, v40, v2
	v_pk_fma_f32 v[16:17], v[6:7], v[20:21], v[16:17] op_sel_hi:[0,1,1]
	v_ashrrev_i32_e32 v19, 31, v18
	v_pk_fma_f32 v[16:17], v[8:9], v[22:23], v[16:17] op_sel_hi:[0,1,1]
	v_mov_b32_e32 v10, v9
	v_lshl_add_u64 v[18:19], v[18:19], 3, v[122:123]
	v_pk_fma_f32 v[16:17], v[10:11], v[24:25], v[16:17] op_sel_hi:[0,1,1]
	global_store_dwordx2 v[18:19], v[16:17], off
	v_cvt_f32_f16_sdwa v17, v7 dst_sel:DWORD dst_unused:UNUSED_PAD src0_sel:WORD_1
	v_cvt_f32_f16_e32 v16, v7
	v_cvt_f32_f16_sdwa v19, v11 dst_sel:DWORD dst_unused:UNUSED_PAD src0_sel:WORD_1
	v_cvt_f32_f16_e32 v18, v11
	;; [unrolled: 2-line block ×4, first 2 shown]
	v_pk_fma_f32 v[4:5], v[4:5], v[16:17], 0 op_sel_hi:[0,1,0]
	v_ashrrev_i32_e32 v3, 31, v2
	v_pk_fma_f32 v[4:5], v[6:7], v[18:19], v[4:5] op_sel_hi:[0,1,1]
	v_lshl_add_u64 v[2:3], v[40:41], 0, v[2:3]
	v_pk_fma_f32 v[4:5], v[8:9], v[20:21], v[4:5] op_sel_hi:[0,1,1]
	v_lshl_add_u64 v[2:3], v[2:3], 3, v[122:123]
	v_pk_fma_f32 v[4:5], v[10:11], v[12:13], v[4:5] op_sel_hi:[0,1,1]
	v_mov_b32_e32 v1, 0
	global_store_dwordx2 v[2:3], v[4:5], off offset:512
.LBB29_83:                              ;   in Loop: Header=BB29_12 Depth=1
	s_or_b64 exec, exec, s[8:9]
	v_cmp_gt_i32_e64 s[8:9], s92, v1
	s_mov_b64 s[12:13], -1
	s_and_saveexec_b64 s[72:73], s[8:9]
; %bb.84:                               ;   in Loop: Header=BB29_12 Depth=1
	v_cmp_eq_u32_e64 s[8:9], 0, v1
	s_orn2_b64 s[12:13], s[8:9], exec
; %bb.85:                               ;   in Loop: Header=BB29_12 Depth=1
	s_or_b64 exec, exec, s[72:73]
	s_and_b64 exec, exec, s[12:13]
	s_cbranch_execz .LBB29_128
; %bb.86:                               ;   in Loop: Header=BB29_12 Depth=1
	v_accvgpr_read_b32 v1, a26
	v_add_u32_e32 v2, v1, v216
	v_accvgpr_read_b32 v1, a27
	v_or_b32_e32 v1, v1, v43
	v_cmp_gt_i32_e64 s[8:9], s36, v2
	v_cmp_gt_i32_e64 s[12:13], s3, v1
	s_and_b64 s[12:13], s[8:9], s[12:13]
	v_mov_b32_e32 v1, 0x47
	s_and_saveexec_b64 s[8:9], s[12:13]
	s_cbranch_execz .LBB29_88
; %bb.87:                               ;   in Loop: Header=BB29_12 Depth=1
	v_mul_lo_u32 v1, v2, s37
	v_accvgpr_read_b32 v2, a27
	v_add_lshl_u32 v2, v1, v2, 7
	v_accvgpr_read_b32 v1, a28
	v_accvgpr_read_b32 v3, a55
	ds_read2st64_b32 v[4:5], v1 offset0:2 offset1:35
	ds_read2st64_b32 v[6:7], v3 offset1:1
	ds_read2st64_b32 v[8:9], v1 offset0:68 offset1:101
	ds_read2st64_b32 v[10:11], v3 offset0:33 offset1:34
	;; [unrolled: 1-line block ×4, first 2 shown]
	s_waitcnt lgkmcnt(4)
	v_cvt_f32_f16_sdwa v17, v6 dst_sel:DWORD dst_unused:UNUSED_PAD src0_sel:WORD_1
	v_cvt_f32_f16_e32 v16, v6
	s_waitcnt lgkmcnt(2)
	v_cvt_f32_f16_sdwa v21, v10 dst_sel:DWORD dst_unused:UNUSED_PAD src0_sel:WORD_1
	v_cvt_f32_f16_e32 v20, v10
	s_waitcnt lgkmcnt(1)
	v_cvt_f32_f16_sdwa v23, v12 dst_sel:DWORD dst_unused:UNUSED_PAD src0_sel:WORD_1
	v_cvt_f32_f16_e32 v22, v12
	s_waitcnt lgkmcnt(0)
	v_cvt_f32_f16_sdwa v25, v14 dst_sel:DWORD dst_unused:UNUSED_PAD src0_sel:WORD_1
	v_cvt_f32_f16_e32 v24, v14
	v_pk_fma_f32 v[16:17], v[4:5], v[16:17], 0 op_sel_hi:[0,1,0]
	v_mov_b32_e32 v6, v5
	v_add_u32_e32 v18, v40, v2
	v_pk_fma_f32 v[16:17], v[6:7], v[20:21], v[16:17] op_sel_hi:[0,1,1]
	v_ashrrev_i32_e32 v19, 31, v18
	v_pk_fma_f32 v[16:17], v[8:9], v[22:23], v[16:17] op_sel_hi:[0,1,1]
	v_mov_b32_e32 v10, v9
	v_lshl_add_u64 v[18:19], v[18:19], 3, v[122:123]
	v_pk_fma_f32 v[16:17], v[10:11], v[24:25], v[16:17] op_sel_hi:[0,1,1]
	global_store_dwordx2 v[18:19], v[16:17], off
	v_cvt_f32_f16_sdwa v17, v7 dst_sel:DWORD dst_unused:UNUSED_PAD src0_sel:WORD_1
	v_cvt_f32_f16_e32 v16, v7
	v_cvt_f32_f16_sdwa v19, v11 dst_sel:DWORD dst_unused:UNUSED_PAD src0_sel:WORD_1
	v_cvt_f32_f16_e32 v18, v11
	;; [unrolled: 2-line block ×4, first 2 shown]
	v_pk_fma_f32 v[4:5], v[4:5], v[16:17], 0 op_sel_hi:[0,1,0]
	v_ashrrev_i32_e32 v3, 31, v2
	v_pk_fma_f32 v[4:5], v[6:7], v[18:19], v[4:5] op_sel_hi:[0,1,1]
	v_lshl_add_u64 v[2:3], v[40:41], 0, v[2:3]
	v_pk_fma_f32 v[4:5], v[8:9], v[20:21], v[4:5] op_sel_hi:[0,1,1]
	v_lshl_add_u64 v[2:3], v[2:3], 3, v[122:123]
	v_pk_fma_f32 v[4:5], v[10:11], v[12:13], v[4:5] op_sel_hi:[0,1,1]
	v_mov_b32_e32 v1, 0
	global_store_dwordx2 v[2:3], v[4:5], off offset:512
.LBB29_88:                              ;   in Loop: Header=BB29_12 Depth=1
	s_or_b64 exec, exec, s[8:9]
	v_cmp_gt_i32_e64 s[8:9], s92, v1
	s_mov_b64 s[12:13], -1
	s_and_saveexec_b64 s[72:73], s[8:9]
; %bb.89:                               ;   in Loop: Header=BB29_12 Depth=1
	v_cmp_eq_u32_e64 s[8:9], 0, v1
	s_orn2_b64 s[12:13], s[8:9], exec
; %bb.90:                               ;   in Loop: Header=BB29_12 Depth=1
	s_or_b64 exec, exec, s[72:73]
	s_and_b64 exec, exec, s[12:13]
	s_cbranch_execz .LBB29_128
; %bb.91:                               ;   in Loop: Header=BB29_12 Depth=1
	v_accvgpr_read_b32 v1, a29
	v_add_u32_e32 v2, v1, v216
	v_cmp_gt_i32_e64 s[8:9], s36, v2
	s_and_b64 s[12:13], s[8:9], vcc
	v_mov_b32_e32 v1, 0x47
	s_and_saveexec_b64 s[8:9], s[12:13]
	s_cbranch_execz .LBB29_93
; %bb.92:                               ;   in Loop: Header=BB29_12 Depth=1
	v_mul_lo_u32 v1, v2, s37
	v_add_lshl_u32 v2, v1, v245, 7
	v_accvgpr_read_b32 v1, a30
	v_accvgpr_read_b32 v3, a56
	ds_read2st64_b32 v[4:5], v1 offset0:2 offset1:35
	ds_read2st64_b32 v[6:7], v3 offset1:1
	ds_read2st64_b32 v[8:9], v1 offset0:68 offset1:101
	ds_read2st64_b32 v[10:11], v3 offset0:33 offset1:34
	;; [unrolled: 1-line block ×4, first 2 shown]
	s_waitcnt lgkmcnt(4)
	v_cvt_f32_f16_sdwa v17, v6 dst_sel:DWORD dst_unused:UNUSED_PAD src0_sel:WORD_1
	v_cvt_f32_f16_e32 v16, v6
	s_waitcnt lgkmcnt(2)
	v_cvt_f32_f16_sdwa v21, v10 dst_sel:DWORD dst_unused:UNUSED_PAD src0_sel:WORD_1
	v_cvt_f32_f16_e32 v20, v10
	;; [unrolled: 3-line block ×4, first 2 shown]
	v_pk_fma_f32 v[16:17], v[4:5], v[16:17], 0 op_sel_hi:[0,1,0]
	v_mov_b32_e32 v6, v5
	v_add_u32_e32 v18, v40, v2
	v_pk_fma_f32 v[16:17], v[6:7], v[20:21], v[16:17] op_sel_hi:[0,1,1]
	v_ashrrev_i32_e32 v19, 31, v18
	v_pk_fma_f32 v[16:17], v[8:9], v[22:23], v[16:17] op_sel_hi:[0,1,1]
	v_mov_b32_e32 v10, v9
	v_lshl_add_u64 v[18:19], v[18:19], 3, v[122:123]
	v_pk_fma_f32 v[16:17], v[10:11], v[24:25], v[16:17] op_sel_hi:[0,1,1]
	global_store_dwordx2 v[18:19], v[16:17], off
	v_cvt_f32_f16_sdwa v17, v7 dst_sel:DWORD dst_unused:UNUSED_PAD src0_sel:WORD_1
	v_cvt_f32_f16_e32 v16, v7
	v_cvt_f32_f16_sdwa v19, v11 dst_sel:DWORD dst_unused:UNUSED_PAD src0_sel:WORD_1
	v_cvt_f32_f16_e32 v18, v11
	;; [unrolled: 2-line block ×4, first 2 shown]
	v_pk_fma_f32 v[4:5], v[4:5], v[16:17], 0 op_sel_hi:[0,1,0]
	v_ashrrev_i32_e32 v3, 31, v2
	v_pk_fma_f32 v[4:5], v[6:7], v[18:19], v[4:5] op_sel_hi:[0,1,1]
	v_lshl_add_u64 v[2:3], v[40:41], 0, v[2:3]
	v_pk_fma_f32 v[4:5], v[8:9], v[20:21], v[4:5] op_sel_hi:[0,1,1]
	v_lshl_add_u64 v[2:3], v[2:3], 3, v[122:123]
	v_pk_fma_f32 v[4:5], v[10:11], v[12:13], v[4:5] op_sel_hi:[0,1,1]
	v_mov_b32_e32 v1, 0
	global_store_dwordx2 v[2:3], v[4:5], off offset:512
.LBB29_93:                              ;   in Loop: Header=BB29_12 Depth=1
	s_or_b64 exec, exec, s[8:9]
	v_cmp_gt_i32_e64 s[8:9], s92, v1
	s_mov_b64 s[12:13], -1
	s_and_saveexec_b64 s[72:73], s[8:9]
; %bb.94:                               ;   in Loop: Header=BB29_12 Depth=1
	v_cmp_eq_u32_e64 s[8:9], 0, v1
	s_orn2_b64 s[12:13], s[8:9], exec
; %bb.95:                               ;   in Loop: Header=BB29_12 Depth=1
	s_or_b64 exec, exec, s[72:73]
	s_and_b64 exec, exec, s[12:13]
	s_cbranch_execz .LBB29_128
; %bb.96:                               ;   in Loop: Header=BB29_12 Depth=1
	v_accvgpr_read_b32 v1, a31
	v_add_u32_e32 v2, v1, v216
	v_accvgpr_read_b32 v1, a32
	v_or_b32_e32 v1, v1, v43
	v_cmp_gt_i32_e64 s[8:9], s36, v2
	v_cmp_gt_i32_e64 s[12:13], s3, v1
	s_and_b64 s[12:13], s[8:9], s[12:13]
	v_mov_b32_e32 v1, 0x47
	s_and_saveexec_b64 s[8:9], s[12:13]
	s_cbranch_execz .LBB29_98
; %bb.97:                               ;   in Loop: Header=BB29_12 Depth=1
	v_mul_lo_u32 v1, v2, s37
	v_accvgpr_read_b32 v2, a32
	v_add_lshl_u32 v2, v1, v2, 7
	v_accvgpr_read_b32 v1, a33
	v_accvgpr_read_b32 v3, a57
	ds_read2st64_b32 v[4:5], v1 offset0:2 offset1:35
	ds_read2st64_b32 v[6:7], v3 offset1:1
	ds_read2st64_b32 v[8:9], v1 offset0:68 offset1:101
	ds_read2st64_b32 v[10:11], v3 offset0:33 offset1:34
	;; [unrolled: 1-line block ×4, first 2 shown]
	s_waitcnt lgkmcnt(4)
	v_cvt_f32_f16_sdwa v17, v6 dst_sel:DWORD dst_unused:UNUSED_PAD src0_sel:WORD_1
	v_cvt_f32_f16_e32 v16, v6
	s_waitcnt lgkmcnt(2)
	v_cvt_f32_f16_sdwa v21, v10 dst_sel:DWORD dst_unused:UNUSED_PAD src0_sel:WORD_1
	v_cvt_f32_f16_e32 v20, v10
	;; [unrolled: 3-line block ×4, first 2 shown]
	v_pk_fma_f32 v[16:17], v[4:5], v[16:17], 0 op_sel_hi:[0,1,0]
	v_mov_b32_e32 v6, v5
	v_add_u32_e32 v18, v40, v2
	v_pk_fma_f32 v[16:17], v[6:7], v[20:21], v[16:17] op_sel_hi:[0,1,1]
	v_ashrrev_i32_e32 v19, 31, v18
	v_pk_fma_f32 v[16:17], v[8:9], v[22:23], v[16:17] op_sel_hi:[0,1,1]
	v_mov_b32_e32 v10, v9
	v_lshl_add_u64 v[18:19], v[18:19], 3, v[122:123]
	v_pk_fma_f32 v[16:17], v[10:11], v[24:25], v[16:17] op_sel_hi:[0,1,1]
	global_store_dwordx2 v[18:19], v[16:17], off
	v_cvt_f32_f16_sdwa v17, v7 dst_sel:DWORD dst_unused:UNUSED_PAD src0_sel:WORD_1
	v_cvt_f32_f16_e32 v16, v7
	v_cvt_f32_f16_sdwa v19, v11 dst_sel:DWORD dst_unused:UNUSED_PAD src0_sel:WORD_1
	v_cvt_f32_f16_e32 v18, v11
	;; [unrolled: 2-line block ×4, first 2 shown]
	v_pk_fma_f32 v[4:5], v[4:5], v[16:17], 0 op_sel_hi:[0,1,0]
	v_ashrrev_i32_e32 v3, 31, v2
	v_pk_fma_f32 v[4:5], v[6:7], v[18:19], v[4:5] op_sel_hi:[0,1,1]
	v_lshl_add_u64 v[2:3], v[40:41], 0, v[2:3]
	v_pk_fma_f32 v[4:5], v[8:9], v[20:21], v[4:5] op_sel_hi:[0,1,1]
	v_lshl_add_u64 v[2:3], v[2:3], 3, v[122:123]
	v_pk_fma_f32 v[4:5], v[10:11], v[12:13], v[4:5] op_sel_hi:[0,1,1]
	v_mov_b32_e32 v1, 0
	global_store_dwordx2 v[2:3], v[4:5], off offset:512
.LBB29_98:                              ;   in Loop: Header=BB29_12 Depth=1
	s_or_b64 exec, exec, s[8:9]
	v_cmp_gt_i32_e64 s[8:9], s92, v1
	s_mov_b64 s[12:13], -1
	s_and_saveexec_b64 s[72:73], s[8:9]
; %bb.99:                               ;   in Loop: Header=BB29_12 Depth=1
	v_cmp_eq_u32_e64 s[8:9], 0, v1
	s_orn2_b64 s[12:13], s[8:9], exec
; %bb.100:                              ;   in Loop: Header=BB29_12 Depth=1
	s_or_b64 exec, exec, s[72:73]
	s_and_b64 exec, exec, s[12:13]
	s_cbranch_execz .LBB29_128
; %bb.101:                              ;   in Loop: Header=BB29_12 Depth=1
	v_accvgpr_read_b32 v1, a34
	v_add_u32_e32 v2, v1, v216
	v_accvgpr_read_b32 v1, a35
	v_or_b32_e32 v1, v1, v43
	v_cmp_gt_i32_e64 s[8:9], s36, v2
	v_cmp_gt_i32_e64 s[12:13], s3, v1
	s_and_b64 s[12:13], s[8:9], s[12:13]
	v_mov_b32_e32 v1, 0x47
	s_and_saveexec_b64 s[8:9], s[12:13]
	s_cbranch_execz .LBB29_103
; %bb.102:                              ;   in Loop: Header=BB29_12 Depth=1
	v_mul_lo_u32 v1, v2, s37
	v_accvgpr_read_b32 v2, a35
	v_add_lshl_u32 v2, v1, v2, 7
	v_accvgpr_read_b32 v1, a36
	v_accvgpr_read_b32 v3, a58
	ds_read2st64_b32 v[4:5], v1 offset0:2 offset1:35
	ds_read2st64_b32 v[6:7], v3 offset1:1
	ds_read2st64_b32 v[8:9], v1 offset0:68 offset1:101
	ds_read2st64_b32 v[10:11], v3 offset0:33 offset1:34
	;; [unrolled: 1-line block ×4, first 2 shown]
	s_waitcnt lgkmcnt(4)
	v_cvt_f32_f16_sdwa v17, v6 dst_sel:DWORD dst_unused:UNUSED_PAD src0_sel:WORD_1
	v_cvt_f32_f16_e32 v16, v6
	s_waitcnt lgkmcnt(2)
	v_cvt_f32_f16_sdwa v21, v10 dst_sel:DWORD dst_unused:UNUSED_PAD src0_sel:WORD_1
	v_cvt_f32_f16_e32 v20, v10
	;; [unrolled: 3-line block ×4, first 2 shown]
	v_pk_fma_f32 v[16:17], v[4:5], v[16:17], 0 op_sel_hi:[0,1,0]
	v_mov_b32_e32 v6, v5
	v_add_u32_e32 v18, v40, v2
	v_pk_fma_f32 v[16:17], v[6:7], v[20:21], v[16:17] op_sel_hi:[0,1,1]
	v_ashrrev_i32_e32 v19, 31, v18
	v_pk_fma_f32 v[16:17], v[8:9], v[22:23], v[16:17] op_sel_hi:[0,1,1]
	v_mov_b32_e32 v10, v9
	v_lshl_add_u64 v[18:19], v[18:19], 3, v[122:123]
	v_pk_fma_f32 v[16:17], v[10:11], v[24:25], v[16:17] op_sel_hi:[0,1,1]
	global_store_dwordx2 v[18:19], v[16:17], off
	v_cvt_f32_f16_sdwa v17, v7 dst_sel:DWORD dst_unused:UNUSED_PAD src0_sel:WORD_1
	v_cvt_f32_f16_e32 v16, v7
	v_cvt_f32_f16_sdwa v19, v11 dst_sel:DWORD dst_unused:UNUSED_PAD src0_sel:WORD_1
	v_cvt_f32_f16_e32 v18, v11
	;; [unrolled: 2-line block ×4, first 2 shown]
	v_pk_fma_f32 v[4:5], v[4:5], v[16:17], 0 op_sel_hi:[0,1,0]
	v_ashrrev_i32_e32 v3, 31, v2
	v_pk_fma_f32 v[4:5], v[6:7], v[18:19], v[4:5] op_sel_hi:[0,1,1]
	v_lshl_add_u64 v[2:3], v[40:41], 0, v[2:3]
	v_pk_fma_f32 v[4:5], v[8:9], v[20:21], v[4:5] op_sel_hi:[0,1,1]
	v_lshl_add_u64 v[2:3], v[2:3], 3, v[122:123]
	v_pk_fma_f32 v[4:5], v[10:11], v[12:13], v[4:5] op_sel_hi:[0,1,1]
	v_mov_b32_e32 v1, 0
	global_store_dwordx2 v[2:3], v[4:5], off offset:512
.LBB29_103:                             ;   in Loop: Header=BB29_12 Depth=1
	s_or_b64 exec, exec, s[8:9]
	v_cmp_gt_i32_e64 s[8:9], s92, v1
	s_mov_b64 s[12:13], -1
	s_and_saveexec_b64 s[72:73], s[8:9]
; %bb.104:                              ;   in Loop: Header=BB29_12 Depth=1
	v_cmp_eq_u32_e64 s[8:9], 0, v1
	s_orn2_b64 s[12:13], s[8:9], exec
; %bb.105:                              ;   in Loop: Header=BB29_12 Depth=1
	s_or_b64 exec, exec, s[72:73]
	s_and_b64 exec, exec, s[12:13]
	s_cbranch_execz .LBB29_128
; %bb.106:                              ;   in Loop: Header=BB29_12 Depth=1
	v_accvgpr_read_b32 v1, a37
	v_add_u32_e32 v2, v1, v216
	v_accvgpr_read_b32 v1, a38
	v_or_b32_e32 v1, v1, v43
	v_cmp_gt_i32_e64 s[8:9], s36, v2
	v_cmp_gt_i32_e64 s[12:13], s3, v1
	s_and_b64 s[12:13], s[8:9], s[12:13]
	v_mov_b32_e32 v1, 0x47
	s_and_saveexec_b64 s[8:9], s[12:13]
	s_cbranch_execz .LBB29_108
; %bb.107:                              ;   in Loop: Header=BB29_12 Depth=1
	v_mul_lo_u32 v1, v2, s37
	v_accvgpr_read_b32 v2, a38
	v_add_lshl_u32 v2, v1, v2, 7
	v_accvgpr_read_b32 v1, a39
	v_accvgpr_read_b32 v3, a59
	ds_read2st64_b32 v[4:5], v1 offset0:2 offset1:35
	ds_read2st64_b32 v[6:7], v3 offset1:1
	ds_read2st64_b32 v[8:9], v1 offset0:68 offset1:101
	ds_read2st64_b32 v[10:11], v3 offset0:33 offset1:34
	;; [unrolled: 1-line block ×4, first 2 shown]
	s_waitcnt lgkmcnt(4)
	v_cvt_f32_f16_sdwa v17, v6 dst_sel:DWORD dst_unused:UNUSED_PAD src0_sel:WORD_1
	v_cvt_f32_f16_e32 v16, v6
	s_waitcnt lgkmcnt(2)
	v_cvt_f32_f16_sdwa v21, v10 dst_sel:DWORD dst_unused:UNUSED_PAD src0_sel:WORD_1
	v_cvt_f32_f16_e32 v20, v10
	s_waitcnt lgkmcnt(1)
	v_cvt_f32_f16_sdwa v23, v12 dst_sel:DWORD dst_unused:UNUSED_PAD src0_sel:WORD_1
	v_cvt_f32_f16_e32 v22, v12
	s_waitcnt lgkmcnt(0)
	v_cvt_f32_f16_sdwa v25, v14 dst_sel:DWORD dst_unused:UNUSED_PAD src0_sel:WORD_1
	v_cvt_f32_f16_e32 v24, v14
	v_pk_fma_f32 v[16:17], v[4:5], v[16:17], 0 op_sel_hi:[0,1,0]
	v_mov_b32_e32 v6, v5
	v_add_u32_e32 v18, v40, v2
	v_pk_fma_f32 v[16:17], v[6:7], v[20:21], v[16:17] op_sel_hi:[0,1,1]
	v_ashrrev_i32_e32 v19, 31, v18
	v_pk_fma_f32 v[16:17], v[8:9], v[22:23], v[16:17] op_sel_hi:[0,1,1]
	v_mov_b32_e32 v10, v9
	v_lshl_add_u64 v[18:19], v[18:19], 3, v[122:123]
	v_pk_fma_f32 v[16:17], v[10:11], v[24:25], v[16:17] op_sel_hi:[0,1,1]
	global_store_dwordx2 v[18:19], v[16:17], off
	v_cvt_f32_f16_sdwa v17, v7 dst_sel:DWORD dst_unused:UNUSED_PAD src0_sel:WORD_1
	v_cvt_f32_f16_e32 v16, v7
	v_cvt_f32_f16_sdwa v19, v11 dst_sel:DWORD dst_unused:UNUSED_PAD src0_sel:WORD_1
	v_cvt_f32_f16_e32 v18, v11
	;; [unrolled: 2-line block ×4, first 2 shown]
	v_pk_fma_f32 v[4:5], v[4:5], v[16:17], 0 op_sel_hi:[0,1,0]
	v_ashrrev_i32_e32 v3, 31, v2
	v_pk_fma_f32 v[4:5], v[6:7], v[18:19], v[4:5] op_sel_hi:[0,1,1]
	v_lshl_add_u64 v[2:3], v[40:41], 0, v[2:3]
	v_pk_fma_f32 v[4:5], v[8:9], v[20:21], v[4:5] op_sel_hi:[0,1,1]
	v_lshl_add_u64 v[2:3], v[2:3], 3, v[122:123]
	v_pk_fma_f32 v[4:5], v[10:11], v[12:13], v[4:5] op_sel_hi:[0,1,1]
	v_mov_b32_e32 v1, 0
	global_store_dwordx2 v[2:3], v[4:5], off offset:512
.LBB29_108:                             ;   in Loop: Header=BB29_12 Depth=1
	s_or_b64 exec, exec, s[8:9]
	v_cmp_gt_i32_e64 s[8:9], s92, v1
	s_mov_b64 s[12:13], -1
	s_and_saveexec_b64 s[72:73], s[8:9]
; %bb.109:                              ;   in Loop: Header=BB29_12 Depth=1
	v_cmp_eq_u32_e64 s[8:9], 0, v1
	s_orn2_b64 s[12:13], s[8:9], exec
; %bb.110:                              ;   in Loop: Header=BB29_12 Depth=1
	s_or_b64 exec, exec, s[72:73]
	s_and_b64 exec, exec, s[12:13]
	s_cbranch_execz .LBB29_128
; %bb.111:                              ;   in Loop: Header=BB29_12 Depth=1
	v_accvgpr_read_b32 v1, a40
	v_add_u32_e32 v2, v1, v216
	v_cmp_gt_i32_e64 s[8:9], s36, v2
	s_and_b64 s[12:13], s[8:9], vcc
	v_mov_b32_e32 v1, 0x47
	s_and_saveexec_b64 s[8:9], s[12:13]
	s_cbranch_execz .LBB29_113
; %bb.112:                              ;   in Loop: Header=BB29_12 Depth=1
	v_mul_lo_u32 v1, v2, s37
	v_add_lshl_u32 v2, v1, v245, 7
	v_accvgpr_read_b32 v1, a41
	v_accvgpr_read_b32 v3, a60
	ds_read2st64_b32 v[4:5], v1 offset0:2 offset1:35
	ds_read2st64_b32 v[6:7], v3 offset1:1
	ds_read2st64_b32 v[8:9], v1 offset0:68 offset1:101
	ds_read2st64_b32 v[10:11], v3 offset0:33 offset1:34
	ds_read2st64_b32 v[12:13], v3 offset0:66 offset1:67
	ds_read2st64_b32 v[14:15], v3 offset0:99 offset1:100
	s_waitcnt lgkmcnt(4)
	v_cvt_f32_f16_sdwa v17, v6 dst_sel:DWORD dst_unused:UNUSED_PAD src0_sel:WORD_1
	v_cvt_f32_f16_e32 v16, v6
	s_waitcnt lgkmcnt(2)
	v_cvt_f32_f16_sdwa v21, v10 dst_sel:DWORD dst_unused:UNUSED_PAD src0_sel:WORD_1
	v_cvt_f32_f16_e32 v20, v10
	;; [unrolled: 3-line block ×4, first 2 shown]
	v_pk_fma_f32 v[16:17], v[4:5], v[16:17], 0 op_sel_hi:[0,1,0]
	v_mov_b32_e32 v6, v5
	v_add_u32_e32 v18, v40, v2
	v_pk_fma_f32 v[16:17], v[6:7], v[20:21], v[16:17] op_sel_hi:[0,1,1]
	v_ashrrev_i32_e32 v19, 31, v18
	v_pk_fma_f32 v[16:17], v[8:9], v[22:23], v[16:17] op_sel_hi:[0,1,1]
	v_mov_b32_e32 v10, v9
	v_lshl_add_u64 v[18:19], v[18:19], 3, v[122:123]
	v_pk_fma_f32 v[16:17], v[10:11], v[24:25], v[16:17] op_sel_hi:[0,1,1]
	global_store_dwordx2 v[18:19], v[16:17], off
	v_cvt_f32_f16_sdwa v17, v7 dst_sel:DWORD dst_unused:UNUSED_PAD src0_sel:WORD_1
	v_cvt_f32_f16_e32 v16, v7
	v_cvt_f32_f16_sdwa v19, v11 dst_sel:DWORD dst_unused:UNUSED_PAD src0_sel:WORD_1
	v_cvt_f32_f16_e32 v18, v11
	;; [unrolled: 2-line block ×4, first 2 shown]
	v_pk_fma_f32 v[4:5], v[4:5], v[16:17], 0 op_sel_hi:[0,1,0]
	v_ashrrev_i32_e32 v3, 31, v2
	v_pk_fma_f32 v[4:5], v[6:7], v[18:19], v[4:5] op_sel_hi:[0,1,1]
	v_lshl_add_u64 v[2:3], v[40:41], 0, v[2:3]
	v_pk_fma_f32 v[4:5], v[8:9], v[20:21], v[4:5] op_sel_hi:[0,1,1]
	v_lshl_add_u64 v[2:3], v[2:3], 3, v[122:123]
	v_pk_fma_f32 v[4:5], v[10:11], v[12:13], v[4:5] op_sel_hi:[0,1,1]
	v_mov_b32_e32 v1, 0
	global_store_dwordx2 v[2:3], v[4:5], off offset:512
.LBB29_113:                             ;   in Loop: Header=BB29_12 Depth=1
	s_or_b64 exec, exec, s[8:9]
	v_cmp_gt_i32_e32 vcc, s92, v1
	s_mov_b64 s[8:9], -1
	s_and_saveexec_b64 s[12:13], vcc
; %bb.114:                              ;   in Loop: Header=BB29_12 Depth=1
	v_cmp_eq_u32_e32 vcc, 0, v1
	s_orn2_b64 s[8:9], vcc, exec
; %bb.115:                              ;   in Loop: Header=BB29_12 Depth=1
	s_or_b64 exec, exec, s[12:13]
	s_and_b64 exec, exec, s[8:9]
	s_cbranch_execz .LBB29_128
; %bb.116:                              ;   in Loop: Header=BB29_12 Depth=1
	v_accvgpr_read_b32 v1, a42
	v_add_u32_e32 v2, v1, v216
	v_accvgpr_read_b32 v1, a43
	v_or_b32_e32 v1, v1, v43
	v_cmp_gt_i32_e32 vcc, s36, v2
	v_cmp_gt_i32_e64 s[8:9], s3, v1
	s_and_b64 s[12:13], vcc, s[8:9]
	v_mov_b32_e32 v1, 0x47
	s_and_saveexec_b64 s[8:9], s[12:13]
	s_cbranch_execz .LBB29_118
; %bb.117:                              ;   in Loop: Header=BB29_12 Depth=1
	v_mul_lo_u32 v1, v2, s37
	v_accvgpr_read_b32 v2, a43
	v_add_lshl_u32 v2, v1, v2, 7
	v_accvgpr_read_b32 v1, a44
	v_accvgpr_read_b32 v3, a61
	ds_read2st64_b32 v[4:5], v1 offset0:2 offset1:35
	ds_read2st64_b32 v[6:7], v3 offset1:1
	ds_read2st64_b32 v[8:9], v1 offset0:68 offset1:101
	ds_read2st64_b32 v[10:11], v3 offset0:33 offset1:34
	;; [unrolled: 1-line block ×4, first 2 shown]
	s_waitcnt lgkmcnt(4)
	v_cvt_f32_f16_sdwa v17, v6 dst_sel:DWORD dst_unused:UNUSED_PAD src0_sel:WORD_1
	v_cvt_f32_f16_e32 v16, v6
	s_waitcnt lgkmcnt(2)
	v_cvt_f32_f16_sdwa v21, v10 dst_sel:DWORD dst_unused:UNUSED_PAD src0_sel:WORD_1
	v_cvt_f32_f16_e32 v20, v10
	;; [unrolled: 3-line block ×4, first 2 shown]
	v_pk_fma_f32 v[16:17], v[4:5], v[16:17], 0 op_sel_hi:[0,1,0]
	v_mov_b32_e32 v6, v5
	v_add_u32_e32 v18, v40, v2
	v_pk_fma_f32 v[16:17], v[6:7], v[20:21], v[16:17] op_sel_hi:[0,1,1]
	v_ashrrev_i32_e32 v19, 31, v18
	v_pk_fma_f32 v[16:17], v[8:9], v[22:23], v[16:17] op_sel_hi:[0,1,1]
	v_mov_b32_e32 v10, v9
	v_lshl_add_u64 v[18:19], v[18:19], 3, v[122:123]
	v_pk_fma_f32 v[16:17], v[10:11], v[24:25], v[16:17] op_sel_hi:[0,1,1]
	global_store_dwordx2 v[18:19], v[16:17], off
	v_cvt_f32_f16_sdwa v17, v7 dst_sel:DWORD dst_unused:UNUSED_PAD src0_sel:WORD_1
	v_cvt_f32_f16_e32 v16, v7
	v_cvt_f32_f16_sdwa v19, v11 dst_sel:DWORD dst_unused:UNUSED_PAD src0_sel:WORD_1
	v_cvt_f32_f16_e32 v18, v11
	;; [unrolled: 2-line block ×4, first 2 shown]
	v_pk_fma_f32 v[4:5], v[4:5], v[16:17], 0 op_sel_hi:[0,1,0]
	v_ashrrev_i32_e32 v3, 31, v2
	v_pk_fma_f32 v[4:5], v[6:7], v[18:19], v[4:5] op_sel_hi:[0,1,1]
	v_lshl_add_u64 v[2:3], v[40:41], 0, v[2:3]
	v_pk_fma_f32 v[4:5], v[8:9], v[20:21], v[4:5] op_sel_hi:[0,1,1]
	v_lshl_add_u64 v[2:3], v[2:3], 3, v[122:123]
	v_pk_fma_f32 v[4:5], v[10:11], v[12:13], v[4:5] op_sel_hi:[0,1,1]
	v_mov_b32_e32 v1, 0
	global_store_dwordx2 v[2:3], v[4:5], off offset:512
.LBB29_118:                             ;   in Loop: Header=BB29_12 Depth=1
	s_or_b64 exec, exec, s[8:9]
	v_cmp_gt_i32_e32 vcc, s92, v1
	s_mov_b64 s[8:9], -1
	s_and_saveexec_b64 s[12:13], vcc
; %bb.119:                              ;   in Loop: Header=BB29_12 Depth=1
	v_cmp_eq_u32_e32 vcc, 0, v1
	s_orn2_b64 s[8:9], vcc, exec
; %bb.120:                              ;   in Loop: Header=BB29_12 Depth=1
	s_or_b64 exec, exec, s[12:13]
	s_and_b64 exec, exec, s[8:9]
	s_cbranch_execz .LBB29_128
; %bb.121:                              ;   in Loop: Header=BB29_12 Depth=1
	v_accvgpr_read_b32 v1, a45
	v_add_u32_e32 v2, v1, v216
	v_accvgpr_read_b32 v1, a46
	v_or_b32_e32 v1, v1, v43
	v_cmp_gt_i32_e32 vcc, s36, v2
	v_cmp_gt_i32_e64 s[8:9], s3, v1
	s_and_b64 s[12:13], vcc, s[8:9]
	v_mov_b32_e32 v1, 0x47
	s_and_saveexec_b64 s[8:9], s[12:13]
	s_cbranch_execz .LBB29_123
; %bb.122:                              ;   in Loop: Header=BB29_12 Depth=1
	v_mul_lo_u32 v1, v2, s37
	v_accvgpr_read_b32 v2, a46
	v_add_lshl_u32 v2, v1, v2, 7
	v_accvgpr_read_b32 v1, a47
	v_accvgpr_read_b32 v3, a62
	ds_read2st64_b32 v[4:5], v1 offset0:2 offset1:35
	ds_read2st64_b32 v[6:7], v3 offset1:1
	ds_read2st64_b32 v[8:9], v1 offset0:68 offset1:101
	ds_read2st64_b32 v[10:11], v3 offset0:33 offset1:34
	;; [unrolled: 1-line block ×4, first 2 shown]
	s_waitcnt lgkmcnt(4)
	v_cvt_f32_f16_sdwa v17, v6 dst_sel:DWORD dst_unused:UNUSED_PAD src0_sel:WORD_1
	v_cvt_f32_f16_e32 v16, v6
	s_waitcnt lgkmcnt(2)
	v_cvt_f32_f16_sdwa v21, v10 dst_sel:DWORD dst_unused:UNUSED_PAD src0_sel:WORD_1
	v_cvt_f32_f16_e32 v20, v10
	;; [unrolled: 3-line block ×4, first 2 shown]
	v_pk_fma_f32 v[16:17], v[4:5], v[16:17], 0 op_sel_hi:[0,1,0]
	v_mov_b32_e32 v6, v5
	v_add_u32_e32 v18, v40, v2
	v_pk_fma_f32 v[16:17], v[6:7], v[20:21], v[16:17] op_sel_hi:[0,1,1]
	v_ashrrev_i32_e32 v19, 31, v18
	v_pk_fma_f32 v[16:17], v[8:9], v[22:23], v[16:17] op_sel_hi:[0,1,1]
	v_mov_b32_e32 v10, v9
	v_lshl_add_u64 v[18:19], v[18:19], 3, v[122:123]
	v_pk_fma_f32 v[16:17], v[10:11], v[24:25], v[16:17] op_sel_hi:[0,1,1]
	global_store_dwordx2 v[18:19], v[16:17], off
	v_cvt_f32_f16_sdwa v17, v7 dst_sel:DWORD dst_unused:UNUSED_PAD src0_sel:WORD_1
	v_cvt_f32_f16_e32 v16, v7
	v_cvt_f32_f16_sdwa v19, v11 dst_sel:DWORD dst_unused:UNUSED_PAD src0_sel:WORD_1
	v_cvt_f32_f16_e32 v18, v11
	v_cvt_f32_f16_sdwa v21, v13 dst_sel:DWORD dst_unused:UNUSED_PAD src0_sel:WORD_1
	v_cvt_f32_f16_e32 v20, v13
	v_cvt_f32_f16_sdwa v13, v15 dst_sel:DWORD dst_unused:UNUSED_PAD src0_sel:WORD_1
	v_cvt_f32_f16_e32 v12, v15
	v_pk_fma_f32 v[4:5], v[4:5], v[16:17], 0 op_sel_hi:[0,1,0]
	v_ashrrev_i32_e32 v3, 31, v2
	v_pk_fma_f32 v[4:5], v[6:7], v[18:19], v[4:5] op_sel_hi:[0,1,1]
	v_lshl_add_u64 v[2:3], v[40:41], 0, v[2:3]
	v_pk_fma_f32 v[4:5], v[8:9], v[20:21], v[4:5] op_sel_hi:[0,1,1]
	v_lshl_add_u64 v[2:3], v[2:3], 3, v[122:123]
	v_pk_fma_f32 v[4:5], v[10:11], v[12:13], v[4:5] op_sel_hi:[0,1,1]
	v_mov_b32_e32 v1, 0
	global_store_dwordx2 v[2:3], v[4:5], off offset:512
.LBB29_123:                             ;   in Loop: Header=BB29_12 Depth=1
	s_or_b64 exec, exec, s[8:9]
	v_cmp_gt_i32_e32 vcc, s92, v1
	s_mov_b64 s[8:9], -1
	s_and_saveexec_b64 s[12:13], vcc
; %bb.124:                              ;   in Loop: Header=BB29_12 Depth=1
	v_cmp_eq_u32_e32 vcc, 0, v1
	s_orn2_b64 s[8:9], vcc, exec
; %bb.125:                              ;   in Loop: Header=BB29_12 Depth=1
	s_or_b64 exec, exec, s[12:13]
	s_and_b64 exec, exec, s[8:9]
	s_cbranch_execz .LBB29_128
; %bb.126:                              ;   in Loop: Header=BB29_12 Depth=1
	v_accvgpr_read_b32 v1, a48
	v_accvgpr_read_b32 v2, a49
	v_add_u32_e32 v1, v1, v216
	v_or_b32_e32 v2, v2, v43
	v_cmp_gt_i32_e32 vcc, s36, v1
	v_cmp_gt_i32_e64 s[8:9], s3, v2
	s_and_b64 s[8:9], vcc, s[8:9]
	s_and_b64 exec, exec, s[8:9]
	s_cbranch_execz .LBB29_128
; %bb.127:                              ;   in Loop: Header=BB29_12 Depth=1
	v_mul_lo_u32 v1, v1, s37
	v_accvgpr_read_b32 v2, a49
	v_add_lshl_u32 v2, v1, v2, 7
	v_accvgpr_read_b32 v1, a50
	v_accvgpr_read_b32 v3, a63
	ds_read2st64_b32 v[4:5], v1 offset0:2 offset1:35
	ds_read2st64_b32 v[6:7], v3 offset1:1
	ds_read2st64_b32 v[8:9], v1 offset0:68 offset1:101
	ds_read2st64_b32 v[10:11], v3 offset0:33 offset1:34
	ds_read2st64_b32 v[12:13], v3 offset0:66 offset1:67
	ds_read2st64_b32 v[14:15], v3 offset0:99 offset1:100
	s_waitcnt lgkmcnt(4)
	v_cvt_f32_f16_sdwa v17, v6 dst_sel:DWORD dst_unused:UNUSED_PAD src0_sel:WORD_1
	v_cvt_f32_f16_e32 v16, v6
	s_waitcnt lgkmcnt(2)
	v_cvt_f32_f16_sdwa v21, v10 dst_sel:DWORD dst_unused:UNUSED_PAD src0_sel:WORD_1
	v_cvt_f32_f16_e32 v20, v10
	;; [unrolled: 3-line block ×4, first 2 shown]
	v_pk_fma_f32 v[16:17], v[4:5], v[16:17], 0 op_sel_hi:[0,1,0]
	v_mov_b32_e32 v6, v5
	v_add_u32_e32 v18, v40, v2
	v_pk_fma_f32 v[16:17], v[6:7], v[20:21], v[16:17] op_sel_hi:[0,1,1]
	v_ashrrev_i32_e32 v19, 31, v18
	v_pk_fma_f32 v[16:17], v[8:9], v[22:23], v[16:17] op_sel_hi:[0,1,1]
	v_mov_b32_e32 v10, v9
	v_lshl_add_u64 v[18:19], v[18:19], 3, v[122:123]
	v_pk_fma_f32 v[16:17], v[10:11], v[24:25], v[16:17] op_sel_hi:[0,1,1]
	global_store_dwordx2 v[18:19], v[16:17], off
	v_cvt_f32_f16_sdwa v17, v7 dst_sel:DWORD dst_unused:UNUSED_PAD src0_sel:WORD_1
	v_cvt_f32_f16_e32 v16, v7
	v_cvt_f32_f16_sdwa v19, v11 dst_sel:DWORD dst_unused:UNUSED_PAD src0_sel:WORD_1
	v_cvt_f32_f16_e32 v18, v11
	;; [unrolled: 2-line block ×4, first 2 shown]
	v_pk_fma_f32 v[4:5], v[4:5], v[16:17], 0 op_sel_hi:[0,1,0]
	v_ashrrev_i32_e32 v3, 31, v2
	v_pk_fma_f32 v[4:5], v[6:7], v[18:19], v[4:5] op_sel_hi:[0,1,1]
	v_lshl_add_u64 v[2:3], v[40:41], 0, v[2:3]
	v_pk_fma_f32 v[4:5], v[8:9], v[20:21], v[4:5] op_sel_hi:[0,1,1]
	v_lshl_add_u64 v[2:3], v[2:3], 3, v[122:123]
	v_pk_fma_f32 v[4:5], v[10:11], v[12:13], v[4:5] op_sel_hi:[0,1,1]
	global_store_dwordx2 v[2:3], v[4:5], off offset:512
.LBB29_128:                             ;   in Loop: Header=BB29_12 Depth=1
	s_or_b64 exec, exec, s[70:71]
	s_barrier
	s_branch .LBB29_11
.LBB29_129:                             ;   in Loop: Header=BB29_12 Depth=1
	v_cmp_le_i32_e64 s[8:9], s36, v147
	v_cmp_le_i32_e64 s[12:13], s3, v148
	v_cmp_gt_i32_e32 vcc, s3, v148
	s_or_b64 s[8:9], s[8:9], s[12:13]
	s_and_saveexec_b64 s[12:13], s[8:9]
	s_xor_b64 s[8:9], exec, s[12:13]
; %bb.130:                              ;   in Loop: Header=BB29_12 Depth=1
	v_add_u32_e32 v1, v230, v254
	ds_write2st64_b32 v1, v45, v45 offset1:1
                                        ; implicit-def: $vgpr147
; %bb.131:                              ;   in Loop: Header=BB29_12 Depth=1
	s_andn2_saveexec_b64 s[8:9], s[8:9]
	s_cbranch_execz .LBB29_133
; %bb.132:                              ;   in Loop: Header=BB29_12 Depth=1
	v_mad_u64_u32 v[2:3], s[12:13], v147, s55, v[80:81]
	v_ashrrev_i32_e32 v3, 31, v2
	v_lshl_add_u64 v[2:3], v[2:3], 3, v[142:143]
	global_load_dwordx2 v[4:5], v[2:3], off
	s_nop 0
	global_load_dwordx2 v[2:3], v[2:3], off offset:512
	s_waitcnt vmcnt(1)
	v_cvt_pk_f16_f32 v1, v4, v5
	s_waitcnt vmcnt(0)
	v_cvt_pk_f16_f32 v2, v2, v3
	v_pk_mul_f16 v1, v1, v81
	v_pk_mul_f16 v2, v2, v81
	ds_write2st64_b32 v255, v1, v2 offset1:1
.LBB29_133:                             ;   in Loop: Header=BB29_12 Depth=1
	s_or_b64 exec, exec, s[8:9]
	v_add_u32_e32 v1, v227, v216
	v_cmp_le_i32_e64 s[8:9], s36, v1
	s_xor_b64 s[12:13], vcc, -1
	s_or_b64 s[8:9], s[8:9], s[12:13]
	s_and_saveexec_b64 s[70:71], s[8:9]
	s_xor_b64 s[8:9], exec, s[70:71]
; %bb.134:                              ;   in Loop: Header=BB29_12 Depth=1
	v_add_u32_e32 v1, v230, v254
	v_add_u32_e32 v1, 64, v1
	ds_write2st64_b32 v1, v45, v45 offset0:8 offset1:9
                                        ; implicit-def: $vgpr1
; %bb.135:                              ;   in Loop: Header=BB29_12 Depth=1
	s_andn2_saveexec_b64 s[8:9], s[8:9]
	s_cbranch_execz .LBB29_137
; %bb.136:                              ;   in Loop: Header=BB29_12 Depth=1
	v_mad_u64_u32 v[2:3], s[70:71], v1, s55, v[80:81]
	v_ashrrev_i32_e32 v3, 31, v2
	v_lshl_add_u64 v[2:3], v[2:3], 3, v[142:143]
	global_load_dwordx2 v[4:5], v[2:3], off
	s_nop 0
	global_load_dwordx2 v[2:3], v[2:3], off offset:512
	s_waitcnt vmcnt(1)
	v_cvt_pk_f16_f32 v1, v4, v5
	s_waitcnt vmcnt(0)
	v_cvt_pk_f16_f32 v2, v2, v3
	v_pk_mul_f16 v1, v1, v81
	v_pk_mul_f16 v2, v2, v81
	ds_write2st64_b32 v228, v1, v2 offset1:1
.LBB29_137:                             ;   in Loop: Header=BB29_12 Depth=1
	s_or_b64 exec, exec, s[8:9]
	v_add_u32_e32 v1, v224, v216
	v_cmp_le_i32_e32 vcc, s36, v1
	s_or_b64 s[8:9], vcc, s[12:13]
	s_and_saveexec_b64 s[70:71], s[8:9]
	s_xor_b64 s[8:9], exec, s[70:71]
; %bb.138:                              ;   in Loop: Header=BB29_12 Depth=1
	v_add_u32_e32 v1, v230, v254
	v_add_u32_e32 v1, 0x80, v1
	ds_write2st64_b32 v1, v45, v45 offset0:16 offset1:17
                                        ; implicit-def: $vgpr1
; %bb.139:                              ;   in Loop: Header=BB29_12 Depth=1
	s_andn2_saveexec_b64 s[8:9], s[8:9]
	s_cbranch_execz .LBB29_141
; %bb.140:                              ;   in Loop: Header=BB29_12 Depth=1
	v_mad_u64_u32 v[2:3], s[70:71], v1, s55, v[80:81]
	v_ashrrev_i32_e32 v3, 31, v2
	v_lshl_add_u64 v[2:3], v[2:3], 3, v[142:143]
	global_load_dwordx2 v[4:5], v[2:3], off
	s_nop 0
	global_load_dwordx2 v[2:3], v[2:3], off offset:512
	s_waitcnt vmcnt(1)
	v_cvt_pk_f16_f32 v1, v4, v5
	s_waitcnt vmcnt(0)
	v_cvt_pk_f16_f32 v2, v2, v3
	v_pk_mul_f16 v1, v1, v81
	v_pk_mul_f16 v2, v2, v81
	ds_write2st64_b32 v225, v1, v2 offset1:1
.LBB29_141:                             ;   in Loop: Header=BB29_12 Depth=1
	s_or_b64 exec, exec, s[8:9]
	v_add_u32_e32 v1, v221, v216
	v_cmp_le_i32_e32 vcc, s36, v1
	s_or_b64 s[8:9], vcc, s[12:13]
	s_and_saveexec_b64 s[12:13], s[8:9]
	s_xor_b64 s[8:9], exec, s[12:13]
; %bb.142:                              ;   in Loop: Header=BB29_12 Depth=1
	v_add_u32_e32 v1, v230, v254
	v_add_u32_e32 v1, 0xc0, v1
	ds_write2st64_b32 v1, v45, v45 offset0:24 offset1:25
                                        ; implicit-def: $vgpr1
                                        ; implicit-def: $vgpr142_vgpr143
; %bb.143:                              ;   in Loop: Header=BB29_12 Depth=1
	s_andn2_saveexec_b64 s[8:9], s[8:9]
	s_cbranch_execz .LBB29_145
; %bb.144:                              ;   in Loop: Header=BB29_12 Depth=1
	v_mad_u64_u32 v[2:3], s[12:13], v1, s55, v[80:81]
	v_ashrrev_i32_e32 v3, 31, v2
	v_lshl_add_u64 v[2:3], v[2:3], 3, v[142:143]
	global_load_dwordx2 v[4:5], v[2:3], off
	s_nop 0
	global_load_dwordx2 v[2:3], v[2:3], off offset:512
	s_waitcnt vmcnt(1)
	v_cvt_pk_f16_f32 v1, v4, v5
	s_waitcnt vmcnt(0)
	v_cvt_pk_f16_f32 v2, v2, v3
	v_pk_mul_f16 v1, v1, v81
	v_pk_mul_f16 v2, v2, v81
	ds_write2st64_b32 v246, v1, v2 offset1:1
.LBB29_145:                             ;   in Loop: Header=BB29_12 Depth=1
	s_or_b64 exec, exec, s[8:9]
	s_waitcnt lgkmcnt(0)
	s_barrier
	ds_read2_b64 v[30:33], v172 offset1:4
	ds_read2_b64 v[26:29], v172 offset0:8 offset1:12
	ds_read2_b64 v[22:25], v172 offset0:16 offset1:20
	;; [unrolled: 1-line block ×7, first 2 shown]
	v_cmp_gt_i32_e32 vcc, 2, v146
	s_waitcnt lgkmcnt(0)
	s_barrier
	s_cbranch_vccnz .LBB29_150
; %bb.146:                              ;   in Loop: Header=BB29_12 Depth=1
	v_add_u32_e32 v1, v216, v173
	v_mul_hi_u32 v34, s34, v1
	v_add_u32_e32 v34, v1, v34
	v_lshrrev_b32_e32 v34, s35, v34
	v_mul_lo_u32 v34, v34, s36
	v_sub_u32_e32 v1, v1, v34
	v_and_b32_e32 v34, 64, v219
	v_add_u32_e32 v34, 64, v34
	v_xor_b32_e32 v35, 32, v219
	v_cmp_lt_i32_e32 vcc, v35, v34
	v_accvgpr_read_b32 v36, a66
	v_accvgpr_read_b32 v37, a67
	v_cndmask_b32_e32 v35, v219, v35, vcc
	v_lshlrev_b32_e32 v213, 2, v35
	v_xor_b32_e32 v35, 16, v219
	v_cmp_lt_i32_e32 vcc, v35, v34
	v_add_u32_e32 v214, -1, v146
	v_mov_b32_e32 v210, 0
	v_cndmask_b32_e32 v34, v219, v35, vcc
	v_lshlrev_b32_e32 v242, 2, v34
	v_mad_i64_i32 v[34:35], s[8:9], s62, v1, v[136:137]
	v_lshl_add_u64 v[136:137], v[36:37], 0, v[34:35]
	v_accvgpr_read_b32 v36, a68
	v_lshl_add_u64 v[34:35], v[138:139], 0, v[140:141]
	v_accvgpr_read_b32 v37, a69
	;; [unrolled: 2-line block ×3, first 2 shown]
	v_accvgpr_read_b32 v37, a71
	v_lshl_add_u64 v[140:141], v[36:37], 0, v[34:35]
	v_accvgpr_read_b32 v36, a72
	v_accvgpr_read_b32 v37, a73
	v_lshl_add_u64 v[142:143], v[36:37], 0, v[34:35]
	v_accvgpr_read_b32 v36, a74
	;; [unrolled: 3-line block ×6, first 2 shown]
	v_accvgpr_read_b32 v37, a83
	v_lshl_add_u64 v[152:153], v[36:37], 0, v[34:35]
	v_lshl_add_u64 v[34:35], v[132:133], 0, v[134:135]
	v_lshl_add_u64 v[132:133], v[106:107], 0, v[34:35]
	v_lshl_add_u64 v[134:135], v[108:109], 0, v[34:35]
	v_lshl_add_u64 v[154:155], v[110:111], 0, v[34:35]
	v_lshl_add_u64 v[156:157], v[112:113], 0, v[34:35]
	v_lshl_add_u64 v[158:159], v[114:115], 0, v[34:35]
	v_lshl_add_u64 v[160:161], v[116:117], 0, v[34:35]
	v_lshl_add_u64 v[162:163], v[118:119], 0, v[34:35]
	v_lshl_add_u64 v[164:165], v[120:121], 0, v[34:35]
	v_mov_b32_e32 v35, 0xfeffffff
	v_mov_b32_e32 v34, 0
	;; [unrolled: 1-line block ×34, first 2 shown]
	s_and_saveexec_b64 s[8:9], s[4:5]
	s_cbranch_execz .LBB29_148
.LBB29_147:                             ;   in Loop: Header=BB29_12 Depth=1
	global_load_dword v39, v[136:137], off
	s_waitcnt vmcnt(0)
	ds_write_b32 v183, v39 offset:33792
.LBB29_148:                             ;   Parent Loop BB29_12 Depth=1
                                        ; =>  This Inner Loop Header: Depth=2
	s_or_b64 exec, exec, s[8:9]
	v_lshl_add_u64 v[88:89], v[132:133], 0, v[82:83]
	global_load_dwordx4 v[88:91], v[88:89], off
	v_lshl_add_u64 v[92:93], v[134:135], 0, v[82:83]
	v_lshl_add_u64 v[94:95], v[154:155], 0, v[82:83]
	;; [unrolled: 1-line block ×7, first 2 shown]
	v_add_u32_e32 v39, 0x8400, v176
	v_add_u32_e32 v44, -1, v44
	v_lshl_add_u64 v[136:137], v[136:137], 0, s[68:69]
	v_lshl_add_u64 v[132:133], v[132:133], 0, s[66:67]
	;; [unrolled: 1-line block ×9, first 2 shown]
	s_waitcnt vmcnt(0)
	ds_write_b128 v174, v[88:91]
	global_load_dwordx4 v[88:91], v[92:93], off
	v_lshl_add_u64 v[92:93], v[144:145], 0, v[82:83]
	v_lshl_add_u64 v[144:145], v[144:145], 0, s[64:65]
	s_waitcnt vmcnt(0)
	ds_write_b128 v247, v[88:91]
	global_load_dwordx4 v[88:91], v[94:95], off
	v_lshl_add_u64 v[94:95], v[146:147], 0, v[82:83]
	v_lshl_add_u64 v[146:147], v[146:147], 0, s[64:65]
	;; [unrolled: 5-line block ×5, first 2 shown]
	s_waitcnt vmcnt(0)
	ds_write_b128 v251, v[88:91]
	global_load_dwordx4 v[88:91], v[102:103], off
	s_waitcnt vmcnt(0)
	ds_write_b128 v252, v[88:91]
	global_load_dwordx4 v[88:91], v[104:105], off
	s_waitcnt vmcnt(0)
	ds_write_b128 v253, v[88:91]
	s_waitcnt lgkmcnt(0)
	s_barrier
	ds_read2_b64 v[88:91], v175 offset1:4
	s_waitcnt lgkmcnt(0)
	v_mfma_f32_16x16x16_f16 a[0:3], v[88:89], v[30:31], 0
	v_mfma_f32_16x16x16_f16 a[0:3], v[90:91], v[32:33], a[0:3]
	ds_read2_b64 v[88:91], v175 offset0:8 offset1:12
	s_waitcnt lgkmcnt(0)
	v_mfma_f32_16x16x16_f16 a[0:3], v[88:89], v[26:27], a[0:3]
	v_mfma_f32_16x16x16_f16 a[0:3], v[90:91], v[28:29], a[0:3]
	ds_read2_b64 v[88:91], v175 offset0:16 offset1:20
	;; [unrolled: 4-line block ×7, first 2 shown]
	s_waitcnt lgkmcnt(0)
	s_barrier
	v_mfma_f32_16x16x16_f16 a[0:3], v[88:89], v[2:3], a[0:3]
	ds_read2_b32 v[88:89], v39 offset1:1
	s_waitcnt lgkmcnt(0)
	v_cvt_f32_f16_e32 v39, v88
	v_mfma_f32_16x16x16_f16 a[0:3], v[90:91], v[4:5], a[0:3]
	v_cvt_f32_f16_sdwa v47, v88 dst_sel:DWORD dst_unused:UNUSED_PAD src0_sel:WORD_1
	v_cvt_f32_f16_sdwa v88, v89 dst_sel:DWORD dst_unused:UNUSED_PAD src0_sel:WORD_1
	s_nop 5
	v_accvgpr_read_b32 v86, a0
	v_add_f32_e32 v39, v86, v39
	v_accvgpr_read_b32 v86, a1
	v_add_f32_e32 v47, v86, v47
	v_cvt_f32_f16_e32 v86, v89
	v_accvgpr_read_b32 v89, a2
	v_add_f32_e32 v90, 0x40051340, v47
	v_add_f32_e32 v86, v89, v86
	v_accvgpr_read_b32 v89, a3
	v_add_f32_e32 v88, v89, v88
	v_add_f32_e32 v89, 0x40051340, v39
	v_max3_f32 v89, v35, v89, v90
	v_add_f32_e32 v90, 0x40051340, v86
	v_add_f32_e32 v91, 0x40051340, v88
	v_max3_f32 v89, v89, v90, v91
	ds_bpermute_b32 v90, v213, v89
	s_waitcnt lgkmcnt(0)
	v_max_f32_e32 v90, v90, v90
	v_max_f32_e32 v89, v89, v90
	ds_bpermute_b32 v90, v242, v89
	s_waitcnt lgkmcnt(0)
	v_max_f32_e32 v90, v90, v90
	v_max_f32_e32 v243, v89, v90
	v_sub_f32_e32 v39, v39, v243
	v_mul_f32_e32 v89, 0x3fb8aa3b, v39
	v_fma_f32 v90, v39, s45, -v89
	v_rndne_f32_e32 v91, v89
	v_fmac_f32_e32 v90, 0x32a5705f, v39
	v_sub_f32_e32 v89, v89, v91
	v_add_f32_e32 v89, v89, v90
	v_exp_f32_e32 v89, v89
	v_cvt_i32_f32_e32 v90, v91
	v_cmp_ngt_f32_e32 vcc, s63, v39
	v_sub_f32_e32 v35, v35, v243
	v_ldexp_f32 v89, v89, v90
	v_cndmask_b32_e32 v89, 0, v89, vcc
	v_cmp_nlt_f32_e32 vcc, s89, v39
	v_sub_f32_e32 v39, v47, v243
	v_mul_f32_e32 v47, 0x3fb8aa3b, v39
	v_cndmask_b32_e32 v191, v244, v89, vcc
	v_fma_f32 v89, v39, s45, -v47
	v_rndne_f32_e32 v90, v47
	v_fmac_f32_e32 v89, 0x32a5705f, v39
	v_sub_f32_e32 v47, v47, v90
	v_add_f32_e32 v47, v47, v89
	v_exp_f32_e32 v47, v47
	v_cvt_i32_f32_e32 v89, v90
	v_cmp_ngt_f32_e32 vcc, s63, v39
	v_ldexp_f32 v47, v47, v89
	s_nop 0
	v_cndmask_b32_e32 v47, 0, v47, vcc
	v_cmp_nlt_f32_e32 vcc, s89, v39
	s_nop 1
	v_cndmask_b32_e32 v195, v244, v47, vcc
	v_sub_f32_e32 v47, v86, v243
	v_mul_f32_e32 v86, 0x3fb8aa3b, v47
	v_fma_f32 v89, v47, s45, -v86
	v_rndne_f32_e32 v90, v86
	v_fmac_f32_e32 v89, 0x32a5705f, v47
	v_sub_f32_e32 v86, v86, v90
	v_add_f32_e32 v86, v86, v89
	v_exp_f32_e32 v86, v86
	v_cvt_i32_f32_e32 v89, v90
	v_cmp_ngt_f32_e32 vcc, s63, v47
	v_add_f32_e32 v39, v191, v195
	v_lshl_add_u64 v[90:91], v[142:143], 0, v[82:83]
	v_ldexp_f32 v86, v86, v89
	v_cndmask_b32_e32 v86, 0, v86, vcc
	v_cmp_nlt_f32_e32 vcc, s89, v47
	v_sub_f32_e32 v47, v88, v243
	v_lshl_add_u64 v[142:143], v[142:143], 0, s[64:65]
	v_cndmask_b32_e32 v197, v244, v86, vcc
	v_mul_f32_e32 v86, 0x3fb8aa3b, v47
	v_fma_f32 v88, v47, s45, -v86
	v_rndne_f32_e32 v89, v86
	v_fmac_f32_e32 v88, 0x32a5705f, v47
	v_sub_f32_e32 v86, v86, v89
	v_add_f32_e32 v86, v86, v88
	v_exp_f32_e32 v86, v86
	v_cvt_i32_f32_e32 v88, v89
	v_cmp_ngt_f32_e32 vcc, s63, v47
	v_add_f32_e32 v39, v197, v39
	v_ldexp_f32 v86, v86, v88
	v_cndmask_b32_e32 v86, 0, v86, vcc
	v_cmp_nlt_f32_e32 vcc, s89, v47
	v_lshl_add_u64 v[88:89], v[140:141], 0, v[82:83]
	v_lshl_add_u64 v[140:141], v[140:141], 0, s[64:65]
	v_cndmask_b32_e32 v198, v244, v86, vcc
	v_add_f32_e32 v217, v198, v39
	v_mul_f32_e32 v39, 0x3fb8aa3b, v35
	v_fma_f32 v47, v35, s45, -v39
	v_rndne_f32_e32 v86, v39
	v_fmac_f32_e32 v47, 0x32a5705f, v35
	v_sub_f32_e32 v39, v39, v86
	v_add_f32_e32 v39, v39, v47
	v_exp_f32_e32 v39, v39
	v_cvt_i32_f32_e32 v47, v86
	v_cmp_ngt_f32_e32 vcc, s63, v35
	v_ldexp_f32 v39, v39, v47
	s_nop 0
	v_cndmask_b32_e32 v39, 0, v39, vcc
	v_cmp_nlt_f32_e32 vcc, s89, v35
	s_nop 1
	v_cndmask_b32_e32 v39, v244, v39, vcc
	v_cmp_le_f32_e32 vcc, s90, v35
	s_nop 1
	v_cndmask_b32_e32 v35, 0, v39, vcc
	v_fmac_f32_e32 v217, v34, v35
	v_cvt_f16_f32_e32 v34, v35
	v_cmp_ne_u32_e32 vcc, 0, v44
	s_and_b64 vcc, exec, vcc
	v_mul_u32_u24_e32 v34, 0x10001, v34
	v_pk_mul_f16 v204, v37, v34
	v_pk_mul_f16 v201, v36, v34
	;; [unrolled: 1-line block ×32, first 2 shown]
	v_lshl_add_u64 v[34:35], v[138:139], 0, v[82:83]
	global_load_dwordx4 v[34:37], v[34:35], off
	v_cvt_f32_f16_e32 v102, v239
	v_cvt_f32_f16_sdwa v103, v239 dst_sel:DWORD dst_unused:UNUSED_PAD src0_sel:WORD_1
	v_cvt_f32_f16_e32 v193, v240
	v_lshl_add_u64 v[138:139], v[138:139], 0, s[64:65]
	s_waitcnt vmcnt(0)
	ds_write_b128 v174, v[34:37]
	global_load_dwordx4 v[34:37], v[88:89], off
	s_waitcnt vmcnt(0)
	ds_write_b128 v247, v[34:37]
	global_load_dwordx4 v[34:37], v[90:91], off
	v_cvt_f32_f16_sdwa v91, v204 dst_sel:DWORD dst_unused:UNUSED_PAD src0_sel:WORD_1
	v_accvgpr_write_b32 a1, v91
	s_waitcnt vmcnt(0)
	ds_write_b128 v248, v[34:37]
	global_load_dwordx4 v[34:37], v[92:93], off
	v_cvt_f32_f16_e32 v92, v201
	v_cvt_f32_f16_sdwa v93, v201 dst_sel:DWORD dst_unused:UNUSED_PAD src0_sel:WORD_1
	v_accvgpr_write_b32 a2, v92
	v_accvgpr_write_b32 a3, v93
	v_cvt_f32_f16_e32 v92, v226
	v_cvt_f32_f16_sdwa v93, v226 dst_sel:DWORD dst_unused:UNUSED_PAD src0_sel:WORD_1
	s_waitcnt vmcnt(0)
	ds_write_b128 v249, v[34:37]
	global_load_dwordx4 v[34:37], v[94:95], off
	v_cvt_f32_f16_sdwa v94, v169 dst_sel:DWORD dst_unused:UNUSED_PAD src0_sel:WORD_1
	s_waitcnt vmcnt(0)
	ds_write_b128 v250, v[34:37]
	global_load_dwordx4 v[34:37], v[96:97], off
	v_cvt_f32_f16_e32 v96, v237
	v_cvt_f32_f16_sdwa v97, v237 dst_sel:DWORD dst_unused:UNUSED_PAD src0_sel:WORD_1
	s_waitcnt vmcnt(0)
	ds_write_b128 v251, v[34:37]
	global_load_dwordx4 v[34:37], v[98:99], off
	v_cvt_f32_f16_sdwa v98, v203 dst_sel:DWORD dst_unused:UNUSED_PAD src0_sel:WORD_1
	v_cvt_f32_f16_e32 v99, v202
	s_waitcnt vmcnt(0)
	ds_write_b128 v252, v[34:37]
	global_load_dwordx4 v[34:37], v[100:101], off
	v_cvt_f32_f16_sdwa v100, v202 dst_sel:DWORD dst_unused:UNUSED_PAD src0_sel:WORD_1
	s_waitcnt vmcnt(0)
	ds_write_b128 v253, v[34:37]
	s_waitcnt lgkmcnt(0)
	s_barrier
	ds_read_u16 v36, v177 offset:528
	ds_read_u16 v37, v177 offset:1056
	ds_read_u16 v88, v178
	ds_read_u16 v89, v178 offset:32
	v_cvt_pk_f16_f32 v35, v197, v198
	v_cvt_pk_f16_f32 v34, v191, v195
	s_waitcnt lgkmcnt(1)
	v_perm_b32 v37, v88, v37, s91
	ds_read_u16 v88, v177
	ds_read_u16 v90, v177 offset:32
	s_waitcnt lgkmcnt(1)
	v_perm_b32 v36, v36, v88, s91
	v_cvt_f32_f16_e32 v88, v204
	v_accvgpr_write_b32 a0, v88
	ds_read_u16 v88, v177 offset:560
	ds_read_u16 v91, v177 offset:1088
	v_mfma_f32_16x16x16_f16 a[0:3], v[36:37], v[34:35], a[0:3]
	s_waitcnt lgkmcnt(1)
	v_perm_b32 v88, v88, v90, s91
	s_waitcnt lgkmcnt(0)
	v_perm_b32 v89, v89, v91, s91
	v_cvt_f32_f16_e32 v90, v87
	v_cvt_f32_f16_sdwa v87, v87 dst_sel:DWORD dst_unused:UNUSED_PAD src0_sel:WORD_1
	v_cvt_f32_f16_e32 v91, v86
	v_cvt_f32_f16_sdwa v86, v86 dst_sel:DWORD dst_unused:UNUSED_PAD src0_sel:WORD_1
	v_accvgpr_read_b32 v36, a0
	v_accvgpr_read_b32 v37, a1
	;; [unrolled: 1-line block ×4, first 2 shown]
	v_accvgpr_write_b32 a0, v90
	v_accvgpr_write_b32 a1, v87
	;; [unrolled: 1-line block ×4, first 2 shown]
	v_cvt_f32_f16_e32 v90, v170
	v_cvt_f32_f16_sdwa v91, v170 dst_sel:DWORD dst_unused:UNUSED_PAD src0_sel:WORD_1
	v_mfma_f32_16x16x16_f16 a[0:3], v[88:89], v[34:35], a[0:3]
	ds_read_u16 v86, v177 offset:64
	ds_read_u16 v88, v177 offset:592
	;; [unrolled: 1-line block ×4, first 2 shown]
	v_cvt_pk_f16_f32 v37, v36, v37
	v_cvt_pk_f16_f32 v36, v220, v218
	s_waitcnt lgkmcnt(2)
	v_perm_b32 v86, v88, v86, s91
	v_cvt_f32_f16_e32 v88, v171
	s_waitcnt lgkmcnt(0)
	v_perm_b32 v87, v89, v87, s91
	v_cvt_f32_f16_sdwa v89, v171 dst_sel:DWORD dst_unused:UNUSED_PAD src0_sel:WORD_1
	v_accvgpr_read_b32 v215, a0
	v_accvgpr_read_b32 v212, a1
	;; [unrolled: 1-line block ×4, first 2 shown]
	v_accvgpr_write_b32 a0, v88
	v_accvgpr_write_b32 a1, v89
	;; [unrolled: 1-line block ×4, first 2 shown]
	v_cvt_f32_f16_e32 v90, v47
	v_cvt_f32_f16_sdwa v47, v47 dst_sel:DWORD dst_unused:UNUSED_PAD src0_sel:WORD_1
	v_mfma_f32_16x16x16_f16 a[0:3], v[86:87], v[34:35], a[0:3]
	ds_read_u16 v86, v177 offset:96
	ds_read_u16 v88, v177 offset:624
	;; [unrolled: 1-line block ×4, first 2 shown]
	v_cvt_f32_f16_sdwa v91, v167 dst_sel:DWORD dst_unused:UNUSED_PAD src0_sel:WORD_1
	s_waitcnt lgkmcnt(2)
	v_perm_b32 v86, v88, v86, s91
	v_cvt_f32_f16_e32 v88, v166
	s_waitcnt lgkmcnt(0)
	v_perm_b32 v87, v89, v87, s91
	v_cvt_f32_f16_sdwa v89, v166 dst_sel:DWORD dst_unused:UNUSED_PAD src0_sel:WORD_1
	v_accvgpr_read_b32 v236, a0
	v_accvgpr_read_b32 v207, a1
	;; [unrolled: 1-line block ×4, first 2 shown]
	v_accvgpr_write_b32 a0, v88
	v_accvgpr_write_b32 a1, v89
	v_accvgpr_write_b32 a2, v90
	v_accvgpr_write_b32 a3, v47
	v_cvt_f32_f16_e32 v90, v167
	s_nop 0
	v_mfma_f32_16x16x16_f16 a[0:3], v[86:87], v[34:35], a[0:3]
	ds_read_u16 v47, v177 offset:128
	ds_read_u16 v86, v177 offset:656
	;; [unrolled: 1-line block ×4, first 2 shown]
	s_waitcnt lgkmcnt(2)
	v_perm_b32 v86, v86, v47, s91
	v_cvt_f32_f16_e32 v47, v39
	s_waitcnt lgkmcnt(0)
	v_perm_b32 v87, v88, v87, s91
	v_cvt_f32_f16_sdwa v39, v39 dst_sel:DWORD dst_unused:UNUSED_PAD src0_sel:WORD_1
	v_cvt_f32_f16_e32 v88, v1
	v_cvt_f32_f16_sdwa v1, v1 dst_sel:DWORD dst_unused:UNUSED_PAD src0_sel:WORD_1
	v_accvgpr_read_b32 v198, a0
	v_accvgpr_read_b32 v166, a1
	;; [unrolled: 1-line block ×4, first 2 shown]
	v_accvgpr_write_b32 a0, v47
	v_accvgpr_write_b32 a1, v39
	;; [unrolled: 1-line block ×4, first 2 shown]
	v_cvt_pk_f16_f32 v166, v198, v166
	s_nop 0
	v_mfma_f32_16x16x16_f16 a[0:3], v[86:87], v[34:35], a[0:3]
	ds_read_u16 v86, v177 offset:160
	ds_read_u16 v88, v177 offset:688
	;; [unrolled: 1-line block ×4, first 2 shown]
	s_waitcnt lgkmcnt(2)
	v_perm_b32 v86, v88, v86, s91
	v_cvt_f32_f16_e32 v88, v196
	s_waitcnt lgkmcnt(0)
	v_perm_b32 v87, v89, v87, s91
	v_cvt_f32_f16_sdwa v89, v196 dst_sel:DWORD dst_unused:UNUSED_PAD src0_sel:WORD_1
	v_accvgpr_read_b32 v1, a0
	v_accvgpr_read_b32 v39, a1
	;; [unrolled: 1-line block ×4, first 2 shown]
	v_accvgpr_write_b32 a0, v88
	v_accvgpr_write_b32 a1, v89
	;; [unrolled: 1-line block ×4, first 2 shown]
	v_cvt_f32_f16_e32 v90, v194
	v_cvt_f32_f16_sdwa v91, v194 dst_sel:DWORD dst_unused:UNUSED_PAD src0_sel:WORD_1
	v_mfma_f32_16x16x16_f16 a[0:3], v[86:87], v[34:35], a[0:3]
	ds_read_u16 v86, v177 offset:192
	ds_read_u16 v88, v177 offset:720
	;; [unrolled: 1-line block ×4, first 2 shown]
	s_waitcnt lgkmcnt(2)
	v_perm_b32 v86, v88, v86, s91
	v_cvt_f32_f16_e32 v88, v235
	s_waitcnt lgkmcnt(0)
	v_perm_b32 v87, v89, v87, s91
	v_cvt_f32_f16_sdwa v89, v235 dst_sel:DWORD dst_unused:UNUSED_PAD src0_sel:WORD_1
	v_accvgpr_read_b32 v167, a0
	v_accvgpr_read_b32 v196, a1
	;; [unrolled: 1-line block ×4, first 2 shown]
	v_accvgpr_write_b32 a0, v88
	v_accvgpr_write_b32 a1, v89
	;; [unrolled: 1-line block ×4, first 2 shown]
	ds_read_u16 v88, v177 offset:224
	ds_read_u16 v90, v177 offset:752
	;; [unrolled: 1-line block ×4, first 2 shown]
	v_mfma_f32_16x16x16_f16 a[0:3], v[86:87], v[34:35], a[0:3]
	v_cvt_pk_f16_f32 v196, v167, v196
	s_waitcnt lgkmcnt(2)
	v_perm_b32 v88, v90, v88, s91
	v_cvt_f32_f16_e32 v90, v223
	s_waitcnt lgkmcnt(0)
	v_perm_b32 v89, v91, v89, s91
	v_cvt_f32_f16_sdwa v91, v223 dst_sel:DWORD dst_unused:UNUSED_PAD src0_sel:WORD_1
	v_cvt_pk_f16_f32 v167, v234, v171
	v_cvt_pk_f16_f32 v234, v47, v191
	;; [unrolled: 1-line block ×3, first 2 shown]
	v_accvgpr_read_b32 v194, a0
	v_accvgpr_read_b32 v235, a1
	;; [unrolled: 1-line block ×4, first 2 shown]
	v_accvgpr_write_b32 a0, v90
	v_accvgpr_write_b32 a1, v91
	;; [unrolled: 1-line block ×4, first 2 shown]
	v_cvt_f32_f16_e32 v93, v169
	v_cvt_pk_f16_f32 v235, v194, v235
	v_mfma_f32_16x16x16_f16 a[0:3], v[88:89], v[34:35], a[0:3]
	ds_read_u16 v89, v177 offset:256
	ds_read_u16 v90, v177 offset:784
	;; [unrolled: 1-line block ×4, first 2 shown]
	v_cvt_pk_f16_f32 v194, v86, v87
	v_cvt_pk_f16_f32 v87, v215, v212
	s_waitcnt lgkmcnt(2)
	v_perm_b32 v90, v90, v89, s91
	v_cvt_f32_f16_e32 v89, v229
	s_waitcnt lgkmcnt(0)
	v_perm_b32 v91, v92, v91, s91
	v_cvt_f32_f16_sdwa v92, v229 dst_sel:DWORD dst_unused:UNUSED_PAD src0_sel:WORD_1
	v_accvgpr_read_b32 v223, a1
	v_accvgpr_read_b32 v226, a2
	;; [unrolled: 1-line block ×3, first 2 shown]
	v_accvgpr_write_b32 a1, v92
	v_accvgpr_write_b32 a2, v93
	;; [unrolled: 1-line block ×3, first 2 shown]
	ds_read_u16 v92, v177 offset:288
	ds_read_u16 v94, v177 offset:816
	;; [unrolled: 1-line block ×4, first 2 shown]
	v_accvgpr_read_b32 v192, a0
	v_accvgpr_write_b32 a0, v89
	s_waitcnt lgkmcnt(2)
	v_perm_b32 v92, v94, v92, s91
	v_cvt_f32_f16_e32 v94, v200
	v_mfma_f32_16x16x16_f16 a[0:3], v[90:91], v[34:35], a[0:3]
	s_waitcnt lgkmcnt(0)
	v_perm_b32 v93, v95, v93, s91
	v_cvt_f32_f16_sdwa v95, v200 dst_sel:DWORD dst_unused:UNUSED_PAD src0_sel:WORD_1
	v_cvt_pk_f16_f32 v223, v192, v223
	v_cvt_pk_f16_f32 v226, v226, v88
	;; [unrolled: 1-line block ×4, first 2 shown]
	s_nop 0
	v_accvgpr_read_b32 v89, a0
	v_accvgpr_read_b32 v169, a1
	;; [unrolled: 1-line block ×4, first 2 shown]
	v_accvgpr_write_b32 a0, v94
	v_accvgpr_write_b32 a1, v95
	;; [unrolled: 1-line block ×4, first 2 shown]
	v_cvt_f32_f16_e32 v97, v203
	s_nop 0
	v_mfma_f32_16x16x16_f16 a[0:3], v[92:93], v[34:35], a[0:3]
	ds_read_u16 v93, v177 offset:320
	ds_read_u16 v94, v177 offset:848
	;; [unrolled: 1-line block ×4, first 2 shown]
	s_waitcnt lgkmcnt(2)
	v_perm_b32 v94, v94, v93, s91
	v_cvt_f32_f16_e32 v93, v199
	s_waitcnt lgkmcnt(0)
	v_perm_b32 v95, v96, v95, s91
	v_cvt_f32_f16_sdwa v96, v199 dst_sel:DWORD dst_unused:UNUSED_PAD src0_sel:WORD_1
	v_accvgpr_read_b32 v200, a0
	v_accvgpr_read_b32 v229, a1
	;; [unrolled: 1-line block ×4, first 2 shown]
	v_accvgpr_write_b32 a0, v93
	v_accvgpr_write_b32 a1, v96
	;; [unrolled: 1-line block ×4, first 2 shown]
	v_cvt_pk_f16_f32 v200, v200, v229
	v_cvt_pk_f16_f32 v237, v237, v92
	v_mfma_f32_16x16x16_f16 a[0:3], v[94:95], v[34:35], a[0:3]
	ds_read_u16 v95, v177 offset:352
	ds_read_u16 v96, v177 offset:880
	;; [unrolled: 1-line block ×4, first 2 shown]
	v_cvt_pk_f16_f32 v229, v89, v169
	v_cvt_pk_f16_f32 v169, v90, v91
	s_waitcnt lgkmcnt(2)
	v_perm_b32 v96, v96, v95, s91
	v_cvt_f32_f16_e32 v95, v238
	s_waitcnt lgkmcnt(0)
	v_perm_b32 v97, v98, v97, s91
	v_cvt_f32_f16_sdwa v98, v238 dst_sel:DWORD dst_unused:UNUSED_PAD src0_sel:WORD_1
	v_accvgpr_read_b32 v199, a1
	v_accvgpr_read_b32 v203, a2
	;; [unrolled: 1-line block ×3, first 2 shown]
	v_accvgpr_write_b32 a1, v98
	v_accvgpr_write_b32 a2, v99
	;; [unrolled: 1-line block ×3, first 2 shown]
	ds_read_u16 v98, v177 offset:384
	ds_read_u16 v100, v177 offset:912
	;; [unrolled: 1-line block ×4, first 2 shown]
	v_accvgpr_read_b32 v93, a0
	v_accvgpr_write_b32 a0, v95
	s_waitcnt lgkmcnt(2)
	v_perm_b32 v98, v100, v98, s91
	v_cvt_f32_f16_e32 v100, v206
	v_mfma_f32_16x16x16_f16 a[0:3], v[96:97], v[34:35], a[0:3]
	s_waitcnt lgkmcnt(0)
	v_perm_b32 v99, v101, v99, s91
	v_cvt_f32_f16_sdwa v101, v206 dst_sel:DWORD dst_unused:UNUSED_PAD src0_sel:WORD_1
	v_cvt_pk_f16_f32 v199, v93, v199
	v_cvt_pk_f16_f32 v203, v203, v94
	s_nop 2
	v_accvgpr_read_b32 v95, a0
	v_accvgpr_read_b32 v202, a1
	;; [unrolled: 1-line block ×4, first 2 shown]
	v_accvgpr_write_b32 a0, v100
	v_accvgpr_write_b32 a1, v101
	;; [unrolled: 1-line block ×4, first 2 shown]
	s_nop 1
	v_mfma_f32_16x16x16_f16 a[0:3], v[98:99], v[34:35], a[0:3]
	ds_read_u16 v98, v177 offset:416
	ds_read_u16 v104, v177 offset:944
	;; [unrolled: 1-line block ×4, first 2 shown]
	s_waitcnt lgkmcnt(2)
	v_perm_b32 v98, v104, v98, s91
	v_cvt_f32_f16_e32 v104, v205
	s_waitcnt lgkmcnt(0)
	v_perm_b32 v99, v105, v99, s91
	v_cvt_f32_f16_sdwa v105, v205 dst_sel:DWORD dst_unused:UNUSED_PAD src0_sel:WORD_1
	v_cvt_f32_f16_sdwa v205, v240 dst_sel:DWORD dst_unused:UNUSED_PAD src0_sel:WORD_1
	v_accvgpr_read_b32 v100, a0
	v_accvgpr_read_b32 v101, a1
	;; [unrolled: 1-line block ×4, first 2 shown]
	v_accvgpr_write_b32 a0, v104
	v_accvgpr_write_b32 a1, v105
	;; [unrolled: 1-line block ×4, first 2 shown]
	s_nop 1
	v_mfma_f32_16x16x16_f16 a[0:3], v[98:99], v[34:35], a[0:3]
	ds_read_u16 v98, v177 offset:448
	ds_read_u16 v193, v177 offset:976
	;; [unrolled: 1-line block ×4, first 2 shown]
	s_waitcnt lgkmcnt(2)
	v_perm_b32 v98, v193, v98, s91
	v_cvt_f32_f16_e32 v193, v208
	s_waitcnt lgkmcnt(0)
	v_perm_b32 v99, v205, v99, s91
	v_cvt_f32_f16_sdwa v205, v208 dst_sel:DWORD dst_unused:UNUSED_PAD src0_sel:WORD_1
	v_cvt_f32_f16_e32 v208, v211
	v_cvt_f32_f16_sdwa v211, v211 dst_sel:DWORD dst_unused:UNUSED_PAD src0_sel:WORD_1
	v_accvgpr_read_b32 v104, a0
	v_accvgpr_read_b32 v105, a1
	;; [unrolled: 1-line block ×4, first 2 shown]
	v_accvgpr_write_b32 a0, v193
	v_accvgpr_write_b32 a1, v205
	;; [unrolled: 1-line block ×4, first 2 shown]
	s_nop 1
	v_mfma_f32_16x16x16_f16 a[0:3], v[98:99], v[34:35], a[0:3]
	ds_read_u16 v98, v177 offset:480
	ds_read_u16 v193, v177 offset:1008
	;; [unrolled: 1-line block ×4, first 2 shown]
	s_waitcnt lgkmcnt(0)
	s_barrier
	v_perm_b32 v98, v193, v98, s91
	v_cvt_f32_f16_e32 v193, v241
	v_perm_b32 v99, v240, v99, s91
	v_cvt_f32_f16_sdwa v240, v241 dst_sel:DWORD dst_unused:UNUSED_PAD src0_sel:WORD_1
	v_cvt_f32_f16_e32 v241, v210
	v_cvt_f32_f16_sdwa v210, v210 dst_sel:DWORD dst_unused:UNUSED_PAD src0_sel:WORD_1
	v_accvgpr_read_b32 v205, a0
	v_accvgpr_read_b32 v208, a1
	;; [unrolled: 1-line block ×4, first 2 shown]
	v_accvgpr_write_b32 a0, v193
	v_accvgpr_write_b32 a1, v240
	;; [unrolled: 1-line block ×4, first 2 shown]
	v_cvt_pk_f16_f32 v208, v205, v208
	v_cvt_pk_f16_f32 v211, v211, v239
	v_mfma_f32_16x16x16_f16 a[0:3], v[98:99], v[34:35], a[0:3]
	v_cvt_pk_f16_f32 v205, v104, v105
	v_cvt_pk_f16_f32 v240, v206, v238
	;; [unrolled: 1-line block ×8, first 2 shown]
	v_accvgpr_read_b32 v34, a0
	v_accvgpr_read_b32 v35, a1
	;; [unrolled: 1-line block ×4, first 2 shown]
	v_cvt_pk_f16_f32 v210, v34, v35
	v_cvt_pk_f16_f32 v193, v98, v99
	s_cbranch_vccz .LBB29_151
; %bb.149:                              ;   in Loop: Header=BB29_148 Depth=2
	v_mov_b32_e32 v34, v217
	v_mov_b32_e32 v35, v243
	s_and_saveexec_b64 s[8:9], s[4:5]
	s_cbranch_execnz .LBB29_147
	s_branch .LBB29_148
.LBB29_150:                             ;   in Loop: Header=BB29_12 Depth=1
	v_mov_b32_e32 v243, 0xfeffffff
	v_mov_b32_e32 v217, 0
	;; [unrolled: 1-line block ×3, first 2 shown]
	v_mov_b64_e32 v[34:35], 0
	v_mov_b32_e32 v37, 0
	v_mov_b32_e32 v171, 0
	v_mov_b32_e32 v87, 0
	v_mov_b32_e32 v1, 0
	v_mov_b32_e32 v170, 0
	v_mov_b32_e32 v192, 0
	v_mov_b32_e32 v166, 0
	v_mov_b32_e32 v234, 0
	v_mov_b32_e32 v241, 0
	v_mov_b32_e32 v167, 0
	v_mov_b32_e32 v196, 0
	v_mov_b32_e32 v194, 0
	v_mov_b32_e32 v235, 0
	v_mov_b32_e32 v226, 0
	v_mov_b32_e32 v223, 0
	v_mov_b32_e32 v169, 0
	v_mov_b32_e32 v229, 0
	v_mov_b32_e32 v237, 0
	v_mov_b32_e32 v200, 0
	v_mov_b32_e32 v203, 0
	v_mov_b32_e32 v199, 0
	v_mov_b32_e32 v202, 0
	v_mov_b32_e32 v238, 0
	v_mov_b32_e32 v239, 0
	v_mov_b32_e32 v206, 0
	v_mov_b32_e32 v240, 0
	v_mov_b32_e32 v205, 0
	v_mov_b32_e32 v211, 0
	v_mov_b32_e32 v208, 0
	v_mov_b32_e32 v193, 0
	v_mov_b32_e32 v210, 0
	s_and_saveexec_b64 s[8:9], s[4:5]
	s_cbranch_execnz .LBB29_152
	s_branch .LBB29_153
.LBB29_151:                             ;   in Loop: Header=BB29_12 Depth=1
	v_lshlrev_b32_e32 v44, 6, v214
	v_mov_b64_e32 v[34:35], v[44:45]
	s_and_saveexec_b64 s[8:9], s[4:5]
	s_cbranch_execz .LBB29_153
.LBB29_152:                             ;   in Loop: Header=BB29_12 Depth=1
	v_lshlrev_b64 v[88:89], 1, v[34:35]
	v_or_b32_e32 v35, v216, v173
	v_mul_hi_u32 v39, s34, v35
	v_add_u32_e32 v39, v35, v39
	v_lshrrev_b32_e32 v39, s35, v39
	v_mul_lo_u32 v39, v39, s36
	v_sub_u32_e32 v35, v35, v39
	v_lshl_add_u64 v[88:89], v[130:131], 0, v[88:89]
	v_mad_i64_i32 v[90:91], s[12:13], v35, s44, 0
	v_lshl_add_u64 v[88:89], v[90:91], 1, v[88:89]
	v_lshlrev_b32_e32 v44, 1, v46
	v_lshl_add_u64 v[88:89], v[88:89], 0, v[44:45]
	global_load_dword v35, v[88:89], off
	s_waitcnt vmcnt(0)
	ds_write_b32 v183, v35 offset:33792
.LBB29_153:                             ;   in Loop: Header=BB29_12 Depth=1
	s_or_b64 exec, exec, s[8:9]
	v_mul_lo_u32 v35, v34, s39
	v_mul_hi_u32 v39, v34, s38
	v_add_u32_e32 v89, v39, v35
	v_mul_lo_u32 v88, v34, s38
	v_lshlrev_b64 v[88:89], 2, v[88:89]
	v_lshl_add_u64 v[88:89], v[128:129], 0, v[88:89]
	v_lshl_add_u64 v[90:91], v[48:49], 2, v[88:89]
	v_lshlrev_b32_e32 v44, 2, v42
	v_lshl_add_u64 v[90:91], v[90:91], 0, v[44:45]
	v_lshl_add_u64 v[92:93], v[50:51], 2, v[88:89]
	;; [unrolled: 1-line block ×9, first 2 shown]
	global_load_dwordx4 v[88:91], v[90:91], off
	v_lshl_add_u64 v[92:93], v[92:93], 0, v[44:45]
	v_lshl_add_u64 v[94:95], v[94:95], 0, v[44:45]
	;; [unrolled: 1-line block ×6, first 2 shown]
	s_waitcnt vmcnt(0)
	ds_write_b128 v174, v[88:91]
	global_load_dwordx4 v[88:91], v[92:93], off
	s_waitcnt vmcnt(0)
	ds_write_b128 v247, v[88:91]
	global_load_dwordx4 v[88:91], v[94:95], off
	s_waitcnt vmcnt(0)
	ds_write_b128 v248, v[88:91]
	global_load_dwordx4 v[88:91], v[96:97], off
	s_waitcnt vmcnt(0)
	ds_write_b128 v249, v[88:91]
	global_load_dwordx4 v[88:91], v[98:99], off
	s_waitcnt vmcnt(0)
	ds_write_b128 v250, v[88:91]
	global_load_dwordx4 v[88:91], v[100:101], off
	s_waitcnt vmcnt(0)
	ds_write_b128 v251, v[88:91]
	global_load_dwordx4 v[88:91], v[102:103], off
	s_waitcnt vmcnt(0)
	ds_write_b128 v252, v[88:91]
	global_load_dwordx4 v[88:91], v[104:105], off
	s_waitcnt vmcnt(0)
	ds_write_b128 v253, v[88:91]
	s_waitcnt lgkmcnt(0)
	s_barrier
	ds_read2_b64 v[88:91], v175 offset1:4
	s_waitcnt lgkmcnt(0)
	v_mfma_f32_16x16x16_f16 a[0:3], v[88:89], v[30:31], 0
	v_mfma_f32_16x16x16_f16 a[0:3], v[90:91], v[32:33], a[0:3]
	ds_read2_b64 v[30:33], v175 offset0:8 offset1:12
	s_waitcnt lgkmcnt(0)
	v_mfma_f32_16x16x16_f16 a[0:3], v[30:31], v[26:27], a[0:3]
	v_mfma_f32_16x16x16_f16 a[0:3], v[32:33], v[28:29], a[0:3]
	ds_read2_b64 v[26:29], v175 offset0:16 offset1:20
	;; [unrolled: 4-line block ×7, first 2 shown]
	s_waitcnt lgkmcnt(0)
	s_barrier
	v_mfma_f32_16x16x16_f16 a[0:3], v[6:7], v[2:3], a[0:3]
	v_add_u32_e32 v2, 0x8400, v176
	ds_read2_b32 v[2:3], v2 offset1:1
	v_mfma_f32_16x16x16_f16 a[0:3], v[8:9], v[4:5], a[0:3]
	s_waitcnt lgkmcnt(0)
	v_cvt_f32_f16_e32 v4, v2
	v_cvt_f32_f16_sdwa v2, v2 dst_sel:DWORD dst_unused:UNUSED_PAD src0_sel:WORD_1
	s_nop 4
	v_accvgpr_read_b32 v5, a0
	v_add_f32_e32 v4, v5, v4
	v_accvgpr_read_b32 v5, a1
	v_add_f32_e32 v2, v5, v2
	v_cvt_f32_f16_e32 v5, v3
	v_cvt_f32_f16_sdwa v3, v3 dst_sel:DWORD dst_unused:UNUSED_PAD src0_sel:WORD_1
	v_accvgpr_read_b32 v6, a2
	v_add_f32_e32 v7, 0x40051340, v2
	v_add_f32_e32 v5, v6, v5
	v_accvgpr_read_b32 v6, a3
	v_add_f32_e32 v3, v6, v3
	v_add_f32_e32 v6, 0x40051340, v4
	v_max3_f32 v6, v243, v6, v7
	v_add_f32_e32 v7, 0x40051340, v5
	v_add_f32_e32 v8, 0x40051340, v3
	v_max3_f32 v6, v6, v7, v8
	v_and_b32_e32 v7, 64, v219
	v_add_u32_e32 v7, 64, v7
	v_xor_b32_e32 v8, 32, v219
	v_cmp_lt_i32_e32 vcc, v8, v7
	s_nop 1
	v_cndmask_b32_e32 v8, v219, v8, vcc
	v_lshlrev_b32_e32 v8, 2, v8
	ds_bpermute_b32 v9, v8, v6
	s_waitcnt lgkmcnt(0)
	v_max_f32_e32 v9, v9, v9
	v_max_f32_e32 v6, v6, v9
	v_xor_b32_e32 v9, 16, v219
	v_cmp_lt_i32_e32 vcc, v9, v7
	s_nop 1
	v_cndmask_b32_e32 v7, v219, v9, vcc
	v_lshlrev_b32_e32 v9, 2, v7
	ds_bpermute_b32 v7, v9, v6
	s_waitcnt lgkmcnt(0)
	v_max_f32_e32 v7, v7, v7
	v_max_f32_e32 v6, v6, v7
	v_sub_f32_e32 v4, v4, v6
	v_mul_f32_e32 v7, 0x3fb8aa3b, v4
	v_fma_f32 v10, v4, s45, -v7
	v_rndne_f32_e32 v11, v7
	v_fmac_f32_e32 v10, 0x32a5705f, v4
	v_sub_f32_e32 v7, v7, v11
	v_add_f32_e32 v7, v7, v10
	v_exp_f32_e32 v7, v7
	v_cvt_i32_f32_e32 v10, v11
	v_cmp_ngt_f32_e32 vcc, s63, v4
	v_sub_f32_e32 v2, v2, v6
	v_sub_f32_e32 v3, v3, v6
	v_ldexp_f32 v7, v7, v10
	v_cndmask_b32_e32 v7, 0, v7, vcc
	v_cmp_nlt_f32_e32 vcc, s89, v4
	v_mul_f32_e32 v4, 0x3fb8aa3b, v2
	v_rndne_f32_e32 v10, v4
	v_cndmask_b32_e32 v26, v244, v7, vcc
	v_fma_f32 v7, v2, s45, -v4
	v_fmac_f32_e32 v7, 0x32a5705f, v2
	v_sub_f32_e32 v4, v4, v10
	v_add_f32_e32 v4, v4, v7
	v_exp_f32_e32 v4, v4
	v_cvt_i32_f32_e32 v7, v10
	v_cmp_ngt_f32_e32 vcc, s63, v2
	v_ldexp_f32 v4, v4, v7
	s_nop 0
	v_cndmask_b32_e32 v4, 0, v4, vcc
	v_cmp_nlt_f32_e32 vcc, s89, v2
	s_nop 1
	v_cndmask_b32_e32 v27, v244, v4, vcc
	v_sub_f32_e32 v4, v5, v6
	v_mul_f32_e32 v5, 0x3fb8aa3b, v4
	v_fma_f32 v7, v4, s45, -v5
	v_rndne_f32_e32 v10, v5
	v_fmac_f32_e32 v7, 0x32a5705f, v4
	v_sub_f32_e32 v5, v5, v10
	v_add_f32_e32 v5, v5, v7
	v_exp_f32_e32 v5, v5
	v_cvt_i32_f32_e32 v7, v10
	v_cmp_ngt_f32_e32 vcc, s63, v4
	v_add_f32_e32 v2, v26, v27
	v_ldexp_f32 v5, v5, v7
	v_cndmask_b32_e32 v5, 0, v5, vcc
	v_cmp_nlt_f32_e32 vcc, s89, v4
	v_mul_f32_e32 v4, 0x3fb8aa3b, v3
	v_rndne_f32_e32 v7, v4
	v_cndmask_b32_e32 v33, v244, v5, vcc
	v_fma_f32 v5, v3, s45, -v4
	v_fmac_f32_e32 v5, 0x32a5705f, v3
	v_sub_f32_e32 v4, v4, v7
	v_add_f32_e32 v4, v4, v5
	v_exp_f32_e32 v4, v4
	v_cvt_i32_f32_e32 v5, v7
	v_cmp_ngt_f32_e32 vcc, s63, v3
	v_add_f32_e32 v2, v33, v2
	v_ldexp_f32 v4, v4, v5
	v_cndmask_b32_e32 v4, 0, v4, vcc
	v_cmp_nlt_f32_e32 vcc, s89, v3
	s_nop 1
	v_cndmask_b32_e32 v39, v244, v4, vcc
	v_add_f32_e32 v7, v39, v2
	v_sub_f32_e32 v2, v243, v6
	v_mul_f32_e32 v3, 0x3fb8aa3b, v2
	v_fma_f32 v4, v2, s45, -v3
	v_rndne_f32_e32 v5, v3
	v_fmac_f32_e32 v4, 0x32a5705f, v2
	v_sub_f32_e32 v3, v3, v5
	v_add_f32_e32 v3, v3, v4
	v_exp_f32_e32 v3, v3
	v_cvt_i32_f32_e32 v4, v5
	v_cmp_ngt_f32_e32 vcc, s63, v2
	v_ldexp_f32 v3, v3, v4
	s_nop 0
	v_cndmask_b32_e32 v3, 0, v3, vcc
	v_cmp_nlt_f32_e32 vcc, s89, v2
	s_nop 1
	v_cndmask_b32_e32 v3, v244, v3, vcc
	v_cmp_le_f32_e32 vcc, s90, v2
	s_nop 1
	v_cndmask_b32_e32 v2, 0, v3, vcc
	v_fmac_f32_e32 v7, v217, v2
	v_cvt_f16_f32_e32 v2, v2
	v_mul_hi_u32 v3, v34, s14
	v_cmp_ne_u64_e32 vcc, 0, v[124:125]
	s_and_b64 s[12:13], s[0:1], vcc
	v_mul_u32_u24_e32 v2, 0x10001, v2
	v_pk_mul_f16 v86, v37, v2
	v_pk_mul_f16 v47, v36, v2
	;; [unrolled: 1-line block ×32, first 2 shown]
	v_mul_lo_u32 v2, v34, s15
	v_add_u32_e32 v3, v3, v2
	v_mul_lo_u32 v2, v34, s14
	v_lshlrev_b64 v[2:3], 2, v[2:3]
	v_lshl_add_u64 v[2:3], v[126:127], 0, v[2:3]
	v_lshl_add_u64 v[4:5], v[64:65], 2, v[2:3]
	v_lshl_add_u64 v[4:5], v[4:5], 0, v[44:45]
	v_lshl_add_u64 v[88:89], v[66:67], 2, v[2:3]
	v_lshl_add_u64 v[90:91], v[68:69], 2, v[2:3]
	v_lshl_add_u64 v[92:93], v[70:71], 2, v[2:3]
	v_lshl_add_u64 v[94:95], v[72:73], 2, v[2:3]
	v_lshl_add_u64 v[96:97], v[74:75], 2, v[2:3]
	v_lshl_add_u64 v[98:99], v[76:77], 2, v[2:3]
	v_lshl_add_u64 v[2:3], v[78:79], 2, v[2:3]
	v_lshl_add_u64 v[100:101], v[2:3], 0, v[44:45]
	global_load_dwordx4 v[2:5], v[4:5], off
	v_lshl_add_u64 v[88:89], v[88:89], 0, v[44:45]
	v_lshl_add_u64 v[90:91], v[90:91], 0, v[44:45]
	;; [unrolled: 1-line block ×6, first 2 shown]
	v_cvt_f32_f16_sdwa v34, v47 dst_sel:DWORD dst_unused:UNUSED_PAD src0_sel:WORD_1
	v_accvgpr_write_b32 a3, v34
	s_waitcnt vmcnt(0)
	ds_write_b128 v174, v[2:5]
	global_load_dwordx4 v[2:5], v[88:89], off
	v_cvt_f32_f16_sdwa v88, v129 dst_sel:DWORD dst_unused:UNUSED_PAD src0_sel:WORD_1
	s_waitcnt vmcnt(0)
	ds_write_b128 v247, v[2:5]
	global_load_dwordx4 v[2:5], v[90:91], off
	s_waitcnt vmcnt(0)
	ds_write_b128 v248, v[2:5]
	global_load_dwordx4 v[2:5], v[92:93], off
	;; [unrolled: 3-line block ×6, first 2 shown]
	s_waitcnt vmcnt(0)
	ds_write_b128 v253, v[2:5]
	s_waitcnt lgkmcnt(0)
	s_barrier
	v_cvt_pk_f16_f32 v3, v33, v39
	v_cvt_pk_f16_f32 v2, v26, v27
	ds_read_u16 v4, v177 offset:528
	ds_read_u16 v5, v177 offset:1056
	ds_read_u16 v26, v178
	ds_read_u16 v39, v178 offset:32
	v_cvt_f32_f16_sdwa v27, v86 dst_sel:DWORD dst_unused:UNUSED_PAD src0_sel:WORD_1
	v_cvt_f32_f16_e32 v33, v47
	s_waitcnt lgkmcnt(1)
	v_perm_b32 v5, v26, v5, s91
	ds_read_u16 v26, v177
	ds_read_u16 v44, v177 offset:32
	v_accvgpr_write_b32 a1, v27
	v_accvgpr_write_b32 a2, v33
	s_waitcnt lgkmcnt(1)
	v_perm_b32 v4, v4, v26, s91
	v_cvt_f32_f16_e32 v26, v86
	v_accvgpr_write_b32 a0, v26
	s_nop 1
	v_mfma_f32_16x16x16_f16 a[0:3], v[4:5], v[2:3], a[0:3]
	s_nop 7
	v_accvgpr_read_b32 v4, a2
	v_accvgpr_read_b32 v5, a3
	v_cvt_f16_f32_e32 v4, v4
	v_cvt_f16_f32_e32 v5, v5
	v_accvgpr_read_b32 v26, a0
	v_accvgpr_read_b32 v27, a1
	v_cvt_f16_f32_e32 v33, v26
	v_perm_b32 v4, v5, v4, s91
	ds_read_u16 v5, v177 offset:560
	ds_read_u16 v47, v177 offset:1088
	v_cvt_f16_f32_e32 v34, v27
	s_waitcnt lgkmcnt(1)
	v_perm_b32 v86, v5, v44, s91
	s_waitcnt lgkmcnt(0)
	v_perm_b32 v87, v39, v47, s91
	v_cvt_f32_f16_e32 v5, v36
	v_cvt_f32_f16_sdwa v36, v36 dst_sel:DWORD dst_unused:UNUSED_PAD src0_sel:WORD_1
	v_cvt_f32_f16_e32 v39, v35
	v_cvt_f32_f16_sdwa v35, v35 dst_sel:DWORD dst_unused:UNUSED_PAD src0_sel:WORD_1
	v_accvgpr_write_b32 a0, v5
	v_accvgpr_write_b32 a1, v36
	v_accvgpr_write_b32 a2, v39
	v_accvgpr_write_b32 a3, v35
	v_perm_b32 v33, v34, v33, s91
	s_nop 0
	v_mfma_f32_16x16x16_f16 a[0:3], v[86:87], v[2:3], a[0:3]
	s_nop 7
	v_accvgpr_read_b32 v5, a2
	v_accvgpr_read_b32 v39, a3
	v_cvt_f16_f32_e32 v5, v5
	v_cvt_f16_f32_e32 v39, v39
	v_accvgpr_read_b32 v35, a0
	v_accvgpr_read_b32 v36, a1
	v_cvt_f16_f32_e32 v44, v35
	v_perm_b32 v5, v39, v5, s91
	ds_read_u16 v39, v177 offset:64
	ds_read_u16 v47, v177 offset:592
	ds_read_u16 v86, v177 offset:1120
	ds_read_u16 v87, v178 offset:64
	v_cvt_f16_f32_e32 v126, v36
	s_waitcnt lgkmcnt(0)
	v_perm_b32 v87, v87, v86, s91
	v_perm_b32 v86, v47, v39, s91
	v_cvt_f32_f16_e32 v39, v22
	v_cvt_f32_f16_sdwa v22, v22 dst_sel:DWORD dst_unused:UNUSED_PAD src0_sel:WORD_1
	v_cvt_f32_f16_e32 v47, v1
	v_cvt_f32_f16_sdwa v1, v1 dst_sel:DWORD dst_unused:UNUSED_PAD src0_sel:WORD_1
	v_accvgpr_write_b32 a0, v39
	v_accvgpr_write_b32 a1, v22
	v_accvgpr_write_b32 a2, v47
	v_accvgpr_write_b32 a3, v1
	v_perm_b32 v44, v126, v44, s91
	s_nop 0
	v_mfma_f32_16x16x16_f16 a[0:3], v[86:87], v[2:3], a[0:3]
	s_nop 7
	v_accvgpr_read_b32 v1, a2
	v_accvgpr_read_b32 v22, a3
	v_cvt_f16_f32_e32 v1, v1
	v_cvt_f16_f32_e32 v22, v22
	v_accvgpr_read_b32 v127, a0
	v_accvgpr_read_b32 v128, a1
	v_cvt_f16_f32_e32 v130, v127
	v_perm_b32 v22, v22, v1, s91
	ds_read_u16 v1, v177 offset:96
	ds_read_u16 v39, v177 offset:624
	ds_read_u16 v47, v177 offset:1152
	ds_read_u16 v86, v178 offset:96
	v_cvt_f16_f32_e32 v131, v128
	s_waitcnt lgkmcnt(0)
	v_perm_b32 v87, v86, v47, s91
	;; [unrolled: 28-line block ×4, first 2 shown]
	v_perm_b32 v86, v39, v1, s91
	v_cvt_f32_f16_e32 v1, v140
	v_cvt_f32_f16_sdwa v39, v140 dst_sel:DWORD dst_unused:UNUSED_PAD src0_sel:WORD_1
	v_cvt_f32_f16_e32 v47, v37
	v_cvt_f32_f16_sdwa v37, v37 dst_sel:DWORD dst_unused:UNUSED_PAD src0_sel:WORD_1
	v_accvgpr_write_b32 a0, v1
	v_accvgpr_write_b32 a1, v39
	;; [unrolled: 1-line block ×4, first 2 shown]
	v_perm_b32 v138, v139, v138, s91
	s_nop 0
	v_mfma_f32_16x16x16_f16 a[0:3], v[86:87], v[2:3], a[0:3]
	s_nop 7
	v_accvgpr_read_b32 v1, a2
	v_accvgpr_read_b32 v37, a3
	v_cvt_f16_f32_e32 v1, v1
	v_cvt_f16_f32_e32 v37, v37
	v_accvgpr_read_b32 v140, a0
	v_accvgpr_read_b32 v141, a1
	v_accvgpr_write_b32 a3, v88
	v_perm_b32 v37, v37, v1, s91
	ds_read_u16 v1, v177 offset:192
	ds_read_u16 v39, v177 offset:720
	;; [unrolled: 1-line block ×4, first 2 shown]
	v_cvt_f16_f32_e32 v142, v140
	v_cvt_f16_f32_e32 v144, v141
	s_waitcnt lgkmcnt(0)
	v_perm_b32 v87, v86, v47, s91
	v_perm_b32 v86, v39, v1, s91
	v_cvt_f32_f16_e32 v1, v143
	v_cvt_f32_f16_sdwa v39, v143 dst_sel:DWORD dst_unused:UNUSED_PAD src0_sel:WORD_1
	v_cvt_f32_f16_e32 v47, v129
	v_perm_b32 v142, v144, v142, s91
	v_accvgpr_write_b32 a0, v1
	v_accvgpr_write_b32 a1, v39
	;; [unrolled: 1-line block ×3, first 2 shown]
	s_nop 1
	v_mfma_f32_16x16x16_f16 a[0:3], v[86:87], v[2:3], a[0:3]
	s_nop 7
	v_accvgpr_read_b32 v1, a2
	v_accvgpr_read_b32 v39, a3
	v_cvt_f16_f32_e32 v1, v1
	v_cvt_f16_f32_e32 v39, v39
	v_accvgpr_read_b32 v143, a0
	v_accvgpr_read_b32 v145, a1
	v_cvt_f16_f32_e32 v146, v143
	v_perm_b32 v129, v39, v1, s91
	ds_read_u16 v1, v177 offset:224
	ds_read_u16 v39, v177 offset:752
	;; [unrolled: 1-line block ×4, first 2 shown]
	v_cvt_f16_f32_e32 v147, v145
	s_waitcnt lgkmcnt(0)
	v_perm_b32 v87, v86, v47, s91
	v_perm_b32 v86, v39, v1, s91
	v_cvt_f32_f16_e32 v1, v32
	v_cvt_f32_f16_sdwa v32, v32 dst_sel:DWORD dst_unused:UNUSED_PAD src0_sel:WORD_1
	v_cvt_f32_f16_e32 v39, v31
	v_cvt_f32_f16_sdwa v31, v31 dst_sel:DWORD dst_unused:UNUSED_PAD src0_sel:WORD_1
	v_accvgpr_write_b32 a0, v1
	v_accvgpr_write_b32 a1, v32
	;; [unrolled: 1-line block ×4, first 2 shown]
	s_nop 1
	v_mfma_f32_16x16x16_f16 a[0:3], v[86:87], v[2:3], a[0:3]
	s_nop 7
	v_accvgpr_read_b32 v1, a2
	v_accvgpr_read_b32 v31, a3
	v_cvt_f16_f32_e32 v1, v1
	v_cvt_f16_f32_e32 v31, v31
	v_accvgpr_read_b32 v32, a0
	v_accvgpr_read_b32 v39, a1
	v_cvt_f16_f32_e32 v86, v32
	v_perm_b32 v31, v31, v1, s91
	ds_read_u16 v1, v177 offset:256
	ds_read_u16 v47, v177 offset:784
	ds_read_u16 v88, v177 offset:1312
	ds_read_u16 v89, v178 offset:256
	v_cvt_f16_f32_e32 v87, v39
	s_waitcnt lgkmcnt(0)
	v_perm_b32 v89, v89, v88, s91
	v_perm_b32 v88, v47, v1, s91
	v_cvt_f32_f16_e32 v1, v29
	v_cvt_f32_f16_sdwa v29, v29 dst_sel:DWORD dst_unused:UNUSED_PAD src0_sel:WORD_1
	v_cvt_f32_f16_e32 v47, v28
	v_cvt_f32_f16_sdwa v28, v28 dst_sel:DWORD dst_unused:UNUSED_PAD src0_sel:WORD_1
	v_accvgpr_write_b32 a0, v1
	v_accvgpr_write_b32 a1, v29
	;; [unrolled: 1-line block ×4, first 2 shown]
	v_perm_b32 v86, v87, v86, s91
	v_perm_b32 v87, v147, v146, s91
	v_mfma_f32_16x16x16_f16 a[0:3], v[88:89], v[2:3], a[0:3]
	s_nop 7
	v_accvgpr_read_b32 v1, a2
	v_accvgpr_read_b32 v28, a3
	v_cvt_f16_f32_e32 v1, v1
	v_cvt_f16_f32_e32 v28, v28
	v_accvgpr_read_b32 v29, a0
	v_accvgpr_read_b32 v47, a1
	v_cvt_f16_f32_e32 v148, v29
	v_perm_b32 v28, v28, v1, s91
	ds_read_u16 v1, v177 offset:288
	ds_read_u16 v88, v177 offset:816
	ds_read_u16 v89, v177 offset:1344
	ds_read_u16 v90, v178 offset:288
	v_cvt_f16_f32_e32 v149, v47
	s_waitcnt lgkmcnt(2)
	v_perm_b32 v88, v88, v1, s91
	v_cvt_f32_f16_e32 v1, v24
	s_waitcnt lgkmcnt(0)
	v_perm_b32 v89, v90, v89, s91
	v_cvt_f32_f16_sdwa v24, v24 dst_sel:DWORD dst_unused:UNUSED_PAD src0_sel:WORD_1
	v_cvt_f32_f16_e32 v90, v23
	v_cvt_f32_f16_sdwa v23, v23 dst_sel:DWORD dst_unused:UNUSED_PAD src0_sel:WORD_1
	v_accvgpr_write_b32 a0, v1
	v_accvgpr_write_b32 a1, v24
	v_accvgpr_write_b32 a2, v90
	v_accvgpr_write_b32 a3, v23
	s_nop 1
	v_mfma_f32_16x16x16_f16 a[0:3], v[88:89], v[2:3], a[0:3]
	s_nop 7
	v_accvgpr_read_b32 v1, a2
	v_accvgpr_read_b32 v23, a3
	v_cvt_f16_f32_e32 v1, v1
	v_cvt_f16_f32_e32 v23, v23
	v_accvgpr_read_b32 v24, a0
	v_accvgpr_read_b32 v150, a1
	v_cvt_f16_f32_e32 v151, v24
	v_perm_b32 v23, v23, v1, s91
	ds_read_u16 v1, v177 offset:320
	ds_read_u16 v88, v177 offset:848
	ds_read_u16 v89, v177 offset:1376
	ds_read_u16 v90, v178 offset:320
	v_cvt_f16_f32_e32 v152, v150
	s_waitcnt lgkmcnt(2)
	v_perm_b32 v88, v88, v1, s91
	v_cvt_f32_f16_e32 v1, v21
	s_waitcnt lgkmcnt(0)
	v_perm_b32 v89, v90, v89, s91
	v_cvt_f32_f16_sdwa v21, v21 dst_sel:DWORD dst_unused:UNUSED_PAD src0_sel:WORD_1
	v_cvt_f32_f16_e32 v90, v20
	v_cvt_f32_f16_sdwa v20, v20 dst_sel:DWORD dst_unused:UNUSED_PAD src0_sel:WORD_1
	v_accvgpr_write_b32 a0, v1
	v_accvgpr_write_b32 a1, v21
	v_accvgpr_write_b32 a2, v90
	v_accvgpr_write_b32 a3, v20
	s_nop 1
	;; [unrolled: 28-line block ×3, first 2 shown]
	v_mfma_f32_16x16x16_f16 a[0:3], v[88:89], v[2:3], a[0:3]
	s_nop 7
	v_accvgpr_read_b32 v18, a2
	v_accvgpr_read_b32 v88, a3
	v_cvt_f16_f32_e32 v18, v18
	v_cvt_f16_f32_e32 v88, v88
	v_accvgpr_read_b32 v19, a0
	v_accvgpr_read_b32 v153, a1
	v_cvt_f16_f32_e32 v89, v19
	v_perm_b32 v18, v88, v18, s91
	ds_read_u16 v88, v177 offset:384
	ds_read_u16 v91, v177 offset:912
	;; [unrolled: 1-line block ×4, first 2 shown]
	v_cvt_f16_f32_e32 v90, v153
	s_waitcnt lgkmcnt(0)
	v_perm_b32 v93, v93, v92, s91
	v_perm_b32 v92, v91, v88, s91
	v_cvt_f32_f16_e32 v88, v17
	v_cvt_f32_f16_sdwa v17, v17 dst_sel:DWORD dst_unused:UNUSED_PAD src0_sel:WORD_1
	v_cvt_f32_f16_e32 v91, v16
	v_cvt_f32_f16_sdwa v16, v16 dst_sel:DWORD dst_unused:UNUSED_PAD src0_sel:WORD_1
	v_accvgpr_write_b32 a0, v88
	v_accvgpr_write_b32 a1, v17
	;; [unrolled: 1-line block ×4, first 2 shown]
	v_perm_b32 v89, v90, v89, s91
	v_perm_b32 v90, v155, v154, s91
	v_mfma_f32_16x16x16_f16 a[0:3], v[92:93], v[2:3], a[0:3]
	s_nop 7
	v_accvgpr_read_b32 v16, a2
	v_accvgpr_read_b32 v91, a3
	v_cvt_f16_f32_e32 v16, v16
	v_cvt_f16_f32_e32 v91, v91
	v_accvgpr_read_b32 v17, a0
	v_accvgpr_read_b32 v88, a1
	v_cvt_f16_f32_e32 v93, v17
	v_perm_b32 v16, v91, v16, s91
	ds_read_u16 v91, v177 offset:416
	ds_read_u16 v92, v177 offset:944
	;; [unrolled: 1-line block ×4, first 2 shown]
	v_cvt_f16_f32_e32 v156, v88
	s_waitcnt lgkmcnt(0)
	v_perm_b32 v95, v95, v94, s91
	v_perm_b32 v94, v92, v91, s91
	v_cvt_f32_f16_e32 v91, v15
	v_cvt_f32_f16_sdwa v15, v15 dst_sel:DWORD dst_unused:UNUSED_PAD src0_sel:WORD_1
	v_cvt_f32_f16_e32 v92, v14
	v_cvt_f32_f16_sdwa v14, v14 dst_sel:DWORD dst_unused:UNUSED_PAD src0_sel:WORD_1
	v_accvgpr_write_b32 a0, v91
	v_accvgpr_write_b32 a1, v15
	;; [unrolled: 1-line block ×4, first 2 shown]
	v_perm_b32 v93, v156, v93, s91
	s_nop 0
	v_mfma_f32_16x16x16_f16 a[0:3], v[94:95], v[2:3], a[0:3]
	s_nop 7
	v_accvgpr_read_b32 v14, a2
	v_accvgpr_read_b32 v92, a3
	v_cvt_f16_f32_e32 v14, v14
	v_cvt_f16_f32_e32 v92, v92
	v_accvgpr_read_b32 v15, a0
	v_accvgpr_read_b32 v91, a1
	v_cvt_f16_f32_e32 v94, v15
	v_perm_b32 v14, v92, v14, s91
	ds_read_u16 v92, v177 offset:448
	ds_read_u16 v96, v177 offset:976
	;; [unrolled: 1-line block ×4, first 2 shown]
	v_cvt_f16_f32_e32 v95, v91
	s_waitcnt lgkmcnt(2)
	v_perm_b32 v96, v96, v92, s91
	v_cvt_f32_f16_e32 v92, v13
	s_waitcnt lgkmcnt(0)
	v_perm_b32 v97, v98, v97, s91
	v_cvt_f32_f16_sdwa v13, v13 dst_sel:DWORD dst_unused:UNUSED_PAD src0_sel:WORD_1
	v_cvt_f32_f16_e32 v98, v12
	v_cvt_f32_f16_sdwa v12, v12 dst_sel:DWORD dst_unused:UNUSED_PAD src0_sel:WORD_1
	v_accvgpr_write_b32 a0, v92
	v_accvgpr_write_b32 a1, v13
	;; [unrolled: 1-line block ×4, first 2 shown]
	v_perm_b32 v94, v95, v94, s91
	v_perm_b32 v95, v152, v151, s91
	v_mfma_f32_16x16x16_f16 a[0:3], v[96:97], v[2:3], a[0:3]
	s_nop 7
	v_accvgpr_read_b32 v12, a2
	v_accvgpr_read_b32 v96, a3
	v_cvt_f16_f32_e32 v12, v12
	v_cvt_f16_f32_e32 v96, v96
	v_accvgpr_read_b32 v13, a0
	v_accvgpr_read_b32 v92, a1
	v_cvt_f16_f32_e32 v98, v13
	v_perm_b32 v12, v96, v12, s91
	ds_read_u16 v96, v177 offset:480
	ds_read_u16 v100, v177 offset:1008
	;; [unrolled: 1-line block ×4, first 2 shown]
	v_cvt_f16_f32_e32 v99, v92
	s_waitcnt lgkmcnt(0)
	v_perm_b32 v96, v100, v96, s91
	v_cvt_f32_f16_e32 v100, v11
	v_perm_b32 v97, v101, v97, s91
	v_cvt_f32_f16_sdwa v11, v11 dst_sel:DWORD dst_unused:UNUSED_PAD src0_sel:WORD_1
	v_cvt_f32_f16_e32 v101, v10
	v_cvt_f32_f16_sdwa v10, v10 dst_sel:DWORD dst_unused:UNUSED_PAD src0_sel:WORD_1
	v_accvgpr_write_b32 a0, v100
	v_accvgpr_write_b32 a1, v11
	;; [unrolled: 1-line block ×4, first 2 shown]
	s_barrier
	s_nop 0
	v_mfma_f32_16x16x16_f16 a[0:3], v[96:97], v[2:3], a[0:3]
	s_nop 7
	v_accvgpr_read_b32 v2, a2
	v_accvgpr_read_b32 v97, a3
	v_cvt_f16_f32_e32 v2, v2
	v_cvt_f16_f32_e32 v97, v97
	v_accvgpr_read_b32 v3, a0
	v_accvgpr_read_b32 v10, a1
	v_cvt_f16_f32_e32 v11, v3
	v_perm_b32 v2, v97, v2, s91
	ds_bpermute_b32 v97, v8, v7
	v_cvt_f16_f32_e32 v96, v10
	s_waitcnt lgkmcnt(0)
	v_add_f32_e32 v7, v7, v97
	ds_bpermute_b32 v97, v9, v7
	v_perm_b32 v11, v96, v11, s91
	v_perm_b32 v96, v99, v98, s91
	s_waitcnt lgkmcnt(0)
	v_add_f32_e32 v7, v7, v97
	v_perm_b32 v97, v149, v148, s91
	s_and_saveexec_b64 s[8:9], s[12:13]
	s_cbranch_execz .LBB29_155
; %bb.154:                              ;   in Loop: Header=BB29_12 Depth=1
	v_lshlrev_b32_e32 v11, 2, v84
	v_readfirstlane_b32 s12, v124
	v_readfirstlane_b32 s13, v125
	v_cvt_pk_f16_f32 v32, v32, v39
	v_cvt_pk_f16_f32 v39, v20, v21
	v_max_f32_e32 v20, v6, v6
	v_cvt_pk_f16_f32 v29, v29, v47
	v_cvt_pk_f16_f32 v17, v17, v88
	global_load_dword v11, v11, s[12:13]
	v_cvt_pk_f16_f32 v3, v3, v10
	v_cvt_pk_f16_f32 v26, v26, v27
	;; [unrolled: 1-line block ×12, first 2 shown]
	s_waitcnt vmcnt(0)
	v_max_f32_e32 v21, v11, v11
	v_max_f32_e32 v20, v20, v21
	v_sub_f32_e32 v6, v6, v20
	v_sub_f32_e32 v11, v11, v20
	v_mul_f32_e32 v21, 0x3fb8aa3b, v6
	v_mul_f32_e32 v33, 0x3fb8aa3b, v11
	v_fma_f32 v44, v6, s45, -v21
	v_rndne_f32_e32 v47, v21
	v_fma_f32 v88, v11, s45, -v33
	v_rndne_f32_e32 v89, v33
	v_fmac_f32_e32 v44, 0x32a5705f, v6
	v_sub_f32_e32 v21, v21, v47
	v_fmac_f32_e32 v88, 0x32a5705f, v11
	v_sub_f32_e32 v33, v33, v89
	v_add_f32_e32 v21, v21, v44
	v_cvt_i32_f32_e32 v47, v47
	v_add_f32_e32 v33, v33, v88
	v_exp_f32_e32 v21, v21
	v_cvt_i32_f32_e32 v89, v89
	v_exp_f32_e32 v33, v33
	v_cmp_ngt_f32_e32 vcc, s63, v6
	v_ldexp_f32 v10, v21, v47
	v_ldexp_f32 v21, v33, v89
	v_cndmask_b32_e32 v10, 0, v10, vcc
	v_cmp_ngt_f32_e32 vcc, s63, v11
	s_nop 1
	v_cndmask_b32_e32 v21, 0, v21, vcc
	v_cmp_nlt_f32_e32 vcc, s89, v6
	s_nop 1
	v_cndmask_b32_e32 v10, v244, v10, vcc
	v_cmp_le_f32_e32 vcc, s90, v6
	s_nop 1
	v_cndmask_b32_e32 v6, 0, v10, vcc
	v_cvt_f16_f32_e32 v10, v6
	v_cmp_nlt_f32_e32 vcc, s89, v11
	s_nop 1
	v_cndmask_b32_e32 v21, v244, v21, vcc
	v_fmac_f32_e32 v21, v7, v6
	v_mul_u32_u24_e32 v6, 0x10001, v10
	v_pk_mul_f16 v33, v26, v6
	v_pk_mul_f16 v4, v4, v6
	;; [unrolled: 1-line block ×32, first 2 shown]
	v_mov_b64_e32 v[6:7], v[20:21]
.LBB29_155:                             ;   in Loop: Header=BB29_12 Depth=1
	s_or_b64 exec, exec, s[8:9]
	s_and_saveexec_b64 s[8:9], s[6:7]
; %bb.156:                              ;   in Loop: Header=BB29_12 Depth=1
	v_add_u32_e32 v3, 0, v184
	ds_write2_b32 v3, v6, v7 offset0:128 offset1:129
; %bb.157:                              ;   in Loop: Header=BB29_12 Depth=1
	s_or_b64 exec, exec, s[8:9]
	s_waitcnt lgkmcnt(0)
	s_barrier
	s_and_saveexec_b64 s[8:9], s[10:11]
	s_xor_b64 s[8:9], exec, s[8:9]
	s_cbranch_execz .LBB29_159
; %bb.158:                              ;   in Loop: Header=BB29_12 Depth=1
	s_barrier
                                        ; implicit-def: $vgpr8
                                        ; implicit-def: $vgpr9
.LBB29_159:                             ;   in Loop: Header=BB29_12 Depth=1
	s_andn2_saveexec_b64 s[8:9], s[8:9]
	s_cbranch_execz .LBB29_161
; %bb.160:                              ;   in Loop: Header=BB29_12 Depth=1
	v_add_u32_e32 v3, 0, v184
	ds_read_b64 v[6:7], v3 offset:512
	s_waitcnt lgkmcnt(0)
	s_barrier
	ds_bpermute_b32 v10, v8, v6
	v_max_f32_e32 v13, v6, v6
	s_waitcnt lgkmcnt(0)
	v_max_f32_e32 v10, v10, v10
	v_max_f32_e32 v10, v13, v10
	ds_bpermute_b32 v13, v9, v10
	s_waitcnt lgkmcnt(0)
	v_max_f32_e32 v13, v13, v13
	v_max_f32_e32 v10, v10, v13
	v_sub_f32_e32 v6, v6, v10
	v_mul_f32_e32 v10, 0x3fb8aa3b, v6
	v_fma_f32 v13, v6, s45, -v10
	v_rndne_f32_e32 v15, v10
	v_fmac_f32_e32 v13, 0x32a5705f, v6
	v_sub_f32_e32 v10, v10, v15
	v_add_f32_e32 v10, v10, v13
	v_cvt_i32_f32_e32 v15, v15
	v_exp_f32_e32 v10, v10
	v_cmp_ngt_f32_e32 vcc, s63, v6
	v_ldexp_f32 v10, v10, v15
	s_nop 0
	v_cndmask_b32_e32 v10, 0, v10, vcc
	v_cmp_nlt_f32_e32 vcc, s89, v6
	s_nop 1
	v_cndmask_b32_e32 v6, v244, v10, vcc
	v_mul_f32_e32 v10, v7, v6
	ds_bpermute_b32 v8, v8, v10
	s_waitcnt lgkmcnt(0)
	v_fmac_f32_e32 v8, v7, v6
	ds_bpermute_b32 v7, v9, v8
	s_waitcnt lgkmcnt(0)
	v_add_f32_e32 v7, v8, v7
	ds_write_b64 v3, v[6:7] offset:512
.LBB29_161:                             ;   in Loop: Header=BB29_12 Depth=1
	s_or_b64 exec, exec, s[8:9]
	v_add_u32_e32 v3, v185, v186
	ds_write2_b32 v3, v33, v4 offset1:1
	ds_write2_b32 v3, v44, v5 offset0:8 offset1:9
	ds_write2_b32 v3, v130, v22 offset0:16 offset1:17
	;; [unrolled: 1-line block ×15, first 2 shown]
	s_waitcnt lgkmcnt(0)
	s_barrier
	s_and_saveexec_b64 s[70:71], s[0:1]
	s_cbranch_execz .LBB29_10
; %bb.162:                              ;   in Loop: Header=BB29_12 Depth=1
	v_add_u32_e32 v2, v222, v216
	v_or_b32_e32 v1, v245, v43
	v_cmp_gt_i32_e32 vcc, s36, v2
	v_cmp_gt_i32_e64 s[8:9], s3, v1
	s_and_b64 s[72:73], vcc, s[8:9]
	v_mov_b32_e32 v1, 0x47
	s_and_saveexec_b64 s[12:13], s[72:73]
	s_cbranch_execz .LBB29_164
; %bb.163:                              ;   in Loop: Header=BB29_12 Depth=1
	ds_read2_b32 v[4:5], v187 offset0:128 offset1:129
	ds_read2st64_b32 v[6:7], v231 offset1:1
	v_mul_lo_u32 v1, v2, s37
	ds_read2st64_b32 v[2:3], v231 offset0:33 offset1:34
	ds_read2st64_b32 v[8:9], v231 offset0:66 offset1:67
	ds_read2st64_b32 v[10:11], v231 offset0:99 offset1:100
	ds_read2st64_b32 v[14:15], v187 offset0:35 offset1:68
	ds_read_b32 v16, v187 offset:25856
	s_waitcnt lgkmcnt(4)
	v_cvt_f32_f16_sdwa v19, v2 dst_sel:DWORD dst_unused:UNUSED_PAD src0_sel:WORD_1
	v_cvt_f32_f16_sdwa v13, v6 dst_sel:DWORD dst_unused:UNUSED_PAD src0_sel:WORD_1
	v_cvt_f32_f16_e32 v12, v6
	v_cvt_f32_f16_e32 v18, v2
	s_waitcnt lgkmcnt(3)
	v_cvt_f32_f16_sdwa v21, v8 dst_sel:DWORD dst_unused:UNUSED_PAD src0_sel:WORD_1
	v_cvt_f32_f16_e32 v20, v8
	s_waitcnt lgkmcnt(2)
	v_cvt_f32_f16_sdwa v23, v10 dst_sel:DWORD dst_unused:UNUSED_PAD src0_sel:WORD_1
	v_cvt_f32_f16_e32 v22, v10
	v_pk_fma_f32 v[12:13], v[4:5], v[12:13], 0 op_sel_hi:[0,1,0]
	s_waitcnt lgkmcnt(1)
	v_pk_fma_f32 v[12:13], v[14:15], v[18:19], v[12:13] op_sel_hi:[0,1,1]
	v_mov_b32_e32 v2, v15
	v_pk_fma_f32 v[12:13], v[2:3], v[20:21], v[12:13] op_sel_hi:[0,1,1]
	s_waitcnt lgkmcnt(0)
	v_pk_fma_f32 v[12:13], v[16:17], v[22:23], v[12:13] op_sel_hi:[0,1,1]
	v_add_lshl_u32 v6, v1, v245, 7
	v_div_scale_f32 v1, s[72:73], v5, v5, v13
	v_rcp_f32_e32 v8, v1
	v_add_u32_e32 v18, v40, v6
	v_ashrrev_i32_e32 v19, 31, v18
	v_lshl_add_u64 v[18:19], v[18:19], 3, v[122:123]
	v_fma_f32 v10, -v1, v8, 1.0
	v_fmac_f32_e32 v8, v10, v8
	v_div_scale_f32 v10, vcc, v13, v5, v13
	v_mul_f32_e32 v15, v10, v8
	v_fma_f32 v17, -v1, v15, v10
	v_fmac_f32_e32 v15, v17, v8
	v_fma_f32 v1, -v1, v15, v10
	v_div_scale_f32 v10, s[72:73], v5, v5, v12
	v_rcp_f32_e32 v17, v10
	v_div_fmas_f32 v1, v1, v8, v15
	v_div_fixup_f32 v13, v1, v5, v13
	v_cvt_f32_f16_sdwa v21, v9 dst_sel:DWORD dst_unused:UNUSED_PAD src0_sel:WORD_1
	v_fma_f32 v1, -v10, v17, 1.0
	v_fmac_f32_e32 v17, v1, v17
	v_div_scale_f32 v1, vcc, v12, v5, v12
	v_mul_f32_e32 v8, v1, v17
	v_fma_f32 v15, -v10, v8, v1
	v_fmac_f32_e32 v8, v15, v17
	v_fma_f32 v1, -v10, v8, v1
	v_div_fmas_f32 v1, v1, v17, v8
	v_div_fixup_f32 v12, v1, v5, v12
	global_store_dwordx2 v[18:19], v[12:13], off
	v_cvt_f32_f16_sdwa v13, v7 dst_sel:DWORD dst_unused:UNUSED_PAD src0_sel:WORD_1
	v_cvt_f32_f16_e32 v12, v7
	v_cvt_f32_f16_sdwa v19, v3 dst_sel:DWORD dst_unused:UNUSED_PAD src0_sel:WORD_1
	v_cvt_f32_f16_e32 v18, v3
	v_cvt_f32_f16_e32 v20, v9
	v_cvt_f32_f16_sdwa v9, v11 dst_sel:DWORD dst_unused:UNUSED_PAD src0_sel:WORD_1
	v_cvt_f32_f16_e32 v8, v11
	v_pk_fma_f32 v[10:11], v[4:5], v[12:13], 0 op_sel_hi:[0,1,0]
	v_pk_fma_f32 v[10:11], v[14:15], v[18:19], v[10:11] op_sel_hi:[0,1,1]
	;; [unrolled: 1-line block ×4, first 2 shown]
	v_div_scale_f32 v1, s[72:73], v5, v5, v3
	v_rcp_f32_e32 v4, v1
	v_ashrrev_i32_e32 v7, 31, v6
	v_lshl_add_u64 v[6:7], v[40:41], 0, v[6:7]
	v_lshl_add_u64 v[6:7], v[6:7], 3, v[122:123]
	v_fma_f32 v8, -v1, v4, 1.0
	v_fmac_f32_e32 v4, v8, v4
	v_div_scale_f32 v8, vcc, v3, v5, v3
	v_mul_f32_e32 v9, v8, v4
	v_fma_f32 v10, -v1, v9, v8
	v_fmac_f32_e32 v9, v10, v4
	v_fma_f32 v1, -v1, v9, v8
	v_div_scale_f32 v8, s[72:73], v5, v5, v2
	v_rcp_f32_e32 v10, v8
	v_div_fmas_f32 v1, v1, v4, v9
	v_div_fixup_f32 v3, v1, v5, v3
	v_fma_f32 v1, -v8, v10, 1.0
	v_fmac_f32_e32 v10, v1, v10
	v_div_scale_f32 v1, vcc, v2, v5, v2
	v_mul_f32_e32 v4, v1, v10
	v_fma_f32 v9, -v8, v4, v1
	v_fmac_f32_e32 v4, v9, v10
	v_fma_f32 v1, -v8, v4, v1
	v_div_fmas_f32 v1, v1, v10, v4
	v_div_fixup_f32 v2, v1, v5, v2
	v_mov_b32_e32 v1, 0
	global_store_dwordx2 v[6:7], v[2:3], off offset:512
.LBB29_164:                             ;   in Loop: Header=BB29_12 Depth=1
	s_or_b64 exec, exec, s[12:13]
	v_cmp_gt_i32_e32 vcc, s92, v1
	s_mov_b64 s[12:13], -1
	s_and_saveexec_b64 s[72:73], vcc
; %bb.165:                              ;   in Loop: Header=BB29_12 Depth=1
	v_cmp_eq_u32_e32 vcc, 0, v1
	s_orn2_b64 s[12:13], vcc, exec
; %bb.166:                              ;   in Loop: Header=BB29_12 Depth=1
	s_or_b64 exec, exec, s[72:73]
	s_and_b64 exec, exec, s[12:13]
	s_cbranch_execz .LBB29_10
; %bb.167:                              ;   in Loop: Header=BB29_12 Depth=1
	v_add_u32_e32 v2, v188, v216
	v_or_b32_e32 v1, v189, v43
	v_cmp_gt_i32_e32 vcc, s36, v2
	v_cmp_gt_i32_e64 s[12:13], s3, v1
	s_and_b64 s[72:73], vcc, s[12:13]
	v_mov_b32_e32 v1, 0x47
	s_and_saveexec_b64 s[12:13], s[72:73]
	s_cbranch_execz .LBB29_169
; %bb.168:                              ;   in Loop: Header=BB29_12 Depth=1
	ds_read2_b32 v[4:5], v190 offset0:128 offset1:129
	ds_read2st64_b32 v[6:7], v232 offset1:1
	v_mul_lo_u32 v1, v2, s37
	ds_read2st64_b32 v[2:3], v232 offset0:33 offset1:34
	ds_read2st64_b32 v[8:9], v232 offset0:66 offset1:67
	;; [unrolled: 1-line block ×4, first 2 shown]
	ds_read_b32 v16, v190 offset:25856
	s_waitcnt lgkmcnt(4)
	v_cvt_f32_f16_sdwa v19, v2 dst_sel:DWORD dst_unused:UNUSED_PAD src0_sel:WORD_1
	v_cvt_f32_f16_sdwa v13, v6 dst_sel:DWORD dst_unused:UNUSED_PAD src0_sel:WORD_1
	v_cvt_f32_f16_e32 v12, v6
	v_cvt_f32_f16_e32 v18, v2
	s_waitcnt lgkmcnt(3)
	v_cvt_f32_f16_sdwa v21, v8 dst_sel:DWORD dst_unused:UNUSED_PAD src0_sel:WORD_1
	v_cvt_f32_f16_e32 v20, v8
	s_waitcnt lgkmcnt(2)
	v_cvt_f32_f16_sdwa v23, v10 dst_sel:DWORD dst_unused:UNUSED_PAD src0_sel:WORD_1
	v_cvt_f32_f16_e32 v22, v10
	v_pk_fma_f32 v[12:13], v[4:5], v[12:13], 0 op_sel_hi:[0,1,0]
	s_waitcnt lgkmcnt(1)
	v_pk_fma_f32 v[12:13], v[14:15], v[18:19], v[12:13] op_sel_hi:[0,1,1]
	v_mov_b32_e32 v2, v15
	v_pk_fma_f32 v[12:13], v[2:3], v[20:21], v[12:13] op_sel_hi:[0,1,1]
	s_waitcnt lgkmcnt(0)
	v_pk_fma_f32 v[12:13], v[16:17], v[22:23], v[12:13] op_sel_hi:[0,1,1]
	v_add_lshl_u32 v6, v1, v189, 7
	v_div_scale_f32 v1, s[72:73], v5, v5, v13
	v_rcp_f32_e32 v8, v1
	v_add_u32_e32 v18, v40, v6
	v_ashrrev_i32_e32 v19, 31, v18
	v_lshl_add_u64 v[18:19], v[18:19], 3, v[122:123]
	v_fma_f32 v10, -v1, v8, 1.0
	v_fmac_f32_e32 v8, v10, v8
	v_div_scale_f32 v10, vcc, v13, v5, v13
	v_mul_f32_e32 v15, v10, v8
	v_fma_f32 v17, -v1, v15, v10
	v_fmac_f32_e32 v15, v17, v8
	v_fma_f32 v1, -v1, v15, v10
	v_div_scale_f32 v10, s[72:73], v5, v5, v12
	v_rcp_f32_e32 v17, v10
	v_div_fmas_f32 v1, v1, v8, v15
	v_div_fixup_f32 v13, v1, v5, v13
	v_cvt_f32_f16_sdwa v21, v9 dst_sel:DWORD dst_unused:UNUSED_PAD src0_sel:WORD_1
	v_fma_f32 v1, -v10, v17, 1.0
	v_fmac_f32_e32 v17, v1, v17
	v_div_scale_f32 v1, vcc, v12, v5, v12
	v_mul_f32_e32 v8, v1, v17
	v_fma_f32 v15, -v10, v8, v1
	v_fmac_f32_e32 v8, v15, v17
	v_fma_f32 v1, -v10, v8, v1
	v_div_fmas_f32 v1, v1, v17, v8
	v_div_fixup_f32 v12, v1, v5, v12
	global_store_dwordx2 v[18:19], v[12:13], off
	v_cvt_f32_f16_sdwa v13, v7 dst_sel:DWORD dst_unused:UNUSED_PAD src0_sel:WORD_1
	v_cvt_f32_f16_e32 v12, v7
	v_cvt_f32_f16_sdwa v19, v3 dst_sel:DWORD dst_unused:UNUSED_PAD src0_sel:WORD_1
	v_cvt_f32_f16_e32 v18, v3
	v_cvt_f32_f16_e32 v20, v9
	v_cvt_f32_f16_sdwa v9, v11 dst_sel:DWORD dst_unused:UNUSED_PAD src0_sel:WORD_1
	v_cvt_f32_f16_e32 v8, v11
	v_pk_fma_f32 v[10:11], v[4:5], v[12:13], 0 op_sel_hi:[0,1,0]
	v_pk_fma_f32 v[10:11], v[14:15], v[18:19], v[10:11] op_sel_hi:[0,1,1]
	;; [unrolled: 1-line block ×4, first 2 shown]
	v_div_scale_f32 v1, s[72:73], v5, v5, v3
	v_rcp_f32_e32 v4, v1
	v_ashrrev_i32_e32 v7, 31, v6
	v_lshl_add_u64 v[6:7], v[40:41], 0, v[6:7]
	v_lshl_add_u64 v[6:7], v[6:7], 3, v[122:123]
	v_fma_f32 v8, -v1, v4, 1.0
	v_fmac_f32_e32 v4, v8, v4
	v_div_scale_f32 v8, vcc, v3, v5, v3
	v_mul_f32_e32 v9, v8, v4
	v_fma_f32 v10, -v1, v9, v8
	v_fmac_f32_e32 v9, v10, v4
	v_fma_f32 v1, -v1, v9, v8
	v_div_scale_f32 v8, s[72:73], v5, v5, v2
	v_rcp_f32_e32 v10, v8
	v_div_fmas_f32 v1, v1, v4, v9
	v_div_fixup_f32 v3, v1, v5, v3
	v_fma_f32 v1, -v8, v10, 1.0
	v_fmac_f32_e32 v10, v1, v10
	v_div_scale_f32 v1, vcc, v2, v5, v2
	v_mul_f32_e32 v4, v1, v10
	v_fma_f32 v9, -v8, v4, v1
	v_fmac_f32_e32 v4, v9, v10
	v_fma_f32 v1, -v8, v4, v1
	v_div_fmas_f32 v1, v1, v10, v4
	v_div_fixup_f32 v2, v1, v5, v2
	v_mov_b32_e32 v1, 0
	global_store_dwordx2 v[6:7], v[2:3], off offset:512
.LBB29_169:                             ;   in Loop: Header=BB29_12 Depth=1
	s_or_b64 exec, exec, s[12:13]
	v_cmp_gt_i32_e32 vcc, s92, v1
	s_mov_b64 s[12:13], -1
	s_and_saveexec_b64 s[72:73], vcc
; %bb.170:                              ;   in Loop: Header=BB29_12 Depth=1
	v_cmp_eq_u32_e32 vcc, 0, v1
	s_orn2_b64 s[12:13], vcc, exec
; %bb.171:                              ;   in Loop: Header=BB29_12 Depth=1
	s_or_b64 exec, exec, s[72:73]
	s_and_b64 exec, exec, s[12:13]
	s_cbranch_execz .LBB29_10
; %bb.172:                              ;   in Loop: Header=BB29_12 Depth=1
	v_accvgpr_read_b32 v1, a12
	v_add_u32_e32 v2, v1, v216
	v_accvgpr_read_b32 v1, a13
	v_or_b32_e32 v1, v1, v43
	v_cmp_gt_i32_e32 vcc, s36, v2
	v_cmp_gt_i32_e64 s[12:13], s3, v1
	s_and_b64 s[72:73], vcc, s[12:13]
	v_mov_b32_e32 v1, 0x47
	s_and_saveexec_b64 s[12:13], s[72:73]
	s_cbranch_execz .LBB29_174
; %bb.173:                              ;   in Loop: Header=BB29_12 Depth=1
	v_accvgpr_read_b32 v16, a14
	ds_read2_b32 v[4:5], v16 offset0:128 offset1:129
	ds_read2st64_b32 v[6:7], v233 offset1:1
	v_mul_lo_u32 v1, v2, s37
	ds_read2st64_b32 v[2:3], v233 offset0:33 offset1:34
	ds_read2st64_b32 v[8:9], v233 offset0:66 offset1:67
	;; [unrolled: 1-line block ×4, first 2 shown]
	ds_read_b32 v16, v16 offset:25856
	s_waitcnt lgkmcnt(4)
	v_cvt_f32_f16_sdwa v19, v2 dst_sel:DWORD dst_unused:UNUSED_PAD src0_sel:WORD_1
	v_cvt_f32_f16_sdwa v13, v6 dst_sel:DWORD dst_unused:UNUSED_PAD src0_sel:WORD_1
	v_cvt_f32_f16_e32 v12, v6
	v_cvt_f32_f16_e32 v18, v2
	s_waitcnt lgkmcnt(3)
	v_cvt_f32_f16_sdwa v21, v8 dst_sel:DWORD dst_unused:UNUSED_PAD src0_sel:WORD_1
	v_cvt_f32_f16_e32 v20, v8
	s_waitcnt lgkmcnt(2)
	v_cvt_f32_f16_sdwa v23, v10 dst_sel:DWORD dst_unused:UNUSED_PAD src0_sel:WORD_1
	v_cvt_f32_f16_e32 v22, v10
	v_pk_fma_f32 v[12:13], v[4:5], v[12:13], 0 op_sel_hi:[0,1,0]
	s_waitcnt lgkmcnt(1)
	v_pk_fma_f32 v[12:13], v[14:15], v[18:19], v[12:13] op_sel_hi:[0,1,1]
	v_mov_b32_e32 v2, v15
	v_pk_fma_f32 v[12:13], v[2:3], v[20:21], v[12:13] op_sel_hi:[0,1,1]
	v_accvgpr_read_b32 v6, a13
	s_waitcnt lgkmcnt(0)
	v_pk_fma_f32 v[12:13], v[16:17], v[22:23], v[12:13] op_sel_hi:[0,1,1]
	v_add_lshl_u32 v6, v1, v6, 7
	v_div_scale_f32 v1, s[72:73], v5, v5, v13
	v_rcp_f32_e32 v8, v1
	v_add_u32_e32 v18, v40, v6
	v_ashrrev_i32_e32 v19, 31, v18
	v_lshl_add_u64 v[18:19], v[18:19], 3, v[122:123]
	v_fma_f32 v10, -v1, v8, 1.0
	v_fmac_f32_e32 v8, v10, v8
	v_div_scale_f32 v10, vcc, v13, v5, v13
	v_mul_f32_e32 v15, v10, v8
	v_fma_f32 v17, -v1, v15, v10
	v_fmac_f32_e32 v15, v17, v8
	v_fma_f32 v1, -v1, v15, v10
	v_div_scale_f32 v10, s[72:73], v5, v5, v12
	v_rcp_f32_e32 v17, v10
	v_div_fmas_f32 v1, v1, v8, v15
	v_div_fixup_f32 v13, v1, v5, v13
	v_cvt_f32_f16_sdwa v21, v9 dst_sel:DWORD dst_unused:UNUSED_PAD src0_sel:WORD_1
	v_fma_f32 v1, -v10, v17, 1.0
	v_fmac_f32_e32 v17, v1, v17
	v_div_scale_f32 v1, vcc, v12, v5, v12
	v_mul_f32_e32 v8, v1, v17
	v_fma_f32 v15, -v10, v8, v1
	v_fmac_f32_e32 v8, v15, v17
	v_fma_f32 v1, -v10, v8, v1
	v_div_fmas_f32 v1, v1, v17, v8
	v_div_fixup_f32 v12, v1, v5, v12
	global_store_dwordx2 v[18:19], v[12:13], off
	v_cvt_f32_f16_sdwa v13, v7 dst_sel:DWORD dst_unused:UNUSED_PAD src0_sel:WORD_1
	v_cvt_f32_f16_e32 v12, v7
	v_cvt_f32_f16_sdwa v19, v3 dst_sel:DWORD dst_unused:UNUSED_PAD src0_sel:WORD_1
	v_cvt_f32_f16_e32 v18, v3
	v_cvt_f32_f16_e32 v20, v9
	v_cvt_f32_f16_sdwa v9, v11 dst_sel:DWORD dst_unused:UNUSED_PAD src0_sel:WORD_1
	v_cvt_f32_f16_e32 v8, v11
	v_pk_fma_f32 v[10:11], v[4:5], v[12:13], 0 op_sel_hi:[0,1,0]
	v_pk_fma_f32 v[10:11], v[14:15], v[18:19], v[10:11] op_sel_hi:[0,1,1]
	;; [unrolled: 1-line block ×4, first 2 shown]
	v_div_scale_f32 v1, s[72:73], v5, v5, v3
	v_rcp_f32_e32 v4, v1
	v_ashrrev_i32_e32 v7, 31, v6
	v_lshl_add_u64 v[6:7], v[40:41], 0, v[6:7]
	v_lshl_add_u64 v[6:7], v[6:7], 3, v[122:123]
	v_fma_f32 v8, -v1, v4, 1.0
	v_fmac_f32_e32 v4, v8, v4
	v_div_scale_f32 v8, vcc, v3, v5, v3
	v_mul_f32_e32 v9, v8, v4
	v_fma_f32 v10, -v1, v9, v8
	v_fmac_f32_e32 v9, v10, v4
	v_fma_f32 v1, -v1, v9, v8
	v_div_scale_f32 v8, s[72:73], v5, v5, v2
	v_rcp_f32_e32 v10, v8
	v_div_fmas_f32 v1, v1, v4, v9
	v_div_fixup_f32 v3, v1, v5, v3
	v_fma_f32 v1, -v8, v10, 1.0
	v_fmac_f32_e32 v10, v1, v10
	v_div_scale_f32 v1, vcc, v2, v5, v2
	v_mul_f32_e32 v4, v1, v10
	v_fma_f32 v9, -v8, v4, v1
	v_fmac_f32_e32 v4, v9, v10
	v_fma_f32 v1, -v8, v4, v1
	v_div_fmas_f32 v1, v1, v10, v4
	v_div_fixup_f32 v2, v1, v5, v2
	v_mov_b32_e32 v1, 0
	global_store_dwordx2 v[6:7], v[2:3], off offset:512
.LBB29_174:                             ;   in Loop: Header=BB29_12 Depth=1
	s_or_b64 exec, exec, s[12:13]
	v_cmp_gt_i32_e32 vcc, s92, v1
	s_mov_b64 s[12:13], -1
	s_and_saveexec_b64 s[72:73], vcc
; %bb.175:                              ;   in Loop: Header=BB29_12 Depth=1
	v_cmp_eq_u32_e32 vcc, 0, v1
	s_orn2_b64 s[12:13], vcc, exec
; %bb.176:                              ;   in Loop: Header=BB29_12 Depth=1
	s_or_b64 exec, exec, s[72:73]
	s_and_b64 exec, exec, s[12:13]
	s_cbranch_execz .LBB29_10
; %bb.177:                              ;   in Loop: Header=BB29_12 Depth=1
	v_accvgpr_read_b32 v1, a15
	v_add_u32_e32 v2, v1, v216
	v_accvgpr_read_b32 v1, a16
	v_or_b32_e32 v1, v1, v43
	v_cmp_gt_i32_e32 vcc, s36, v2
	v_cmp_gt_i32_e64 s[12:13], s3, v1
	s_and_b64 s[72:73], vcc, s[12:13]
	v_mov_b32_e32 v1, 0x47
	s_and_saveexec_b64 s[12:13], s[72:73]
	s_cbranch_execz .LBB29_179
; %bb.178:                              ;   in Loop: Header=BB29_12 Depth=1
	v_accvgpr_read_b32 v10, a51
	ds_read2st64_b32 v[6:7], v10 offset1:1
	v_accvgpr_read_b32 v16, a17
	ds_read2_b32 v[4:5], v16 offset0:128 offset1:129
	v_mul_lo_u32 v1, v2, s37
	ds_read2st64_b32 v[2:3], v10 offset0:33 offset1:34
	ds_read2st64_b32 v[8:9], v10 offset0:66 offset1:67
	;; [unrolled: 1-line block ×3, first 2 shown]
	s_waitcnt lgkmcnt(4)
	v_cvt_f32_f16_sdwa v13, v6 dst_sel:DWORD dst_unused:UNUSED_PAD src0_sel:WORD_1
	v_cvt_f32_f16_e32 v12, v6
	ds_read2st64_b32 v[14:15], v16 offset0:35 offset1:68
	ds_read_b32 v16, v16 offset:25856
	s_waitcnt lgkmcnt(4)
	v_cvt_f32_f16_sdwa v19, v2 dst_sel:DWORD dst_unused:UNUSED_PAD src0_sel:WORD_1
	v_cvt_f32_f16_e32 v18, v2
	s_waitcnt lgkmcnt(3)
	v_cvt_f32_f16_sdwa v21, v8 dst_sel:DWORD dst_unused:UNUSED_PAD src0_sel:WORD_1
	v_cvt_f32_f16_e32 v20, v8
	;; [unrolled: 3-line block ×3, first 2 shown]
	v_pk_fma_f32 v[12:13], v[4:5], v[12:13], 0 op_sel_hi:[0,1,0]
	s_waitcnt lgkmcnt(1)
	v_pk_fma_f32 v[12:13], v[14:15], v[18:19], v[12:13] op_sel_hi:[0,1,1]
	v_mov_b32_e32 v2, v15
	v_pk_fma_f32 v[12:13], v[2:3], v[20:21], v[12:13] op_sel_hi:[0,1,1]
	v_accvgpr_read_b32 v6, a16
	s_waitcnt lgkmcnt(0)
	v_pk_fma_f32 v[12:13], v[16:17], v[22:23], v[12:13] op_sel_hi:[0,1,1]
	v_add_lshl_u32 v6, v1, v6, 7
	v_div_scale_f32 v1, s[72:73], v5, v5, v13
	v_rcp_f32_e32 v8, v1
	v_add_u32_e32 v18, v40, v6
	v_ashrrev_i32_e32 v19, 31, v18
	v_lshl_add_u64 v[18:19], v[18:19], 3, v[122:123]
	v_fma_f32 v10, -v1, v8, 1.0
	v_fmac_f32_e32 v8, v10, v8
	v_div_scale_f32 v10, vcc, v13, v5, v13
	v_mul_f32_e32 v15, v10, v8
	v_fma_f32 v17, -v1, v15, v10
	v_fmac_f32_e32 v15, v17, v8
	v_fma_f32 v1, -v1, v15, v10
	v_div_scale_f32 v10, s[72:73], v5, v5, v12
	v_rcp_f32_e32 v17, v10
	v_div_fmas_f32 v1, v1, v8, v15
	v_div_fixup_f32 v13, v1, v5, v13
	v_cvt_f32_f16_sdwa v21, v9 dst_sel:DWORD dst_unused:UNUSED_PAD src0_sel:WORD_1
	v_fma_f32 v1, -v10, v17, 1.0
	v_fmac_f32_e32 v17, v1, v17
	v_div_scale_f32 v1, vcc, v12, v5, v12
	v_mul_f32_e32 v8, v1, v17
	v_fma_f32 v15, -v10, v8, v1
	v_fmac_f32_e32 v8, v15, v17
	v_fma_f32 v1, -v10, v8, v1
	v_div_fmas_f32 v1, v1, v17, v8
	v_div_fixup_f32 v12, v1, v5, v12
	global_store_dwordx2 v[18:19], v[12:13], off
	v_cvt_f32_f16_sdwa v13, v7 dst_sel:DWORD dst_unused:UNUSED_PAD src0_sel:WORD_1
	v_cvt_f32_f16_e32 v12, v7
	v_cvt_f32_f16_sdwa v19, v3 dst_sel:DWORD dst_unused:UNUSED_PAD src0_sel:WORD_1
	v_cvt_f32_f16_e32 v18, v3
	v_cvt_f32_f16_e32 v20, v9
	v_cvt_f32_f16_sdwa v9, v11 dst_sel:DWORD dst_unused:UNUSED_PAD src0_sel:WORD_1
	v_cvt_f32_f16_e32 v8, v11
	v_pk_fma_f32 v[10:11], v[4:5], v[12:13], 0 op_sel_hi:[0,1,0]
	v_pk_fma_f32 v[10:11], v[14:15], v[18:19], v[10:11] op_sel_hi:[0,1,1]
	;; [unrolled: 1-line block ×4, first 2 shown]
	v_div_scale_f32 v1, s[72:73], v5, v5, v3
	v_rcp_f32_e32 v4, v1
	v_ashrrev_i32_e32 v7, 31, v6
	v_lshl_add_u64 v[6:7], v[40:41], 0, v[6:7]
	v_lshl_add_u64 v[6:7], v[6:7], 3, v[122:123]
	v_fma_f32 v8, -v1, v4, 1.0
	v_fmac_f32_e32 v4, v8, v4
	v_div_scale_f32 v8, vcc, v3, v5, v3
	v_mul_f32_e32 v9, v8, v4
	v_fma_f32 v10, -v1, v9, v8
	v_fmac_f32_e32 v9, v10, v4
	v_fma_f32 v1, -v1, v9, v8
	v_div_scale_f32 v8, s[72:73], v5, v5, v2
	v_rcp_f32_e32 v10, v8
	v_div_fmas_f32 v1, v1, v4, v9
	v_div_fixup_f32 v3, v1, v5, v3
	v_fma_f32 v1, -v8, v10, 1.0
	v_fmac_f32_e32 v10, v1, v10
	v_div_scale_f32 v1, vcc, v2, v5, v2
	v_mul_f32_e32 v4, v1, v10
	v_fma_f32 v9, -v8, v4, v1
	v_fmac_f32_e32 v4, v9, v10
	v_fma_f32 v1, -v8, v4, v1
	v_div_fmas_f32 v1, v1, v10, v4
	v_div_fixup_f32 v2, v1, v5, v2
	v_mov_b32_e32 v1, 0
	global_store_dwordx2 v[6:7], v[2:3], off offset:512
.LBB29_179:                             ;   in Loop: Header=BB29_12 Depth=1
	s_or_b64 exec, exec, s[12:13]
	v_cmp_gt_i32_e32 vcc, s92, v1
	s_mov_b64 s[12:13], -1
	s_and_saveexec_b64 s[72:73], vcc
; %bb.180:                              ;   in Loop: Header=BB29_12 Depth=1
	v_cmp_eq_u32_e32 vcc, 0, v1
	s_orn2_b64 s[12:13], vcc, exec
; %bb.181:                              ;   in Loop: Header=BB29_12 Depth=1
	s_or_b64 exec, exec, s[72:73]
	s_and_b64 exec, exec, s[12:13]
	s_cbranch_execz .LBB29_10
; %bb.182:                              ;   in Loop: Header=BB29_12 Depth=1
	v_accvgpr_read_b32 v1, a18
	v_add_u32_e32 v2, v1, v216
	v_cmp_gt_i32_e32 vcc, s36, v2
	s_and_b64 s[72:73], vcc, s[8:9]
	v_mov_b32_e32 v1, 0x47
	s_and_saveexec_b64 s[12:13], s[72:73]
	s_cbranch_execz .LBB29_184
; %bb.183:                              ;   in Loop: Header=BB29_12 Depth=1
	v_accvgpr_read_b32 v10, a52
	ds_read2st64_b32 v[6:7], v10 offset1:1
	v_accvgpr_read_b32 v16, a19
	ds_read2_b32 v[4:5], v16 offset0:128 offset1:129
	v_mul_lo_u32 v1, v2, s37
	ds_read2st64_b32 v[2:3], v10 offset0:33 offset1:34
	ds_read2st64_b32 v[8:9], v10 offset0:66 offset1:67
	ds_read2st64_b32 v[10:11], v10 offset0:99 offset1:100
	s_waitcnt lgkmcnt(4)
	v_cvt_f32_f16_sdwa v13, v6 dst_sel:DWORD dst_unused:UNUSED_PAD src0_sel:WORD_1
	v_cvt_f32_f16_e32 v12, v6
	ds_read2st64_b32 v[14:15], v16 offset0:35 offset1:68
	ds_read_b32 v16, v16 offset:25856
	s_waitcnt lgkmcnt(4)
	v_cvt_f32_f16_sdwa v19, v2 dst_sel:DWORD dst_unused:UNUSED_PAD src0_sel:WORD_1
	v_cvt_f32_f16_e32 v18, v2
	s_waitcnt lgkmcnt(3)
	v_cvt_f32_f16_sdwa v21, v8 dst_sel:DWORD dst_unused:UNUSED_PAD src0_sel:WORD_1
	v_cvt_f32_f16_e32 v20, v8
	;; [unrolled: 3-line block ×3, first 2 shown]
	v_pk_fma_f32 v[12:13], v[4:5], v[12:13], 0 op_sel_hi:[0,1,0]
	s_waitcnt lgkmcnt(1)
	v_pk_fma_f32 v[12:13], v[14:15], v[18:19], v[12:13] op_sel_hi:[0,1,1]
	v_mov_b32_e32 v2, v15
	v_pk_fma_f32 v[12:13], v[2:3], v[20:21], v[12:13] op_sel_hi:[0,1,1]
	s_waitcnt lgkmcnt(0)
	v_pk_fma_f32 v[12:13], v[16:17], v[22:23], v[12:13] op_sel_hi:[0,1,1]
	v_add_lshl_u32 v6, v1, v245, 7
	v_div_scale_f32 v1, s[72:73], v5, v5, v13
	v_rcp_f32_e32 v8, v1
	v_add_u32_e32 v18, v40, v6
	v_ashrrev_i32_e32 v19, 31, v18
	v_lshl_add_u64 v[18:19], v[18:19], 3, v[122:123]
	v_fma_f32 v10, -v1, v8, 1.0
	v_fmac_f32_e32 v8, v10, v8
	v_div_scale_f32 v10, vcc, v13, v5, v13
	v_mul_f32_e32 v15, v10, v8
	v_fma_f32 v17, -v1, v15, v10
	v_fmac_f32_e32 v15, v17, v8
	v_fma_f32 v1, -v1, v15, v10
	v_div_scale_f32 v10, s[72:73], v5, v5, v12
	v_rcp_f32_e32 v17, v10
	v_div_fmas_f32 v1, v1, v8, v15
	v_div_fixup_f32 v13, v1, v5, v13
	v_cvt_f32_f16_sdwa v21, v9 dst_sel:DWORD dst_unused:UNUSED_PAD src0_sel:WORD_1
	v_fma_f32 v1, -v10, v17, 1.0
	v_fmac_f32_e32 v17, v1, v17
	v_div_scale_f32 v1, vcc, v12, v5, v12
	v_mul_f32_e32 v8, v1, v17
	v_fma_f32 v15, -v10, v8, v1
	v_fmac_f32_e32 v8, v15, v17
	v_fma_f32 v1, -v10, v8, v1
	v_div_fmas_f32 v1, v1, v17, v8
	v_div_fixup_f32 v12, v1, v5, v12
	global_store_dwordx2 v[18:19], v[12:13], off
	v_cvt_f32_f16_sdwa v13, v7 dst_sel:DWORD dst_unused:UNUSED_PAD src0_sel:WORD_1
	v_cvt_f32_f16_e32 v12, v7
	v_cvt_f32_f16_sdwa v19, v3 dst_sel:DWORD dst_unused:UNUSED_PAD src0_sel:WORD_1
	v_cvt_f32_f16_e32 v18, v3
	v_cvt_f32_f16_e32 v20, v9
	v_cvt_f32_f16_sdwa v9, v11 dst_sel:DWORD dst_unused:UNUSED_PAD src0_sel:WORD_1
	v_cvt_f32_f16_e32 v8, v11
	v_pk_fma_f32 v[10:11], v[4:5], v[12:13], 0 op_sel_hi:[0,1,0]
	v_pk_fma_f32 v[10:11], v[14:15], v[18:19], v[10:11] op_sel_hi:[0,1,1]
	;; [unrolled: 1-line block ×4, first 2 shown]
	v_div_scale_f32 v1, s[72:73], v5, v5, v3
	v_rcp_f32_e32 v4, v1
	v_ashrrev_i32_e32 v7, 31, v6
	v_lshl_add_u64 v[6:7], v[40:41], 0, v[6:7]
	v_lshl_add_u64 v[6:7], v[6:7], 3, v[122:123]
	v_fma_f32 v8, -v1, v4, 1.0
	v_fmac_f32_e32 v4, v8, v4
	v_div_scale_f32 v8, vcc, v3, v5, v3
	v_mul_f32_e32 v9, v8, v4
	v_fma_f32 v10, -v1, v9, v8
	v_fmac_f32_e32 v9, v10, v4
	v_fma_f32 v1, -v1, v9, v8
	v_div_scale_f32 v8, s[72:73], v5, v5, v2
	v_rcp_f32_e32 v10, v8
	v_div_fmas_f32 v1, v1, v4, v9
	v_div_fixup_f32 v3, v1, v5, v3
	v_fma_f32 v1, -v8, v10, 1.0
	v_fmac_f32_e32 v10, v1, v10
	v_div_scale_f32 v1, vcc, v2, v5, v2
	v_mul_f32_e32 v4, v1, v10
	v_fma_f32 v9, -v8, v4, v1
	v_fmac_f32_e32 v4, v9, v10
	v_fma_f32 v1, -v8, v4, v1
	v_div_fmas_f32 v1, v1, v10, v4
	v_div_fixup_f32 v2, v1, v5, v2
	v_mov_b32_e32 v1, 0
	global_store_dwordx2 v[6:7], v[2:3], off offset:512
.LBB29_184:                             ;   in Loop: Header=BB29_12 Depth=1
	s_or_b64 exec, exec, s[12:13]
	v_cmp_gt_i32_e32 vcc, s92, v1
	s_mov_b64 s[12:13], -1
	s_and_saveexec_b64 s[72:73], vcc
; %bb.185:                              ;   in Loop: Header=BB29_12 Depth=1
	v_cmp_eq_u32_e32 vcc, 0, v1
	s_orn2_b64 s[12:13], vcc, exec
; %bb.186:                              ;   in Loop: Header=BB29_12 Depth=1
	s_or_b64 exec, exec, s[72:73]
	s_and_b64 exec, exec, s[12:13]
	s_cbranch_execz .LBB29_10
; %bb.187:                              ;   in Loop: Header=BB29_12 Depth=1
	v_accvgpr_read_b32 v1, a20
	v_add_u32_e32 v2, v1, v216
	v_accvgpr_read_b32 v1, a21
	v_or_b32_e32 v1, v1, v43
	v_cmp_gt_i32_e32 vcc, s36, v2
	v_cmp_gt_i32_e64 s[12:13], s3, v1
	s_and_b64 s[72:73], vcc, s[12:13]
	v_mov_b32_e32 v1, 0x47
	s_and_saveexec_b64 s[12:13], s[72:73]
	s_cbranch_execz .LBB29_189
; %bb.188:                              ;   in Loop: Header=BB29_12 Depth=1
	v_accvgpr_read_b32 v10, a53
	ds_read2st64_b32 v[6:7], v10 offset1:1
	v_accvgpr_read_b32 v16, a22
	ds_read2_b32 v[4:5], v16 offset0:128 offset1:129
	v_mul_lo_u32 v1, v2, s37
	ds_read2st64_b32 v[2:3], v10 offset0:33 offset1:34
	ds_read2st64_b32 v[8:9], v10 offset0:66 offset1:67
	;; [unrolled: 1-line block ×3, first 2 shown]
	s_waitcnt lgkmcnt(4)
	v_cvt_f32_f16_sdwa v13, v6 dst_sel:DWORD dst_unused:UNUSED_PAD src0_sel:WORD_1
	v_cvt_f32_f16_e32 v12, v6
	ds_read2st64_b32 v[14:15], v16 offset0:35 offset1:68
	ds_read_b32 v16, v16 offset:25856
	s_waitcnt lgkmcnt(4)
	v_cvt_f32_f16_sdwa v19, v2 dst_sel:DWORD dst_unused:UNUSED_PAD src0_sel:WORD_1
	v_cvt_f32_f16_e32 v18, v2
	s_waitcnt lgkmcnt(3)
	v_cvt_f32_f16_sdwa v21, v8 dst_sel:DWORD dst_unused:UNUSED_PAD src0_sel:WORD_1
	v_cvt_f32_f16_e32 v20, v8
	;; [unrolled: 3-line block ×3, first 2 shown]
	v_pk_fma_f32 v[12:13], v[4:5], v[12:13], 0 op_sel_hi:[0,1,0]
	s_waitcnt lgkmcnt(1)
	v_pk_fma_f32 v[12:13], v[14:15], v[18:19], v[12:13] op_sel_hi:[0,1,1]
	v_mov_b32_e32 v2, v15
	v_pk_fma_f32 v[12:13], v[2:3], v[20:21], v[12:13] op_sel_hi:[0,1,1]
	v_accvgpr_read_b32 v6, a21
	s_waitcnt lgkmcnt(0)
	v_pk_fma_f32 v[12:13], v[16:17], v[22:23], v[12:13] op_sel_hi:[0,1,1]
	v_add_lshl_u32 v6, v1, v6, 7
	v_div_scale_f32 v1, s[72:73], v5, v5, v13
	v_rcp_f32_e32 v8, v1
	v_add_u32_e32 v18, v40, v6
	v_ashrrev_i32_e32 v19, 31, v18
	v_lshl_add_u64 v[18:19], v[18:19], 3, v[122:123]
	v_fma_f32 v10, -v1, v8, 1.0
	v_fmac_f32_e32 v8, v10, v8
	v_div_scale_f32 v10, vcc, v13, v5, v13
	v_mul_f32_e32 v15, v10, v8
	v_fma_f32 v17, -v1, v15, v10
	v_fmac_f32_e32 v15, v17, v8
	v_fma_f32 v1, -v1, v15, v10
	v_div_scale_f32 v10, s[72:73], v5, v5, v12
	v_rcp_f32_e32 v17, v10
	v_div_fmas_f32 v1, v1, v8, v15
	v_div_fixup_f32 v13, v1, v5, v13
	v_cvt_f32_f16_sdwa v21, v9 dst_sel:DWORD dst_unused:UNUSED_PAD src0_sel:WORD_1
	v_fma_f32 v1, -v10, v17, 1.0
	v_fmac_f32_e32 v17, v1, v17
	v_div_scale_f32 v1, vcc, v12, v5, v12
	v_mul_f32_e32 v8, v1, v17
	v_fma_f32 v15, -v10, v8, v1
	v_fmac_f32_e32 v8, v15, v17
	v_fma_f32 v1, -v10, v8, v1
	v_div_fmas_f32 v1, v1, v17, v8
	v_div_fixup_f32 v12, v1, v5, v12
	global_store_dwordx2 v[18:19], v[12:13], off
	v_cvt_f32_f16_sdwa v13, v7 dst_sel:DWORD dst_unused:UNUSED_PAD src0_sel:WORD_1
	v_cvt_f32_f16_e32 v12, v7
	v_cvt_f32_f16_sdwa v19, v3 dst_sel:DWORD dst_unused:UNUSED_PAD src0_sel:WORD_1
	v_cvt_f32_f16_e32 v18, v3
	v_cvt_f32_f16_e32 v20, v9
	v_cvt_f32_f16_sdwa v9, v11 dst_sel:DWORD dst_unused:UNUSED_PAD src0_sel:WORD_1
	v_cvt_f32_f16_e32 v8, v11
	v_pk_fma_f32 v[10:11], v[4:5], v[12:13], 0 op_sel_hi:[0,1,0]
	v_pk_fma_f32 v[10:11], v[14:15], v[18:19], v[10:11] op_sel_hi:[0,1,1]
	;; [unrolled: 1-line block ×4, first 2 shown]
	v_div_scale_f32 v1, s[72:73], v5, v5, v3
	v_rcp_f32_e32 v4, v1
	v_ashrrev_i32_e32 v7, 31, v6
	v_lshl_add_u64 v[6:7], v[40:41], 0, v[6:7]
	v_lshl_add_u64 v[6:7], v[6:7], 3, v[122:123]
	v_fma_f32 v8, -v1, v4, 1.0
	v_fmac_f32_e32 v4, v8, v4
	v_div_scale_f32 v8, vcc, v3, v5, v3
	v_mul_f32_e32 v9, v8, v4
	v_fma_f32 v10, -v1, v9, v8
	v_fmac_f32_e32 v9, v10, v4
	v_fma_f32 v1, -v1, v9, v8
	v_div_scale_f32 v8, s[72:73], v5, v5, v2
	v_rcp_f32_e32 v10, v8
	v_div_fmas_f32 v1, v1, v4, v9
	v_div_fixup_f32 v3, v1, v5, v3
	v_fma_f32 v1, -v8, v10, 1.0
	v_fmac_f32_e32 v10, v1, v10
	v_div_scale_f32 v1, vcc, v2, v5, v2
	v_mul_f32_e32 v4, v1, v10
	v_fma_f32 v9, -v8, v4, v1
	v_fmac_f32_e32 v4, v9, v10
	v_fma_f32 v1, -v8, v4, v1
	v_div_fmas_f32 v1, v1, v10, v4
	v_div_fixup_f32 v2, v1, v5, v2
	v_mov_b32_e32 v1, 0
	global_store_dwordx2 v[6:7], v[2:3], off offset:512
.LBB29_189:                             ;   in Loop: Header=BB29_12 Depth=1
	s_or_b64 exec, exec, s[12:13]
	v_cmp_gt_i32_e32 vcc, s92, v1
	s_mov_b64 s[12:13], -1
	s_and_saveexec_b64 s[72:73], vcc
; %bb.190:                              ;   in Loop: Header=BB29_12 Depth=1
	v_cmp_eq_u32_e32 vcc, 0, v1
	s_orn2_b64 s[12:13], vcc, exec
; %bb.191:                              ;   in Loop: Header=BB29_12 Depth=1
	s_or_b64 exec, exec, s[72:73]
	s_and_b64 exec, exec, s[12:13]
	s_cbranch_execz .LBB29_10
; %bb.192:                              ;   in Loop: Header=BB29_12 Depth=1
	v_accvgpr_read_b32 v1, a23
	v_add_u32_e32 v2, v1, v216
	v_accvgpr_read_b32 v1, a24
	v_or_b32_e32 v1, v1, v43
	v_cmp_gt_i32_e32 vcc, s36, v2
	v_cmp_gt_i32_e64 s[12:13], s3, v1
	s_and_b64 s[72:73], vcc, s[12:13]
	v_mov_b32_e32 v1, 0x47
	s_and_saveexec_b64 s[12:13], s[72:73]
	s_cbranch_execz .LBB29_194
; %bb.193:                              ;   in Loop: Header=BB29_12 Depth=1
	v_accvgpr_read_b32 v10, a54
	ds_read2st64_b32 v[6:7], v10 offset1:1
	v_accvgpr_read_b32 v16, a25
	ds_read2_b32 v[4:5], v16 offset0:128 offset1:129
	v_mul_lo_u32 v1, v2, s37
	ds_read2st64_b32 v[2:3], v10 offset0:33 offset1:34
	ds_read2st64_b32 v[8:9], v10 offset0:66 offset1:67
	;; [unrolled: 1-line block ×3, first 2 shown]
	s_waitcnt lgkmcnt(4)
	v_cvt_f32_f16_sdwa v13, v6 dst_sel:DWORD dst_unused:UNUSED_PAD src0_sel:WORD_1
	v_cvt_f32_f16_e32 v12, v6
	ds_read2st64_b32 v[14:15], v16 offset0:35 offset1:68
	ds_read_b32 v16, v16 offset:25856
	s_waitcnt lgkmcnt(4)
	v_cvt_f32_f16_sdwa v19, v2 dst_sel:DWORD dst_unused:UNUSED_PAD src0_sel:WORD_1
	v_cvt_f32_f16_e32 v18, v2
	s_waitcnt lgkmcnt(3)
	v_cvt_f32_f16_sdwa v21, v8 dst_sel:DWORD dst_unused:UNUSED_PAD src0_sel:WORD_1
	v_cvt_f32_f16_e32 v20, v8
	s_waitcnt lgkmcnt(2)
	v_cvt_f32_f16_sdwa v23, v10 dst_sel:DWORD dst_unused:UNUSED_PAD src0_sel:WORD_1
	v_cvt_f32_f16_e32 v22, v10
	v_pk_fma_f32 v[12:13], v[4:5], v[12:13], 0 op_sel_hi:[0,1,0]
	s_waitcnt lgkmcnt(1)
	v_pk_fma_f32 v[12:13], v[14:15], v[18:19], v[12:13] op_sel_hi:[0,1,1]
	v_mov_b32_e32 v2, v15
	v_pk_fma_f32 v[12:13], v[2:3], v[20:21], v[12:13] op_sel_hi:[0,1,1]
	v_accvgpr_read_b32 v6, a24
	s_waitcnt lgkmcnt(0)
	v_pk_fma_f32 v[12:13], v[16:17], v[22:23], v[12:13] op_sel_hi:[0,1,1]
	v_add_lshl_u32 v6, v1, v6, 7
	v_div_scale_f32 v1, s[72:73], v5, v5, v13
	v_rcp_f32_e32 v8, v1
	v_add_u32_e32 v18, v40, v6
	v_ashrrev_i32_e32 v19, 31, v18
	v_lshl_add_u64 v[18:19], v[18:19], 3, v[122:123]
	v_fma_f32 v10, -v1, v8, 1.0
	v_fmac_f32_e32 v8, v10, v8
	v_div_scale_f32 v10, vcc, v13, v5, v13
	v_mul_f32_e32 v15, v10, v8
	v_fma_f32 v17, -v1, v15, v10
	v_fmac_f32_e32 v15, v17, v8
	v_fma_f32 v1, -v1, v15, v10
	v_div_scale_f32 v10, s[72:73], v5, v5, v12
	v_rcp_f32_e32 v17, v10
	v_div_fmas_f32 v1, v1, v8, v15
	v_div_fixup_f32 v13, v1, v5, v13
	v_cvt_f32_f16_sdwa v21, v9 dst_sel:DWORD dst_unused:UNUSED_PAD src0_sel:WORD_1
	v_fma_f32 v1, -v10, v17, 1.0
	v_fmac_f32_e32 v17, v1, v17
	v_div_scale_f32 v1, vcc, v12, v5, v12
	v_mul_f32_e32 v8, v1, v17
	v_fma_f32 v15, -v10, v8, v1
	v_fmac_f32_e32 v8, v15, v17
	v_fma_f32 v1, -v10, v8, v1
	v_div_fmas_f32 v1, v1, v17, v8
	v_div_fixup_f32 v12, v1, v5, v12
	global_store_dwordx2 v[18:19], v[12:13], off
	v_cvt_f32_f16_sdwa v13, v7 dst_sel:DWORD dst_unused:UNUSED_PAD src0_sel:WORD_1
	v_cvt_f32_f16_e32 v12, v7
	v_cvt_f32_f16_sdwa v19, v3 dst_sel:DWORD dst_unused:UNUSED_PAD src0_sel:WORD_1
	v_cvt_f32_f16_e32 v18, v3
	v_cvt_f32_f16_e32 v20, v9
	v_cvt_f32_f16_sdwa v9, v11 dst_sel:DWORD dst_unused:UNUSED_PAD src0_sel:WORD_1
	v_cvt_f32_f16_e32 v8, v11
	v_pk_fma_f32 v[10:11], v[4:5], v[12:13], 0 op_sel_hi:[0,1,0]
	v_pk_fma_f32 v[10:11], v[14:15], v[18:19], v[10:11] op_sel_hi:[0,1,1]
	;; [unrolled: 1-line block ×4, first 2 shown]
	v_div_scale_f32 v1, s[72:73], v5, v5, v3
	v_rcp_f32_e32 v4, v1
	v_ashrrev_i32_e32 v7, 31, v6
	v_lshl_add_u64 v[6:7], v[40:41], 0, v[6:7]
	v_lshl_add_u64 v[6:7], v[6:7], 3, v[122:123]
	v_fma_f32 v8, -v1, v4, 1.0
	v_fmac_f32_e32 v4, v8, v4
	v_div_scale_f32 v8, vcc, v3, v5, v3
	v_mul_f32_e32 v9, v8, v4
	v_fma_f32 v10, -v1, v9, v8
	v_fmac_f32_e32 v9, v10, v4
	v_fma_f32 v1, -v1, v9, v8
	v_div_scale_f32 v8, s[72:73], v5, v5, v2
	v_rcp_f32_e32 v10, v8
	v_div_fmas_f32 v1, v1, v4, v9
	v_div_fixup_f32 v3, v1, v5, v3
	v_fma_f32 v1, -v8, v10, 1.0
	v_fmac_f32_e32 v10, v1, v10
	v_div_scale_f32 v1, vcc, v2, v5, v2
	v_mul_f32_e32 v4, v1, v10
	v_fma_f32 v9, -v8, v4, v1
	v_fmac_f32_e32 v4, v9, v10
	v_fma_f32 v1, -v8, v4, v1
	v_div_fmas_f32 v1, v1, v10, v4
	v_div_fixup_f32 v2, v1, v5, v2
	v_mov_b32_e32 v1, 0
	global_store_dwordx2 v[6:7], v[2:3], off offset:512
.LBB29_194:                             ;   in Loop: Header=BB29_12 Depth=1
	s_or_b64 exec, exec, s[12:13]
	v_cmp_gt_i32_e32 vcc, s92, v1
	s_mov_b64 s[12:13], -1
	s_and_saveexec_b64 s[72:73], vcc
; %bb.195:                              ;   in Loop: Header=BB29_12 Depth=1
	v_cmp_eq_u32_e32 vcc, 0, v1
	s_orn2_b64 s[12:13], vcc, exec
; %bb.196:                              ;   in Loop: Header=BB29_12 Depth=1
	s_or_b64 exec, exec, s[72:73]
	s_and_b64 exec, exec, s[12:13]
	s_cbranch_execz .LBB29_10
; %bb.197:                              ;   in Loop: Header=BB29_12 Depth=1
	v_accvgpr_read_b32 v1, a26
	v_add_u32_e32 v2, v1, v216
	v_accvgpr_read_b32 v1, a27
	v_or_b32_e32 v1, v1, v43
	v_cmp_gt_i32_e32 vcc, s36, v2
	v_cmp_gt_i32_e64 s[12:13], s3, v1
	s_and_b64 s[72:73], vcc, s[12:13]
	v_mov_b32_e32 v1, 0x47
	s_and_saveexec_b64 s[12:13], s[72:73]
	s_cbranch_execz .LBB29_199
; %bb.198:                              ;   in Loop: Header=BB29_12 Depth=1
	v_accvgpr_read_b32 v10, a55
	ds_read2st64_b32 v[6:7], v10 offset1:1
	v_accvgpr_read_b32 v16, a28
	ds_read2_b32 v[4:5], v16 offset0:128 offset1:129
	v_mul_lo_u32 v1, v2, s37
	ds_read2st64_b32 v[2:3], v10 offset0:33 offset1:34
	ds_read2st64_b32 v[8:9], v10 offset0:66 offset1:67
	;; [unrolled: 1-line block ×3, first 2 shown]
	s_waitcnt lgkmcnt(4)
	v_cvt_f32_f16_sdwa v13, v6 dst_sel:DWORD dst_unused:UNUSED_PAD src0_sel:WORD_1
	v_cvt_f32_f16_e32 v12, v6
	ds_read2st64_b32 v[14:15], v16 offset0:35 offset1:68
	ds_read_b32 v16, v16 offset:25856
	s_waitcnt lgkmcnt(4)
	v_cvt_f32_f16_sdwa v19, v2 dst_sel:DWORD dst_unused:UNUSED_PAD src0_sel:WORD_1
	v_cvt_f32_f16_e32 v18, v2
	s_waitcnt lgkmcnt(3)
	v_cvt_f32_f16_sdwa v21, v8 dst_sel:DWORD dst_unused:UNUSED_PAD src0_sel:WORD_1
	v_cvt_f32_f16_e32 v20, v8
	;; [unrolled: 3-line block ×3, first 2 shown]
	v_pk_fma_f32 v[12:13], v[4:5], v[12:13], 0 op_sel_hi:[0,1,0]
	s_waitcnt lgkmcnt(1)
	v_pk_fma_f32 v[12:13], v[14:15], v[18:19], v[12:13] op_sel_hi:[0,1,1]
	v_mov_b32_e32 v2, v15
	v_pk_fma_f32 v[12:13], v[2:3], v[20:21], v[12:13] op_sel_hi:[0,1,1]
	v_accvgpr_read_b32 v6, a27
	s_waitcnt lgkmcnt(0)
	v_pk_fma_f32 v[12:13], v[16:17], v[22:23], v[12:13] op_sel_hi:[0,1,1]
	v_add_lshl_u32 v6, v1, v6, 7
	v_div_scale_f32 v1, s[72:73], v5, v5, v13
	v_rcp_f32_e32 v8, v1
	v_add_u32_e32 v18, v40, v6
	v_ashrrev_i32_e32 v19, 31, v18
	v_lshl_add_u64 v[18:19], v[18:19], 3, v[122:123]
	v_fma_f32 v10, -v1, v8, 1.0
	v_fmac_f32_e32 v8, v10, v8
	v_div_scale_f32 v10, vcc, v13, v5, v13
	v_mul_f32_e32 v15, v10, v8
	v_fma_f32 v17, -v1, v15, v10
	v_fmac_f32_e32 v15, v17, v8
	v_fma_f32 v1, -v1, v15, v10
	v_div_scale_f32 v10, s[72:73], v5, v5, v12
	v_rcp_f32_e32 v17, v10
	v_div_fmas_f32 v1, v1, v8, v15
	v_div_fixup_f32 v13, v1, v5, v13
	v_cvt_f32_f16_sdwa v21, v9 dst_sel:DWORD dst_unused:UNUSED_PAD src0_sel:WORD_1
	v_fma_f32 v1, -v10, v17, 1.0
	v_fmac_f32_e32 v17, v1, v17
	v_div_scale_f32 v1, vcc, v12, v5, v12
	v_mul_f32_e32 v8, v1, v17
	v_fma_f32 v15, -v10, v8, v1
	v_fmac_f32_e32 v8, v15, v17
	v_fma_f32 v1, -v10, v8, v1
	v_div_fmas_f32 v1, v1, v17, v8
	v_div_fixup_f32 v12, v1, v5, v12
	global_store_dwordx2 v[18:19], v[12:13], off
	v_cvt_f32_f16_sdwa v13, v7 dst_sel:DWORD dst_unused:UNUSED_PAD src0_sel:WORD_1
	v_cvt_f32_f16_e32 v12, v7
	v_cvt_f32_f16_sdwa v19, v3 dst_sel:DWORD dst_unused:UNUSED_PAD src0_sel:WORD_1
	v_cvt_f32_f16_e32 v18, v3
	v_cvt_f32_f16_e32 v20, v9
	v_cvt_f32_f16_sdwa v9, v11 dst_sel:DWORD dst_unused:UNUSED_PAD src0_sel:WORD_1
	v_cvt_f32_f16_e32 v8, v11
	v_pk_fma_f32 v[10:11], v[4:5], v[12:13], 0 op_sel_hi:[0,1,0]
	v_pk_fma_f32 v[10:11], v[14:15], v[18:19], v[10:11] op_sel_hi:[0,1,1]
	;; [unrolled: 1-line block ×4, first 2 shown]
	v_div_scale_f32 v1, s[72:73], v5, v5, v3
	v_rcp_f32_e32 v4, v1
	v_ashrrev_i32_e32 v7, 31, v6
	v_lshl_add_u64 v[6:7], v[40:41], 0, v[6:7]
	v_lshl_add_u64 v[6:7], v[6:7], 3, v[122:123]
	v_fma_f32 v8, -v1, v4, 1.0
	v_fmac_f32_e32 v4, v8, v4
	v_div_scale_f32 v8, vcc, v3, v5, v3
	v_mul_f32_e32 v9, v8, v4
	v_fma_f32 v10, -v1, v9, v8
	v_fmac_f32_e32 v9, v10, v4
	v_fma_f32 v1, -v1, v9, v8
	v_div_scale_f32 v8, s[72:73], v5, v5, v2
	v_rcp_f32_e32 v10, v8
	v_div_fmas_f32 v1, v1, v4, v9
	v_div_fixup_f32 v3, v1, v5, v3
	v_fma_f32 v1, -v8, v10, 1.0
	v_fmac_f32_e32 v10, v1, v10
	v_div_scale_f32 v1, vcc, v2, v5, v2
	v_mul_f32_e32 v4, v1, v10
	v_fma_f32 v9, -v8, v4, v1
	v_fmac_f32_e32 v4, v9, v10
	v_fma_f32 v1, -v8, v4, v1
	v_div_fmas_f32 v1, v1, v10, v4
	v_div_fixup_f32 v2, v1, v5, v2
	v_mov_b32_e32 v1, 0
	global_store_dwordx2 v[6:7], v[2:3], off offset:512
.LBB29_199:                             ;   in Loop: Header=BB29_12 Depth=1
	s_or_b64 exec, exec, s[12:13]
	v_cmp_gt_i32_e32 vcc, s92, v1
	s_mov_b64 s[12:13], -1
	s_and_saveexec_b64 s[72:73], vcc
; %bb.200:                              ;   in Loop: Header=BB29_12 Depth=1
	v_cmp_eq_u32_e32 vcc, 0, v1
	s_orn2_b64 s[12:13], vcc, exec
; %bb.201:                              ;   in Loop: Header=BB29_12 Depth=1
	s_or_b64 exec, exec, s[72:73]
	s_and_b64 exec, exec, s[12:13]
	s_cbranch_execz .LBB29_10
; %bb.202:                              ;   in Loop: Header=BB29_12 Depth=1
	v_accvgpr_read_b32 v1, a29
	v_add_u32_e32 v2, v1, v216
	v_cmp_gt_i32_e32 vcc, s36, v2
	s_and_b64 s[72:73], vcc, s[8:9]
	v_mov_b32_e32 v1, 0x47
	s_and_saveexec_b64 s[12:13], s[72:73]
	s_cbranch_execz .LBB29_204
; %bb.203:                              ;   in Loop: Header=BB29_12 Depth=1
	v_accvgpr_read_b32 v10, a56
	ds_read2st64_b32 v[6:7], v10 offset1:1
	v_accvgpr_read_b32 v16, a30
	ds_read2_b32 v[4:5], v16 offset0:128 offset1:129
	v_mul_lo_u32 v1, v2, s37
	ds_read2st64_b32 v[2:3], v10 offset0:33 offset1:34
	ds_read2st64_b32 v[8:9], v10 offset0:66 offset1:67
	;; [unrolled: 1-line block ×3, first 2 shown]
	s_waitcnt lgkmcnt(4)
	v_cvt_f32_f16_sdwa v13, v6 dst_sel:DWORD dst_unused:UNUSED_PAD src0_sel:WORD_1
	v_cvt_f32_f16_e32 v12, v6
	ds_read2st64_b32 v[14:15], v16 offset0:35 offset1:68
	ds_read_b32 v16, v16 offset:25856
	s_waitcnt lgkmcnt(4)
	v_cvt_f32_f16_sdwa v19, v2 dst_sel:DWORD dst_unused:UNUSED_PAD src0_sel:WORD_1
	v_cvt_f32_f16_e32 v18, v2
	s_waitcnt lgkmcnt(3)
	v_cvt_f32_f16_sdwa v21, v8 dst_sel:DWORD dst_unused:UNUSED_PAD src0_sel:WORD_1
	v_cvt_f32_f16_e32 v20, v8
	;; [unrolled: 3-line block ×3, first 2 shown]
	v_pk_fma_f32 v[12:13], v[4:5], v[12:13], 0 op_sel_hi:[0,1,0]
	s_waitcnt lgkmcnt(1)
	v_pk_fma_f32 v[12:13], v[14:15], v[18:19], v[12:13] op_sel_hi:[0,1,1]
	v_mov_b32_e32 v2, v15
	v_pk_fma_f32 v[12:13], v[2:3], v[20:21], v[12:13] op_sel_hi:[0,1,1]
	s_waitcnt lgkmcnt(0)
	v_pk_fma_f32 v[12:13], v[16:17], v[22:23], v[12:13] op_sel_hi:[0,1,1]
	v_add_lshl_u32 v6, v1, v245, 7
	v_div_scale_f32 v1, s[72:73], v5, v5, v13
	v_rcp_f32_e32 v8, v1
	v_add_u32_e32 v18, v40, v6
	v_ashrrev_i32_e32 v19, 31, v18
	v_lshl_add_u64 v[18:19], v[18:19], 3, v[122:123]
	v_fma_f32 v10, -v1, v8, 1.0
	v_fmac_f32_e32 v8, v10, v8
	v_div_scale_f32 v10, vcc, v13, v5, v13
	v_mul_f32_e32 v15, v10, v8
	v_fma_f32 v17, -v1, v15, v10
	v_fmac_f32_e32 v15, v17, v8
	v_fma_f32 v1, -v1, v15, v10
	v_div_scale_f32 v10, s[72:73], v5, v5, v12
	v_rcp_f32_e32 v17, v10
	v_div_fmas_f32 v1, v1, v8, v15
	v_div_fixup_f32 v13, v1, v5, v13
	v_cvt_f32_f16_sdwa v21, v9 dst_sel:DWORD dst_unused:UNUSED_PAD src0_sel:WORD_1
	v_fma_f32 v1, -v10, v17, 1.0
	v_fmac_f32_e32 v17, v1, v17
	v_div_scale_f32 v1, vcc, v12, v5, v12
	v_mul_f32_e32 v8, v1, v17
	v_fma_f32 v15, -v10, v8, v1
	v_fmac_f32_e32 v8, v15, v17
	v_fma_f32 v1, -v10, v8, v1
	v_div_fmas_f32 v1, v1, v17, v8
	v_div_fixup_f32 v12, v1, v5, v12
	global_store_dwordx2 v[18:19], v[12:13], off
	v_cvt_f32_f16_sdwa v13, v7 dst_sel:DWORD dst_unused:UNUSED_PAD src0_sel:WORD_1
	v_cvt_f32_f16_e32 v12, v7
	v_cvt_f32_f16_sdwa v19, v3 dst_sel:DWORD dst_unused:UNUSED_PAD src0_sel:WORD_1
	v_cvt_f32_f16_e32 v18, v3
	v_cvt_f32_f16_e32 v20, v9
	v_cvt_f32_f16_sdwa v9, v11 dst_sel:DWORD dst_unused:UNUSED_PAD src0_sel:WORD_1
	v_cvt_f32_f16_e32 v8, v11
	v_pk_fma_f32 v[10:11], v[4:5], v[12:13], 0 op_sel_hi:[0,1,0]
	v_pk_fma_f32 v[10:11], v[14:15], v[18:19], v[10:11] op_sel_hi:[0,1,1]
	;; [unrolled: 1-line block ×4, first 2 shown]
	v_div_scale_f32 v1, s[72:73], v5, v5, v3
	v_rcp_f32_e32 v4, v1
	v_ashrrev_i32_e32 v7, 31, v6
	v_lshl_add_u64 v[6:7], v[40:41], 0, v[6:7]
	v_lshl_add_u64 v[6:7], v[6:7], 3, v[122:123]
	v_fma_f32 v8, -v1, v4, 1.0
	v_fmac_f32_e32 v4, v8, v4
	v_div_scale_f32 v8, vcc, v3, v5, v3
	v_mul_f32_e32 v9, v8, v4
	v_fma_f32 v10, -v1, v9, v8
	v_fmac_f32_e32 v9, v10, v4
	v_fma_f32 v1, -v1, v9, v8
	v_div_scale_f32 v8, s[72:73], v5, v5, v2
	v_rcp_f32_e32 v10, v8
	v_div_fmas_f32 v1, v1, v4, v9
	v_div_fixup_f32 v3, v1, v5, v3
	v_fma_f32 v1, -v8, v10, 1.0
	v_fmac_f32_e32 v10, v1, v10
	v_div_scale_f32 v1, vcc, v2, v5, v2
	v_mul_f32_e32 v4, v1, v10
	v_fma_f32 v9, -v8, v4, v1
	v_fmac_f32_e32 v4, v9, v10
	v_fma_f32 v1, -v8, v4, v1
	v_div_fmas_f32 v1, v1, v10, v4
	v_div_fixup_f32 v2, v1, v5, v2
	v_mov_b32_e32 v1, 0
	global_store_dwordx2 v[6:7], v[2:3], off offset:512
.LBB29_204:                             ;   in Loop: Header=BB29_12 Depth=1
	s_or_b64 exec, exec, s[12:13]
	v_cmp_gt_i32_e32 vcc, s92, v1
	s_mov_b64 s[12:13], -1
	s_and_saveexec_b64 s[72:73], vcc
; %bb.205:                              ;   in Loop: Header=BB29_12 Depth=1
	v_cmp_eq_u32_e32 vcc, 0, v1
	s_orn2_b64 s[12:13], vcc, exec
; %bb.206:                              ;   in Loop: Header=BB29_12 Depth=1
	s_or_b64 exec, exec, s[72:73]
	s_and_b64 exec, exec, s[12:13]
	s_cbranch_execz .LBB29_10
; %bb.207:                              ;   in Loop: Header=BB29_12 Depth=1
	v_accvgpr_read_b32 v1, a31
	v_add_u32_e32 v2, v1, v216
	v_accvgpr_read_b32 v1, a32
	v_or_b32_e32 v1, v1, v43
	v_cmp_gt_i32_e32 vcc, s36, v2
	v_cmp_gt_i32_e64 s[12:13], s3, v1
	s_and_b64 s[72:73], vcc, s[12:13]
	v_mov_b32_e32 v1, 0x47
	s_and_saveexec_b64 s[12:13], s[72:73]
	s_cbranch_execz .LBB29_209
; %bb.208:                              ;   in Loop: Header=BB29_12 Depth=1
	v_accvgpr_read_b32 v10, a57
	ds_read2st64_b32 v[6:7], v10 offset1:1
	v_accvgpr_read_b32 v16, a33
	ds_read2_b32 v[4:5], v16 offset0:128 offset1:129
	v_mul_lo_u32 v1, v2, s37
	ds_read2st64_b32 v[2:3], v10 offset0:33 offset1:34
	ds_read2st64_b32 v[8:9], v10 offset0:66 offset1:67
	;; [unrolled: 1-line block ×3, first 2 shown]
	s_waitcnt lgkmcnt(4)
	v_cvt_f32_f16_sdwa v13, v6 dst_sel:DWORD dst_unused:UNUSED_PAD src0_sel:WORD_1
	v_cvt_f32_f16_e32 v12, v6
	ds_read2st64_b32 v[14:15], v16 offset0:35 offset1:68
	ds_read_b32 v16, v16 offset:25856
	s_waitcnt lgkmcnt(4)
	v_cvt_f32_f16_sdwa v19, v2 dst_sel:DWORD dst_unused:UNUSED_PAD src0_sel:WORD_1
	v_cvt_f32_f16_e32 v18, v2
	s_waitcnt lgkmcnt(3)
	v_cvt_f32_f16_sdwa v21, v8 dst_sel:DWORD dst_unused:UNUSED_PAD src0_sel:WORD_1
	v_cvt_f32_f16_e32 v20, v8
	;; [unrolled: 3-line block ×3, first 2 shown]
	v_pk_fma_f32 v[12:13], v[4:5], v[12:13], 0 op_sel_hi:[0,1,0]
	s_waitcnt lgkmcnt(1)
	v_pk_fma_f32 v[12:13], v[14:15], v[18:19], v[12:13] op_sel_hi:[0,1,1]
	v_mov_b32_e32 v2, v15
	v_pk_fma_f32 v[12:13], v[2:3], v[20:21], v[12:13] op_sel_hi:[0,1,1]
	v_accvgpr_read_b32 v6, a32
	s_waitcnt lgkmcnt(0)
	v_pk_fma_f32 v[12:13], v[16:17], v[22:23], v[12:13] op_sel_hi:[0,1,1]
	v_add_lshl_u32 v6, v1, v6, 7
	v_div_scale_f32 v1, s[72:73], v5, v5, v13
	v_rcp_f32_e32 v8, v1
	v_add_u32_e32 v18, v40, v6
	v_ashrrev_i32_e32 v19, 31, v18
	v_lshl_add_u64 v[18:19], v[18:19], 3, v[122:123]
	v_fma_f32 v10, -v1, v8, 1.0
	v_fmac_f32_e32 v8, v10, v8
	v_div_scale_f32 v10, vcc, v13, v5, v13
	v_mul_f32_e32 v15, v10, v8
	v_fma_f32 v17, -v1, v15, v10
	v_fmac_f32_e32 v15, v17, v8
	v_fma_f32 v1, -v1, v15, v10
	v_div_scale_f32 v10, s[72:73], v5, v5, v12
	v_rcp_f32_e32 v17, v10
	v_div_fmas_f32 v1, v1, v8, v15
	v_div_fixup_f32 v13, v1, v5, v13
	v_cvt_f32_f16_sdwa v21, v9 dst_sel:DWORD dst_unused:UNUSED_PAD src0_sel:WORD_1
	v_fma_f32 v1, -v10, v17, 1.0
	v_fmac_f32_e32 v17, v1, v17
	v_div_scale_f32 v1, vcc, v12, v5, v12
	v_mul_f32_e32 v8, v1, v17
	v_fma_f32 v15, -v10, v8, v1
	v_fmac_f32_e32 v8, v15, v17
	v_fma_f32 v1, -v10, v8, v1
	v_div_fmas_f32 v1, v1, v17, v8
	v_div_fixup_f32 v12, v1, v5, v12
	global_store_dwordx2 v[18:19], v[12:13], off
	v_cvt_f32_f16_sdwa v13, v7 dst_sel:DWORD dst_unused:UNUSED_PAD src0_sel:WORD_1
	v_cvt_f32_f16_e32 v12, v7
	v_cvt_f32_f16_sdwa v19, v3 dst_sel:DWORD dst_unused:UNUSED_PAD src0_sel:WORD_1
	v_cvt_f32_f16_e32 v18, v3
	v_cvt_f32_f16_e32 v20, v9
	v_cvt_f32_f16_sdwa v9, v11 dst_sel:DWORD dst_unused:UNUSED_PAD src0_sel:WORD_1
	v_cvt_f32_f16_e32 v8, v11
	v_pk_fma_f32 v[10:11], v[4:5], v[12:13], 0 op_sel_hi:[0,1,0]
	v_pk_fma_f32 v[10:11], v[14:15], v[18:19], v[10:11] op_sel_hi:[0,1,1]
	;; [unrolled: 1-line block ×4, first 2 shown]
	v_div_scale_f32 v1, s[72:73], v5, v5, v3
	v_rcp_f32_e32 v4, v1
	v_ashrrev_i32_e32 v7, 31, v6
	v_lshl_add_u64 v[6:7], v[40:41], 0, v[6:7]
	v_lshl_add_u64 v[6:7], v[6:7], 3, v[122:123]
	v_fma_f32 v8, -v1, v4, 1.0
	v_fmac_f32_e32 v4, v8, v4
	v_div_scale_f32 v8, vcc, v3, v5, v3
	v_mul_f32_e32 v9, v8, v4
	v_fma_f32 v10, -v1, v9, v8
	v_fmac_f32_e32 v9, v10, v4
	v_fma_f32 v1, -v1, v9, v8
	v_div_scale_f32 v8, s[72:73], v5, v5, v2
	v_rcp_f32_e32 v10, v8
	v_div_fmas_f32 v1, v1, v4, v9
	v_div_fixup_f32 v3, v1, v5, v3
	v_fma_f32 v1, -v8, v10, 1.0
	v_fmac_f32_e32 v10, v1, v10
	v_div_scale_f32 v1, vcc, v2, v5, v2
	v_mul_f32_e32 v4, v1, v10
	v_fma_f32 v9, -v8, v4, v1
	v_fmac_f32_e32 v4, v9, v10
	v_fma_f32 v1, -v8, v4, v1
	v_div_fmas_f32 v1, v1, v10, v4
	v_div_fixup_f32 v2, v1, v5, v2
	v_mov_b32_e32 v1, 0
	global_store_dwordx2 v[6:7], v[2:3], off offset:512
.LBB29_209:                             ;   in Loop: Header=BB29_12 Depth=1
	s_or_b64 exec, exec, s[12:13]
	v_cmp_gt_i32_e32 vcc, s92, v1
	s_mov_b64 s[12:13], -1
	s_and_saveexec_b64 s[72:73], vcc
; %bb.210:                              ;   in Loop: Header=BB29_12 Depth=1
	v_cmp_eq_u32_e32 vcc, 0, v1
	s_orn2_b64 s[12:13], vcc, exec
; %bb.211:                              ;   in Loop: Header=BB29_12 Depth=1
	s_or_b64 exec, exec, s[72:73]
	s_and_b64 exec, exec, s[12:13]
	s_cbranch_execz .LBB29_10
; %bb.212:                              ;   in Loop: Header=BB29_12 Depth=1
	v_accvgpr_read_b32 v1, a34
	v_add_u32_e32 v2, v1, v216
	v_accvgpr_read_b32 v1, a35
	v_or_b32_e32 v1, v1, v43
	v_cmp_gt_i32_e32 vcc, s36, v2
	v_cmp_gt_i32_e64 s[12:13], s3, v1
	s_and_b64 s[72:73], vcc, s[12:13]
	v_mov_b32_e32 v1, 0x47
	s_and_saveexec_b64 s[12:13], s[72:73]
	s_cbranch_execz .LBB29_214
; %bb.213:                              ;   in Loop: Header=BB29_12 Depth=1
	v_accvgpr_read_b32 v10, a58
	ds_read2st64_b32 v[6:7], v10 offset1:1
	v_accvgpr_read_b32 v16, a36
	ds_read2_b32 v[4:5], v16 offset0:128 offset1:129
	v_mul_lo_u32 v1, v2, s37
	ds_read2st64_b32 v[2:3], v10 offset0:33 offset1:34
	ds_read2st64_b32 v[8:9], v10 offset0:66 offset1:67
	;; [unrolled: 1-line block ×3, first 2 shown]
	s_waitcnt lgkmcnt(4)
	v_cvt_f32_f16_sdwa v13, v6 dst_sel:DWORD dst_unused:UNUSED_PAD src0_sel:WORD_1
	v_cvt_f32_f16_e32 v12, v6
	ds_read2st64_b32 v[14:15], v16 offset0:35 offset1:68
	ds_read_b32 v16, v16 offset:25856
	s_waitcnt lgkmcnt(4)
	v_cvt_f32_f16_sdwa v19, v2 dst_sel:DWORD dst_unused:UNUSED_PAD src0_sel:WORD_1
	v_cvt_f32_f16_e32 v18, v2
	s_waitcnt lgkmcnt(3)
	v_cvt_f32_f16_sdwa v21, v8 dst_sel:DWORD dst_unused:UNUSED_PAD src0_sel:WORD_1
	v_cvt_f32_f16_e32 v20, v8
	;; [unrolled: 3-line block ×3, first 2 shown]
	v_pk_fma_f32 v[12:13], v[4:5], v[12:13], 0 op_sel_hi:[0,1,0]
	s_waitcnt lgkmcnt(1)
	v_pk_fma_f32 v[12:13], v[14:15], v[18:19], v[12:13] op_sel_hi:[0,1,1]
	v_mov_b32_e32 v2, v15
	v_pk_fma_f32 v[12:13], v[2:3], v[20:21], v[12:13] op_sel_hi:[0,1,1]
	v_accvgpr_read_b32 v6, a35
	s_waitcnt lgkmcnt(0)
	v_pk_fma_f32 v[12:13], v[16:17], v[22:23], v[12:13] op_sel_hi:[0,1,1]
	v_add_lshl_u32 v6, v1, v6, 7
	v_div_scale_f32 v1, s[72:73], v5, v5, v13
	v_rcp_f32_e32 v8, v1
	v_add_u32_e32 v18, v40, v6
	v_ashrrev_i32_e32 v19, 31, v18
	v_lshl_add_u64 v[18:19], v[18:19], 3, v[122:123]
	v_fma_f32 v10, -v1, v8, 1.0
	v_fmac_f32_e32 v8, v10, v8
	v_div_scale_f32 v10, vcc, v13, v5, v13
	v_mul_f32_e32 v15, v10, v8
	v_fma_f32 v17, -v1, v15, v10
	v_fmac_f32_e32 v15, v17, v8
	v_fma_f32 v1, -v1, v15, v10
	v_div_scale_f32 v10, s[72:73], v5, v5, v12
	v_rcp_f32_e32 v17, v10
	v_div_fmas_f32 v1, v1, v8, v15
	v_div_fixup_f32 v13, v1, v5, v13
	v_cvt_f32_f16_sdwa v21, v9 dst_sel:DWORD dst_unused:UNUSED_PAD src0_sel:WORD_1
	v_fma_f32 v1, -v10, v17, 1.0
	v_fmac_f32_e32 v17, v1, v17
	v_div_scale_f32 v1, vcc, v12, v5, v12
	v_mul_f32_e32 v8, v1, v17
	v_fma_f32 v15, -v10, v8, v1
	v_fmac_f32_e32 v8, v15, v17
	v_fma_f32 v1, -v10, v8, v1
	v_div_fmas_f32 v1, v1, v17, v8
	v_div_fixup_f32 v12, v1, v5, v12
	global_store_dwordx2 v[18:19], v[12:13], off
	v_cvt_f32_f16_sdwa v13, v7 dst_sel:DWORD dst_unused:UNUSED_PAD src0_sel:WORD_1
	v_cvt_f32_f16_e32 v12, v7
	v_cvt_f32_f16_sdwa v19, v3 dst_sel:DWORD dst_unused:UNUSED_PAD src0_sel:WORD_1
	v_cvt_f32_f16_e32 v18, v3
	v_cvt_f32_f16_e32 v20, v9
	v_cvt_f32_f16_sdwa v9, v11 dst_sel:DWORD dst_unused:UNUSED_PAD src0_sel:WORD_1
	v_cvt_f32_f16_e32 v8, v11
	v_pk_fma_f32 v[10:11], v[4:5], v[12:13], 0 op_sel_hi:[0,1,0]
	v_pk_fma_f32 v[10:11], v[14:15], v[18:19], v[10:11] op_sel_hi:[0,1,1]
	;; [unrolled: 1-line block ×4, first 2 shown]
	v_div_scale_f32 v1, s[72:73], v5, v5, v3
	v_rcp_f32_e32 v4, v1
	v_ashrrev_i32_e32 v7, 31, v6
	v_lshl_add_u64 v[6:7], v[40:41], 0, v[6:7]
	v_lshl_add_u64 v[6:7], v[6:7], 3, v[122:123]
	v_fma_f32 v8, -v1, v4, 1.0
	v_fmac_f32_e32 v4, v8, v4
	v_div_scale_f32 v8, vcc, v3, v5, v3
	v_mul_f32_e32 v9, v8, v4
	v_fma_f32 v10, -v1, v9, v8
	v_fmac_f32_e32 v9, v10, v4
	v_fma_f32 v1, -v1, v9, v8
	v_div_scale_f32 v8, s[72:73], v5, v5, v2
	v_rcp_f32_e32 v10, v8
	v_div_fmas_f32 v1, v1, v4, v9
	v_div_fixup_f32 v3, v1, v5, v3
	v_fma_f32 v1, -v8, v10, 1.0
	v_fmac_f32_e32 v10, v1, v10
	v_div_scale_f32 v1, vcc, v2, v5, v2
	v_mul_f32_e32 v4, v1, v10
	v_fma_f32 v9, -v8, v4, v1
	v_fmac_f32_e32 v4, v9, v10
	v_fma_f32 v1, -v8, v4, v1
	v_div_fmas_f32 v1, v1, v10, v4
	v_div_fixup_f32 v2, v1, v5, v2
	v_mov_b32_e32 v1, 0
	global_store_dwordx2 v[6:7], v[2:3], off offset:512
.LBB29_214:                             ;   in Loop: Header=BB29_12 Depth=1
	s_or_b64 exec, exec, s[12:13]
	v_cmp_gt_i32_e32 vcc, s92, v1
	s_mov_b64 s[12:13], -1
	s_and_saveexec_b64 s[72:73], vcc
; %bb.215:                              ;   in Loop: Header=BB29_12 Depth=1
	v_cmp_eq_u32_e32 vcc, 0, v1
	s_orn2_b64 s[12:13], vcc, exec
; %bb.216:                              ;   in Loop: Header=BB29_12 Depth=1
	s_or_b64 exec, exec, s[72:73]
	s_and_b64 exec, exec, s[12:13]
	s_cbranch_execz .LBB29_10
; %bb.217:                              ;   in Loop: Header=BB29_12 Depth=1
	v_accvgpr_read_b32 v1, a37
	v_add_u32_e32 v2, v1, v216
	v_accvgpr_read_b32 v1, a38
	v_or_b32_e32 v1, v1, v43
	v_cmp_gt_i32_e32 vcc, s36, v2
	v_cmp_gt_i32_e64 s[12:13], s3, v1
	s_and_b64 s[72:73], vcc, s[12:13]
	v_mov_b32_e32 v1, 0x47
	s_and_saveexec_b64 s[12:13], s[72:73]
	s_cbranch_execz .LBB29_219
; %bb.218:                              ;   in Loop: Header=BB29_12 Depth=1
	v_accvgpr_read_b32 v10, a59
	ds_read2st64_b32 v[6:7], v10 offset1:1
	v_accvgpr_read_b32 v16, a39
	ds_read2_b32 v[4:5], v16 offset0:128 offset1:129
	v_mul_lo_u32 v1, v2, s37
	ds_read2st64_b32 v[2:3], v10 offset0:33 offset1:34
	ds_read2st64_b32 v[8:9], v10 offset0:66 offset1:67
	;; [unrolled: 1-line block ×3, first 2 shown]
	s_waitcnt lgkmcnt(4)
	v_cvt_f32_f16_sdwa v13, v6 dst_sel:DWORD dst_unused:UNUSED_PAD src0_sel:WORD_1
	v_cvt_f32_f16_e32 v12, v6
	ds_read2st64_b32 v[14:15], v16 offset0:35 offset1:68
	ds_read_b32 v16, v16 offset:25856
	s_waitcnt lgkmcnt(4)
	v_cvt_f32_f16_sdwa v19, v2 dst_sel:DWORD dst_unused:UNUSED_PAD src0_sel:WORD_1
	v_cvt_f32_f16_e32 v18, v2
	s_waitcnt lgkmcnt(3)
	v_cvt_f32_f16_sdwa v21, v8 dst_sel:DWORD dst_unused:UNUSED_PAD src0_sel:WORD_1
	v_cvt_f32_f16_e32 v20, v8
	s_waitcnt lgkmcnt(2)
	v_cvt_f32_f16_sdwa v23, v10 dst_sel:DWORD dst_unused:UNUSED_PAD src0_sel:WORD_1
	v_cvt_f32_f16_e32 v22, v10
	v_pk_fma_f32 v[12:13], v[4:5], v[12:13], 0 op_sel_hi:[0,1,0]
	s_waitcnt lgkmcnt(1)
	v_pk_fma_f32 v[12:13], v[14:15], v[18:19], v[12:13] op_sel_hi:[0,1,1]
	v_mov_b32_e32 v2, v15
	v_pk_fma_f32 v[12:13], v[2:3], v[20:21], v[12:13] op_sel_hi:[0,1,1]
	v_accvgpr_read_b32 v6, a38
	s_waitcnt lgkmcnt(0)
	v_pk_fma_f32 v[12:13], v[16:17], v[22:23], v[12:13] op_sel_hi:[0,1,1]
	v_add_lshl_u32 v6, v1, v6, 7
	v_div_scale_f32 v1, s[72:73], v5, v5, v13
	v_rcp_f32_e32 v8, v1
	v_add_u32_e32 v18, v40, v6
	v_ashrrev_i32_e32 v19, 31, v18
	v_lshl_add_u64 v[18:19], v[18:19], 3, v[122:123]
	v_fma_f32 v10, -v1, v8, 1.0
	v_fmac_f32_e32 v8, v10, v8
	v_div_scale_f32 v10, vcc, v13, v5, v13
	v_mul_f32_e32 v15, v10, v8
	v_fma_f32 v17, -v1, v15, v10
	v_fmac_f32_e32 v15, v17, v8
	v_fma_f32 v1, -v1, v15, v10
	v_div_scale_f32 v10, s[72:73], v5, v5, v12
	v_rcp_f32_e32 v17, v10
	v_div_fmas_f32 v1, v1, v8, v15
	v_div_fixup_f32 v13, v1, v5, v13
	v_cvt_f32_f16_sdwa v21, v9 dst_sel:DWORD dst_unused:UNUSED_PAD src0_sel:WORD_1
	v_fma_f32 v1, -v10, v17, 1.0
	v_fmac_f32_e32 v17, v1, v17
	v_div_scale_f32 v1, vcc, v12, v5, v12
	v_mul_f32_e32 v8, v1, v17
	v_fma_f32 v15, -v10, v8, v1
	v_fmac_f32_e32 v8, v15, v17
	v_fma_f32 v1, -v10, v8, v1
	v_div_fmas_f32 v1, v1, v17, v8
	v_div_fixup_f32 v12, v1, v5, v12
	global_store_dwordx2 v[18:19], v[12:13], off
	v_cvt_f32_f16_sdwa v13, v7 dst_sel:DWORD dst_unused:UNUSED_PAD src0_sel:WORD_1
	v_cvt_f32_f16_e32 v12, v7
	v_cvt_f32_f16_sdwa v19, v3 dst_sel:DWORD dst_unused:UNUSED_PAD src0_sel:WORD_1
	v_cvt_f32_f16_e32 v18, v3
	v_cvt_f32_f16_e32 v20, v9
	v_cvt_f32_f16_sdwa v9, v11 dst_sel:DWORD dst_unused:UNUSED_PAD src0_sel:WORD_1
	v_cvt_f32_f16_e32 v8, v11
	v_pk_fma_f32 v[10:11], v[4:5], v[12:13], 0 op_sel_hi:[0,1,0]
	v_pk_fma_f32 v[10:11], v[14:15], v[18:19], v[10:11] op_sel_hi:[0,1,1]
	;; [unrolled: 1-line block ×4, first 2 shown]
	v_div_scale_f32 v1, s[72:73], v5, v5, v3
	v_rcp_f32_e32 v4, v1
	v_ashrrev_i32_e32 v7, 31, v6
	v_lshl_add_u64 v[6:7], v[40:41], 0, v[6:7]
	v_lshl_add_u64 v[6:7], v[6:7], 3, v[122:123]
	v_fma_f32 v8, -v1, v4, 1.0
	v_fmac_f32_e32 v4, v8, v4
	v_div_scale_f32 v8, vcc, v3, v5, v3
	v_mul_f32_e32 v9, v8, v4
	v_fma_f32 v10, -v1, v9, v8
	v_fmac_f32_e32 v9, v10, v4
	v_fma_f32 v1, -v1, v9, v8
	v_div_scale_f32 v8, s[72:73], v5, v5, v2
	v_rcp_f32_e32 v10, v8
	v_div_fmas_f32 v1, v1, v4, v9
	v_div_fixup_f32 v3, v1, v5, v3
	v_fma_f32 v1, -v8, v10, 1.0
	v_fmac_f32_e32 v10, v1, v10
	v_div_scale_f32 v1, vcc, v2, v5, v2
	v_mul_f32_e32 v4, v1, v10
	v_fma_f32 v9, -v8, v4, v1
	v_fmac_f32_e32 v4, v9, v10
	v_fma_f32 v1, -v8, v4, v1
	v_div_fmas_f32 v1, v1, v10, v4
	v_div_fixup_f32 v2, v1, v5, v2
	v_mov_b32_e32 v1, 0
	global_store_dwordx2 v[6:7], v[2:3], off offset:512
.LBB29_219:                             ;   in Loop: Header=BB29_12 Depth=1
	s_or_b64 exec, exec, s[12:13]
	v_cmp_gt_i32_e32 vcc, s92, v1
	s_mov_b64 s[12:13], -1
	s_and_saveexec_b64 s[72:73], vcc
; %bb.220:                              ;   in Loop: Header=BB29_12 Depth=1
	v_cmp_eq_u32_e32 vcc, 0, v1
	s_orn2_b64 s[12:13], vcc, exec
; %bb.221:                              ;   in Loop: Header=BB29_12 Depth=1
	s_or_b64 exec, exec, s[72:73]
	s_and_b64 exec, exec, s[12:13]
	s_cbranch_execz .LBB29_10
; %bb.222:                              ;   in Loop: Header=BB29_12 Depth=1
	v_accvgpr_read_b32 v1, a40
	v_add_u32_e32 v2, v1, v216
	v_cmp_gt_i32_e32 vcc, s36, v2
	s_and_b64 s[12:13], vcc, s[8:9]
	v_mov_b32_e32 v1, 0x47
	s_and_saveexec_b64 s[8:9], s[12:13]
	s_cbranch_execz .LBB29_224
; %bb.223:                              ;   in Loop: Header=BB29_12 Depth=1
	v_accvgpr_read_b32 v10, a60
	ds_read2st64_b32 v[6:7], v10 offset1:1
	v_accvgpr_read_b32 v16, a41
	ds_read2_b32 v[4:5], v16 offset0:128 offset1:129
	v_mul_lo_u32 v1, v2, s37
	ds_read2st64_b32 v[2:3], v10 offset0:33 offset1:34
	ds_read2st64_b32 v[8:9], v10 offset0:66 offset1:67
	;; [unrolled: 1-line block ×3, first 2 shown]
	s_waitcnt lgkmcnt(4)
	v_cvt_f32_f16_sdwa v13, v6 dst_sel:DWORD dst_unused:UNUSED_PAD src0_sel:WORD_1
	v_cvt_f32_f16_e32 v12, v6
	ds_read2st64_b32 v[14:15], v16 offset0:35 offset1:68
	ds_read_b32 v16, v16 offset:25856
	s_waitcnt lgkmcnt(4)
	v_cvt_f32_f16_sdwa v19, v2 dst_sel:DWORD dst_unused:UNUSED_PAD src0_sel:WORD_1
	v_cvt_f32_f16_e32 v18, v2
	s_waitcnt lgkmcnt(3)
	v_cvt_f32_f16_sdwa v21, v8 dst_sel:DWORD dst_unused:UNUSED_PAD src0_sel:WORD_1
	v_cvt_f32_f16_e32 v20, v8
	;; [unrolled: 3-line block ×3, first 2 shown]
	v_pk_fma_f32 v[12:13], v[4:5], v[12:13], 0 op_sel_hi:[0,1,0]
	s_waitcnt lgkmcnt(1)
	v_pk_fma_f32 v[12:13], v[14:15], v[18:19], v[12:13] op_sel_hi:[0,1,1]
	v_mov_b32_e32 v2, v15
	v_pk_fma_f32 v[12:13], v[2:3], v[20:21], v[12:13] op_sel_hi:[0,1,1]
	s_waitcnt lgkmcnt(0)
	v_pk_fma_f32 v[12:13], v[16:17], v[22:23], v[12:13] op_sel_hi:[0,1,1]
	v_add_lshl_u32 v6, v1, v245, 7
	v_div_scale_f32 v1, s[12:13], v5, v5, v13
	v_rcp_f32_e32 v8, v1
	v_add_u32_e32 v18, v40, v6
	v_ashrrev_i32_e32 v19, 31, v18
	v_lshl_add_u64 v[18:19], v[18:19], 3, v[122:123]
	v_fma_f32 v10, -v1, v8, 1.0
	v_fmac_f32_e32 v8, v10, v8
	v_div_scale_f32 v10, vcc, v13, v5, v13
	v_mul_f32_e32 v15, v10, v8
	v_fma_f32 v17, -v1, v15, v10
	v_fmac_f32_e32 v15, v17, v8
	v_fma_f32 v1, -v1, v15, v10
	v_div_scale_f32 v10, s[12:13], v5, v5, v12
	v_rcp_f32_e32 v17, v10
	v_div_fmas_f32 v1, v1, v8, v15
	v_div_fixup_f32 v13, v1, v5, v13
	v_cvt_f32_f16_sdwa v21, v9 dst_sel:DWORD dst_unused:UNUSED_PAD src0_sel:WORD_1
	v_fma_f32 v1, -v10, v17, 1.0
	v_fmac_f32_e32 v17, v1, v17
	v_div_scale_f32 v1, vcc, v12, v5, v12
	v_mul_f32_e32 v8, v1, v17
	v_fma_f32 v15, -v10, v8, v1
	v_fmac_f32_e32 v8, v15, v17
	v_fma_f32 v1, -v10, v8, v1
	v_div_fmas_f32 v1, v1, v17, v8
	v_div_fixup_f32 v12, v1, v5, v12
	global_store_dwordx2 v[18:19], v[12:13], off
	v_cvt_f32_f16_sdwa v13, v7 dst_sel:DWORD dst_unused:UNUSED_PAD src0_sel:WORD_1
	v_cvt_f32_f16_e32 v12, v7
	v_cvt_f32_f16_sdwa v19, v3 dst_sel:DWORD dst_unused:UNUSED_PAD src0_sel:WORD_1
	v_cvt_f32_f16_e32 v18, v3
	v_cvt_f32_f16_e32 v20, v9
	v_cvt_f32_f16_sdwa v9, v11 dst_sel:DWORD dst_unused:UNUSED_PAD src0_sel:WORD_1
	v_cvt_f32_f16_e32 v8, v11
	v_pk_fma_f32 v[10:11], v[4:5], v[12:13], 0 op_sel_hi:[0,1,0]
	v_pk_fma_f32 v[10:11], v[14:15], v[18:19], v[10:11] op_sel_hi:[0,1,1]
	;; [unrolled: 1-line block ×4, first 2 shown]
	v_div_scale_f32 v1, s[12:13], v5, v5, v3
	v_rcp_f32_e32 v4, v1
	v_ashrrev_i32_e32 v7, 31, v6
	v_lshl_add_u64 v[6:7], v[40:41], 0, v[6:7]
	v_lshl_add_u64 v[6:7], v[6:7], 3, v[122:123]
	v_fma_f32 v8, -v1, v4, 1.0
	v_fmac_f32_e32 v4, v8, v4
	v_div_scale_f32 v8, vcc, v3, v5, v3
	v_mul_f32_e32 v9, v8, v4
	v_fma_f32 v10, -v1, v9, v8
	v_fmac_f32_e32 v9, v10, v4
	v_fma_f32 v1, -v1, v9, v8
	v_div_scale_f32 v8, s[12:13], v5, v5, v2
	v_rcp_f32_e32 v10, v8
	v_div_fmas_f32 v1, v1, v4, v9
	v_div_fixup_f32 v3, v1, v5, v3
	v_fma_f32 v1, -v8, v10, 1.0
	v_fmac_f32_e32 v10, v1, v10
	v_div_scale_f32 v1, vcc, v2, v5, v2
	v_mul_f32_e32 v4, v1, v10
	v_fma_f32 v9, -v8, v4, v1
	v_fmac_f32_e32 v4, v9, v10
	v_fma_f32 v1, -v8, v4, v1
	v_div_fmas_f32 v1, v1, v10, v4
	v_div_fixup_f32 v2, v1, v5, v2
	v_mov_b32_e32 v1, 0
	global_store_dwordx2 v[6:7], v[2:3], off offset:512
.LBB29_224:                             ;   in Loop: Header=BB29_12 Depth=1
	s_or_b64 exec, exec, s[8:9]
	v_cmp_gt_i32_e32 vcc, s92, v1
	s_mov_b64 s[8:9], -1
	s_and_saveexec_b64 s[12:13], vcc
; %bb.225:                              ;   in Loop: Header=BB29_12 Depth=1
	v_cmp_eq_u32_e32 vcc, 0, v1
	s_orn2_b64 s[8:9], vcc, exec
; %bb.226:                              ;   in Loop: Header=BB29_12 Depth=1
	s_or_b64 exec, exec, s[12:13]
	s_and_b64 exec, exec, s[8:9]
	s_cbranch_execz .LBB29_10
; %bb.227:                              ;   in Loop: Header=BB29_12 Depth=1
	v_accvgpr_read_b32 v1, a42
	v_add_u32_e32 v2, v1, v216
	v_accvgpr_read_b32 v1, a43
	v_or_b32_e32 v1, v1, v43
	v_cmp_gt_i32_e32 vcc, s36, v2
	v_cmp_gt_i32_e64 s[8:9], s3, v1
	s_and_b64 s[12:13], vcc, s[8:9]
	v_mov_b32_e32 v1, 0x47
	s_and_saveexec_b64 s[8:9], s[12:13]
	s_cbranch_execz .LBB29_229
; %bb.228:                              ;   in Loop: Header=BB29_12 Depth=1
	v_accvgpr_read_b32 v10, a61
	ds_read2st64_b32 v[6:7], v10 offset1:1
	v_accvgpr_read_b32 v16, a44
	ds_read2_b32 v[4:5], v16 offset0:128 offset1:129
	v_mul_lo_u32 v1, v2, s37
	ds_read2st64_b32 v[2:3], v10 offset0:33 offset1:34
	ds_read2st64_b32 v[8:9], v10 offset0:66 offset1:67
	;; [unrolled: 1-line block ×3, first 2 shown]
	s_waitcnt lgkmcnt(4)
	v_cvt_f32_f16_sdwa v13, v6 dst_sel:DWORD dst_unused:UNUSED_PAD src0_sel:WORD_1
	v_cvt_f32_f16_e32 v12, v6
	ds_read2st64_b32 v[14:15], v16 offset0:35 offset1:68
	ds_read_b32 v16, v16 offset:25856
	s_waitcnt lgkmcnt(4)
	v_cvt_f32_f16_sdwa v19, v2 dst_sel:DWORD dst_unused:UNUSED_PAD src0_sel:WORD_1
	v_cvt_f32_f16_e32 v18, v2
	s_waitcnt lgkmcnt(3)
	v_cvt_f32_f16_sdwa v21, v8 dst_sel:DWORD dst_unused:UNUSED_PAD src0_sel:WORD_1
	v_cvt_f32_f16_e32 v20, v8
	;; [unrolled: 3-line block ×3, first 2 shown]
	v_pk_fma_f32 v[12:13], v[4:5], v[12:13], 0 op_sel_hi:[0,1,0]
	s_waitcnt lgkmcnt(1)
	v_pk_fma_f32 v[12:13], v[14:15], v[18:19], v[12:13] op_sel_hi:[0,1,1]
	v_mov_b32_e32 v2, v15
	v_pk_fma_f32 v[12:13], v[2:3], v[20:21], v[12:13] op_sel_hi:[0,1,1]
	v_accvgpr_read_b32 v6, a43
	s_waitcnt lgkmcnt(0)
	v_pk_fma_f32 v[12:13], v[16:17], v[22:23], v[12:13] op_sel_hi:[0,1,1]
	v_add_lshl_u32 v6, v1, v6, 7
	v_div_scale_f32 v1, s[12:13], v5, v5, v13
	v_rcp_f32_e32 v8, v1
	v_add_u32_e32 v18, v40, v6
	v_ashrrev_i32_e32 v19, 31, v18
	v_lshl_add_u64 v[18:19], v[18:19], 3, v[122:123]
	v_fma_f32 v10, -v1, v8, 1.0
	v_fmac_f32_e32 v8, v10, v8
	v_div_scale_f32 v10, vcc, v13, v5, v13
	v_mul_f32_e32 v15, v10, v8
	v_fma_f32 v17, -v1, v15, v10
	v_fmac_f32_e32 v15, v17, v8
	v_fma_f32 v1, -v1, v15, v10
	v_div_scale_f32 v10, s[12:13], v5, v5, v12
	v_rcp_f32_e32 v17, v10
	v_div_fmas_f32 v1, v1, v8, v15
	v_div_fixup_f32 v13, v1, v5, v13
	v_cvt_f32_f16_sdwa v21, v9 dst_sel:DWORD dst_unused:UNUSED_PAD src0_sel:WORD_1
	v_fma_f32 v1, -v10, v17, 1.0
	v_fmac_f32_e32 v17, v1, v17
	v_div_scale_f32 v1, vcc, v12, v5, v12
	v_mul_f32_e32 v8, v1, v17
	v_fma_f32 v15, -v10, v8, v1
	v_fmac_f32_e32 v8, v15, v17
	v_fma_f32 v1, -v10, v8, v1
	v_div_fmas_f32 v1, v1, v17, v8
	v_div_fixup_f32 v12, v1, v5, v12
	global_store_dwordx2 v[18:19], v[12:13], off
	v_cvt_f32_f16_sdwa v13, v7 dst_sel:DWORD dst_unused:UNUSED_PAD src0_sel:WORD_1
	v_cvt_f32_f16_e32 v12, v7
	v_cvt_f32_f16_sdwa v19, v3 dst_sel:DWORD dst_unused:UNUSED_PAD src0_sel:WORD_1
	v_cvt_f32_f16_e32 v18, v3
	v_cvt_f32_f16_e32 v20, v9
	v_cvt_f32_f16_sdwa v9, v11 dst_sel:DWORD dst_unused:UNUSED_PAD src0_sel:WORD_1
	v_cvt_f32_f16_e32 v8, v11
	v_pk_fma_f32 v[10:11], v[4:5], v[12:13], 0 op_sel_hi:[0,1,0]
	v_pk_fma_f32 v[10:11], v[14:15], v[18:19], v[10:11] op_sel_hi:[0,1,1]
	;; [unrolled: 1-line block ×4, first 2 shown]
	v_div_scale_f32 v1, s[12:13], v5, v5, v3
	v_rcp_f32_e32 v4, v1
	v_ashrrev_i32_e32 v7, 31, v6
	v_lshl_add_u64 v[6:7], v[40:41], 0, v[6:7]
	v_lshl_add_u64 v[6:7], v[6:7], 3, v[122:123]
	v_fma_f32 v8, -v1, v4, 1.0
	v_fmac_f32_e32 v4, v8, v4
	v_div_scale_f32 v8, vcc, v3, v5, v3
	v_mul_f32_e32 v9, v8, v4
	v_fma_f32 v10, -v1, v9, v8
	v_fmac_f32_e32 v9, v10, v4
	v_fma_f32 v1, -v1, v9, v8
	v_div_scale_f32 v8, s[12:13], v5, v5, v2
	v_rcp_f32_e32 v10, v8
	v_div_fmas_f32 v1, v1, v4, v9
	v_div_fixup_f32 v3, v1, v5, v3
	v_fma_f32 v1, -v8, v10, 1.0
	v_fmac_f32_e32 v10, v1, v10
	v_div_scale_f32 v1, vcc, v2, v5, v2
	v_mul_f32_e32 v4, v1, v10
	v_fma_f32 v9, -v8, v4, v1
	v_fmac_f32_e32 v4, v9, v10
	v_fma_f32 v1, -v8, v4, v1
	v_div_fmas_f32 v1, v1, v10, v4
	v_div_fixup_f32 v2, v1, v5, v2
	v_mov_b32_e32 v1, 0
	global_store_dwordx2 v[6:7], v[2:3], off offset:512
.LBB29_229:                             ;   in Loop: Header=BB29_12 Depth=1
	s_or_b64 exec, exec, s[8:9]
	v_cmp_gt_i32_e32 vcc, s92, v1
	s_mov_b64 s[8:9], -1
	s_and_saveexec_b64 s[12:13], vcc
; %bb.230:                              ;   in Loop: Header=BB29_12 Depth=1
	v_cmp_eq_u32_e32 vcc, 0, v1
	s_orn2_b64 s[8:9], vcc, exec
; %bb.231:                              ;   in Loop: Header=BB29_12 Depth=1
	s_or_b64 exec, exec, s[12:13]
	s_and_b64 exec, exec, s[8:9]
	s_cbranch_execz .LBB29_10
; %bb.232:                              ;   in Loop: Header=BB29_12 Depth=1
	v_accvgpr_read_b32 v1, a45
	v_add_u32_e32 v2, v1, v216
	v_accvgpr_read_b32 v1, a46
	v_or_b32_e32 v1, v1, v43
	v_cmp_gt_i32_e32 vcc, s36, v2
	v_cmp_gt_i32_e64 s[8:9], s3, v1
	s_and_b64 s[12:13], vcc, s[8:9]
	v_mov_b32_e32 v1, 0x47
	s_and_saveexec_b64 s[8:9], s[12:13]
	s_cbranch_execz .LBB29_234
; %bb.233:                              ;   in Loop: Header=BB29_12 Depth=1
	v_accvgpr_read_b32 v10, a62
	ds_read2st64_b32 v[6:7], v10 offset1:1
	v_accvgpr_read_b32 v16, a47
	ds_read2_b32 v[4:5], v16 offset0:128 offset1:129
	v_mul_lo_u32 v1, v2, s37
	ds_read2st64_b32 v[2:3], v10 offset0:33 offset1:34
	ds_read2st64_b32 v[8:9], v10 offset0:66 offset1:67
	;; [unrolled: 1-line block ×3, first 2 shown]
	s_waitcnt lgkmcnt(4)
	v_cvt_f32_f16_sdwa v13, v6 dst_sel:DWORD dst_unused:UNUSED_PAD src0_sel:WORD_1
	v_cvt_f32_f16_e32 v12, v6
	ds_read2st64_b32 v[14:15], v16 offset0:35 offset1:68
	ds_read_b32 v16, v16 offset:25856
	s_waitcnt lgkmcnt(4)
	v_cvt_f32_f16_sdwa v19, v2 dst_sel:DWORD dst_unused:UNUSED_PAD src0_sel:WORD_1
	v_cvt_f32_f16_e32 v18, v2
	s_waitcnt lgkmcnt(3)
	v_cvt_f32_f16_sdwa v21, v8 dst_sel:DWORD dst_unused:UNUSED_PAD src0_sel:WORD_1
	v_cvt_f32_f16_e32 v20, v8
	;; [unrolled: 3-line block ×3, first 2 shown]
	v_pk_fma_f32 v[12:13], v[4:5], v[12:13], 0 op_sel_hi:[0,1,0]
	s_waitcnt lgkmcnt(1)
	v_pk_fma_f32 v[12:13], v[14:15], v[18:19], v[12:13] op_sel_hi:[0,1,1]
	v_mov_b32_e32 v2, v15
	v_pk_fma_f32 v[12:13], v[2:3], v[20:21], v[12:13] op_sel_hi:[0,1,1]
	v_accvgpr_read_b32 v6, a46
	s_waitcnt lgkmcnt(0)
	v_pk_fma_f32 v[12:13], v[16:17], v[22:23], v[12:13] op_sel_hi:[0,1,1]
	v_add_lshl_u32 v6, v1, v6, 7
	v_div_scale_f32 v1, s[12:13], v5, v5, v13
	v_rcp_f32_e32 v8, v1
	v_add_u32_e32 v18, v40, v6
	v_ashrrev_i32_e32 v19, 31, v18
	v_lshl_add_u64 v[18:19], v[18:19], 3, v[122:123]
	v_fma_f32 v10, -v1, v8, 1.0
	v_fmac_f32_e32 v8, v10, v8
	v_div_scale_f32 v10, vcc, v13, v5, v13
	v_mul_f32_e32 v15, v10, v8
	v_fma_f32 v17, -v1, v15, v10
	v_fmac_f32_e32 v15, v17, v8
	v_fma_f32 v1, -v1, v15, v10
	v_div_scale_f32 v10, s[12:13], v5, v5, v12
	v_rcp_f32_e32 v17, v10
	v_div_fmas_f32 v1, v1, v8, v15
	v_div_fixup_f32 v13, v1, v5, v13
	v_cvt_f32_f16_sdwa v21, v9 dst_sel:DWORD dst_unused:UNUSED_PAD src0_sel:WORD_1
	v_fma_f32 v1, -v10, v17, 1.0
	v_fmac_f32_e32 v17, v1, v17
	v_div_scale_f32 v1, vcc, v12, v5, v12
	v_mul_f32_e32 v8, v1, v17
	v_fma_f32 v15, -v10, v8, v1
	v_fmac_f32_e32 v8, v15, v17
	v_fma_f32 v1, -v10, v8, v1
	v_div_fmas_f32 v1, v1, v17, v8
	v_div_fixup_f32 v12, v1, v5, v12
	global_store_dwordx2 v[18:19], v[12:13], off
	v_cvt_f32_f16_sdwa v13, v7 dst_sel:DWORD dst_unused:UNUSED_PAD src0_sel:WORD_1
	v_cvt_f32_f16_e32 v12, v7
	v_cvt_f32_f16_sdwa v19, v3 dst_sel:DWORD dst_unused:UNUSED_PAD src0_sel:WORD_1
	v_cvt_f32_f16_e32 v18, v3
	v_cvt_f32_f16_e32 v20, v9
	v_cvt_f32_f16_sdwa v9, v11 dst_sel:DWORD dst_unused:UNUSED_PAD src0_sel:WORD_1
	v_cvt_f32_f16_e32 v8, v11
	v_pk_fma_f32 v[10:11], v[4:5], v[12:13], 0 op_sel_hi:[0,1,0]
	v_pk_fma_f32 v[10:11], v[14:15], v[18:19], v[10:11] op_sel_hi:[0,1,1]
	;; [unrolled: 1-line block ×4, first 2 shown]
	v_div_scale_f32 v1, s[12:13], v5, v5, v3
	v_rcp_f32_e32 v4, v1
	v_ashrrev_i32_e32 v7, 31, v6
	v_lshl_add_u64 v[6:7], v[40:41], 0, v[6:7]
	v_lshl_add_u64 v[6:7], v[6:7], 3, v[122:123]
	v_fma_f32 v8, -v1, v4, 1.0
	v_fmac_f32_e32 v4, v8, v4
	v_div_scale_f32 v8, vcc, v3, v5, v3
	v_mul_f32_e32 v9, v8, v4
	v_fma_f32 v10, -v1, v9, v8
	v_fmac_f32_e32 v9, v10, v4
	v_fma_f32 v1, -v1, v9, v8
	v_div_scale_f32 v8, s[12:13], v5, v5, v2
	v_rcp_f32_e32 v10, v8
	v_div_fmas_f32 v1, v1, v4, v9
	v_div_fixup_f32 v3, v1, v5, v3
	v_fma_f32 v1, -v8, v10, 1.0
	v_fmac_f32_e32 v10, v1, v10
	v_div_scale_f32 v1, vcc, v2, v5, v2
	v_mul_f32_e32 v4, v1, v10
	v_fma_f32 v9, -v8, v4, v1
	v_fmac_f32_e32 v4, v9, v10
	v_fma_f32 v1, -v8, v4, v1
	v_div_fmas_f32 v1, v1, v10, v4
	v_div_fixup_f32 v2, v1, v5, v2
	v_mov_b32_e32 v1, 0
	global_store_dwordx2 v[6:7], v[2:3], off offset:512
.LBB29_234:                             ;   in Loop: Header=BB29_12 Depth=1
	s_or_b64 exec, exec, s[8:9]
	v_cmp_gt_i32_e32 vcc, s92, v1
	s_mov_b64 s[8:9], -1
	s_and_saveexec_b64 s[12:13], vcc
; %bb.235:                              ;   in Loop: Header=BB29_12 Depth=1
	v_cmp_eq_u32_e32 vcc, 0, v1
	s_orn2_b64 s[8:9], vcc, exec
; %bb.236:                              ;   in Loop: Header=BB29_12 Depth=1
	s_or_b64 exec, exec, s[12:13]
	s_and_b64 exec, exec, s[8:9]
	s_cbranch_execz .LBB29_10
; %bb.237:                              ;   in Loop: Header=BB29_12 Depth=1
	v_accvgpr_read_b32 v1, a48
	v_accvgpr_read_b32 v2, a49
	v_add_u32_e32 v1, v1, v216
	v_or_b32_e32 v2, v2, v43
	v_cmp_gt_i32_e32 vcc, s36, v1
	v_cmp_gt_i32_e64 s[8:9], s3, v2
	s_and_b64 s[8:9], vcc, s[8:9]
	s_and_b64 exec, exec, s[8:9]
	s_cbranch_execz .LBB29_10
; %bb.238:                              ;   in Loop: Header=BB29_12 Depth=1
	v_accvgpr_read_b32 v10, a63
	ds_read2st64_b32 v[4:5], v10 offset1:1
	v_accvgpr_read_b32 v16, a50
	ds_read2_b32 v[2:3], v16 offset0:128 offset1:129
	ds_read2st64_b32 v[6:7], v10 offset0:33 offset1:34
	ds_read2st64_b32 v[8:9], v10 offset0:66 offset1:67
	;; [unrolled: 1-line block ×4, first 2 shown]
	ds_read_b32 v16, v16 offset:25856
	s_waitcnt lgkmcnt(6)
	v_cvt_f32_f16_sdwa v13, v4 dst_sel:DWORD dst_unused:UNUSED_PAD src0_sel:WORD_1
	v_cvt_f32_f16_e32 v12, v4
	s_waitcnt lgkmcnt(4)
	v_cvt_f32_f16_sdwa v19, v6 dst_sel:DWORD dst_unused:UNUSED_PAD src0_sel:WORD_1
	v_cvt_f32_f16_e32 v18, v6
	;; [unrolled: 3-line block ×4, first 2 shown]
	v_pk_fma_f32 v[12:13], v[2:3], v[12:13], 0 op_sel_hi:[0,1,0]
	s_waitcnt lgkmcnt(1)
	v_pk_fma_f32 v[12:13], v[14:15], v[18:19], v[12:13] op_sel_hi:[0,1,1]
	v_mov_b32_e32 v6, v15
	v_pk_fma_f32 v[12:13], v[6:7], v[20:21], v[12:13] op_sel_hi:[0,1,1]
	v_mul_lo_u32 v1, v1, s37
	v_accvgpr_read_b32 v4, a49
	s_waitcnt lgkmcnt(0)
	v_pk_fma_f32 v[12:13], v[16:17], v[22:23], v[12:13] op_sel_hi:[0,1,1]
	v_add_lshl_u32 v4, v1, v4, 7
	v_div_scale_f32 v1, s[8:9], v3, v3, v13
	v_rcp_f32_e32 v8, v1
	v_add_u32_e32 v18, v40, v4
	v_ashrrev_i32_e32 v19, 31, v18
	v_lshl_add_u64 v[18:19], v[18:19], 3, v[122:123]
	v_fma_f32 v10, -v1, v8, 1.0
	v_fmac_f32_e32 v8, v10, v8
	v_div_scale_f32 v10, vcc, v13, v3, v13
	v_mul_f32_e32 v15, v10, v8
	v_fma_f32 v17, -v1, v15, v10
	v_fmac_f32_e32 v15, v17, v8
	v_fma_f32 v1, -v1, v15, v10
	v_div_scale_f32 v10, s[8:9], v3, v3, v12
	v_rcp_f32_e32 v17, v10
	v_div_fmas_f32 v1, v1, v8, v15
	v_div_fixup_f32 v13, v1, v3, v13
	v_cvt_f32_f16_sdwa v21, v9 dst_sel:DWORD dst_unused:UNUSED_PAD src0_sel:WORD_1
	v_fma_f32 v1, -v10, v17, 1.0
	v_fmac_f32_e32 v17, v1, v17
	v_div_scale_f32 v1, vcc, v12, v3, v12
	v_mul_f32_e32 v8, v1, v17
	v_fma_f32 v15, -v10, v8, v1
	v_fmac_f32_e32 v8, v15, v17
	v_fma_f32 v1, -v10, v8, v1
	v_div_fmas_f32 v1, v1, v17, v8
	v_div_fixup_f32 v12, v1, v3, v12
	global_store_dwordx2 v[18:19], v[12:13], off
	v_cvt_f32_f16_sdwa v13, v5 dst_sel:DWORD dst_unused:UNUSED_PAD src0_sel:WORD_1
	v_cvt_f32_f16_e32 v12, v5
	v_cvt_f32_f16_sdwa v19, v7 dst_sel:DWORD dst_unused:UNUSED_PAD src0_sel:WORD_1
	v_cvt_f32_f16_e32 v18, v7
	v_cvt_f32_f16_e32 v20, v9
	v_cvt_f32_f16_sdwa v9, v11 dst_sel:DWORD dst_unused:UNUSED_PAD src0_sel:WORD_1
	v_cvt_f32_f16_e32 v8, v11
	v_pk_fma_f32 v[10:11], v[2:3], v[12:13], 0 op_sel_hi:[0,1,0]
	v_pk_fma_f32 v[10:11], v[14:15], v[18:19], v[10:11] op_sel_hi:[0,1,1]
	;; [unrolled: 1-line block ×4, first 2 shown]
	v_div_scale_f32 v1, s[8:9], v3, v3, v7
	v_rcp_f32_e32 v2, v1
	v_ashrrev_i32_e32 v5, 31, v4
	v_lshl_add_u64 v[4:5], v[40:41], 0, v[4:5]
	v_lshl_add_u64 v[4:5], v[4:5], 3, v[122:123]
	v_fma_f32 v8, -v1, v2, 1.0
	v_fmac_f32_e32 v2, v8, v2
	v_div_scale_f32 v8, vcc, v7, v3, v7
	v_mul_f32_e32 v9, v8, v2
	v_fma_f32 v10, -v1, v9, v8
	v_fmac_f32_e32 v9, v10, v2
	v_fma_f32 v1, -v1, v9, v8
	v_div_scale_f32 v8, s[8:9], v3, v3, v6
	v_rcp_f32_e32 v10, v8
	v_div_fmas_f32 v1, v1, v2, v9
	v_div_fixup_f32 v7, v1, v3, v7
	v_fma_f32 v1, -v8, v10, 1.0
	v_fmac_f32_e32 v10, v1, v10
	v_div_scale_f32 v1, vcc, v6, v3, v6
	v_mul_f32_e32 v2, v1, v10
	v_fma_f32 v9, -v8, v2, v1
	v_fmac_f32_e32 v2, v9, v10
	v_fma_f32 v1, -v8, v2, v1
	v_div_fmas_f32 v1, v1, v10, v2
	v_div_fixup_f32 v6, v1, v3, v6
	global_store_dwordx2 v[4:5], v[6:7], off offset:512
	s_branch .LBB29_10
.LBB29_239:
	v_accvgpr_read_b32 v186, a4
	v_accvgpr_read_b32 v183, a5
	;; [unrolled: 1-line block ×8, first 2 shown]
	s_andn2_b64 vcc, exec, s[8:9]
	s_cbranch_vccnz .LBB29_8
.LBB29_240:
	s_abs_i32 s0, s77
	v_cvt_f32_u32_e32 v1, s0
	s_sub_i32 s5, 0, s0
	s_abs_i32 s4, s54
	s_xor_b32 s1, s54, s77
	v_rcp_iflag_f32_e32 v1, v1
	s_ashr_i32 s1, s1, 31
	v_mul_f32_e32 v1, 0x4f7ffffe, v1
	v_cvt_u32_f32_e32 v1, v1
	s_nop 0
	v_readfirstlane_b32 s6, v1
	s_mul_i32 s5, s5, s6
	s_mul_hi_u32 s5, s6, s5
	s_add_i32 s6, s6, s5
	s_mul_hi_u32 s5, s4, s6
	s_mul_i32 s6, s5, s0
	s_sub_i32 s4, s4, s6
	s_add_i32 s7, s5, 1
	s_sub_i32 s6, s4, s0
	s_cmp_ge_u32 s4, s0
	s_cselect_b32 s5, s7, s5
	s_cselect_b32 s4, s6, s4
	s_add_i32 s6, s5, 1
	s_cmp_ge_u32 s4, s0
	s_cselect_b32 s0, s6, s5
	s_abs_i32 s4, s76
	v_cvt_f32_u32_e32 v1, s4
	s_xor_b32 s0, s0, s1
	s_sub_i32 s5, 0, s4
	s_sub_i32 s8, s0, s1
	v_rcp_iflag_f32_e32 v1, v1
	s_mul_i32 s0, s8, s77
	s_sub_i32 s0, s54, s0
	s_abs_i32 s6, s0
	v_mul_f32_e32 v1, 0x4f7ffffe, v1
	v_cvt_u32_f32_e32 v1, v1
	s_xor_b32 s1, s0, s76
	s_ashr_i32 s1, s1, 31
	v_readfirstlane_b32 s7, v1
	s_mul_i32 s5, s5, s7
	s_mul_hi_u32 s5, s7, s5
	s_add_i32 s7, s7, s5
	s_mul_hi_u32 s5, s6, s7
	s_mul_i32 s7, s5, s4
	s_sub_i32 s6, s6, s7
	s_add_i32 s9, s5, 1
	s_sub_i32 s7, s6, s4
	s_cmp_ge_u32 s6, s4
	s_cselect_b32 s5, s9, s5
	s_cselect_b32 s6, s7, s6
	s_add_i32 s7, s5, 1
	s_cmp_ge_u32 s6, s4
	s_cselect_b32 s4, s7, s5
	s_abs_i32 s5, s75
	v_cvt_f32_u32_e32 v1, s5
	s_xor_b32 s4, s4, s1
	s_sub_i32 s6, 0, s5
	s_sub_i32 s9, s4, s1
	v_rcp_iflag_f32_e32 v1, v1
	s_mul_i32 s1, s9, s76
	s_sub_i32 s1, s0, s1
	s_abs_i32 s4, s1
	v_mul_f32_e32 v1, 0x4f7ffffe, v1
	v_cvt_u32_f32_e32 v1, v1
	s_xor_b32 s0, s1, s75
	s_ashr_i32 s0, s0, 31
	v_readfirstlane_b32 s7, v1
	s_mul_i32 s6, s6, s7
	s_mul_hi_u32 s6, s7, s6
	s_add_i32 s7, s7, s6
	s_mul_hi_u32 s6, s4, s7
	s_mul_i32 s7, s6, s5
	s_sub_i32 s4, s4, s7
	s_add_i32 s10, s6, 1
	s_sub_i32 s7, s4, s5
	s_cmp_ge_u32 s4, s5
	s_cselect_b32 s6, s10, s6
	s_cselect_b32 s4, s7, s4
	s_add_i32 s7, s6, 1
	s_cmp_ge_u32 s4, s5
	s_cselect_b32 s4, s7, s6
	s_xor_b32 s4, s4, s0
	s_sub_i32 s0, s4, s0
	s_mul_i32 s4, s0, s75
	s_sub_i32 s1, s1, s4
	s_ashr_i32 s4, s1, 31
	s_abs_i32 s1, s1
	s_mul_hi_u32 s5, s1, s52
	s_mul_i32 s6, s5, s80
	s_sub_i32 s1, s1, s6
	s_xor_b32 s4, s4, s42
	s_add_i32 s6, s5, 1
	s_sub_i32 s7, s1, s80
	s_cmp_ge_u32 s1, s80
	s_cselect_b32 s5, s6, s5
	s_cselect_b32 s1, s7, s1
	s_add_i32 s6, s5, 1
	s_cmp_ge_u32 s1, s80
	s_cselect_b32 s1, s6, s5
	s_abs_i32 s10, s56
	v_cvt_f32_u32_e32 v1, s10
	s_xor_b32 s1, s1, s4
	s_sub_i32 s1, s1, s4
	s_cmp_eq_u64 s[26:27], 0
	v_rcp_iflag_f32_e32 v1, v1
	s_nop 0
	v_mul_f32_e32 v1, 0x4f7ffffe, v1
	v_cvt_u32_f32_e32 v1, v1
	s_nop 0
	v_readfirstlane_b32 s12, v1
	s_cbranch_scc1 .LBB29_242
; %bb.241:
	s_mul_i32 s4, s8, s74
	s_add_i32 s4, s1, s4
	s_ashr_i32 s5, s4, 31
	s_lshl_b64 s[4:5], s[4:5], 2
	s_add_u32 s4, s26, s4
	s_addc_u32 s5, s27, s5
	v_mov_b32_e32 v1, 0
	global_load_dword v1, v1, s[4:5]
	s_waitcnt vmcnt(0)
	v_ashrrev_i32_e32 v2, 31, v1
	v_lshrrev_b32_e32 v2, 26, v2
	v_add_u32_e32 v1, v1, v2
	v_ashrrev_i32_e32 v1, 6, v1
	v_min_i32_e32 v146, v146, v1
.LBB29_242:
	s_mul_i32 s4, s9, s3
	s_lshl_b32 s5, s0, 2
	s_add_i32 s0, s5, s4
	s_mul_i32 s4, s8, s51
	s_ashr_i32 s6, s4, 31
	s_add_u32 s4, s16, s4
	s_mul_i32 s0, s0, s50
	s_addc_u32 s7, s17, s6
	s_ashr_i32 s11, s0, 31
	s_add_u32 s6, s4, s0
	s_addc_u32 s7, s7, s11
	s_lshl_b32 s11, s1, 2
	v_bfe_u32 v71, v88, 2, 8
	v_and_b32_e32 v70, 0x3ff, v0
	v_add_u32_e32 v2, s11, v71
	v_or_b32_e32 v0, s5, v168
	v_cmp_le_i32_e64 s[0:1], s36, v2
	v_cmp_le_i32_e64 s[4:5], s3, v0
	s_mov_b32 s13, 0x10001
	v_lshl_add_u32 v1, v70, 2, 0
	v_cmp_gt_i32_e32 vcc, s3, v0
	s_or_b64 s[0:1], s[0:1], s[4:5]
	s_and_saveexec_b64 s[4:5], s[0:1]
	s_xor_b64 s[0:1], exec, s[4:5]
; %bb.243:
	s_movk_i32 s3, 0x210
	v_mad_u32_u24 v0, v85, s3, v1
	v_mov_b32_e32 v2, 0
	ds_write2st64_b32 v0, v2, v2 offset1:1
                                        ; implicit-def: $vgpr2
; %bb.244:
	s_or_saveexec_b64 s[0:1], s[0:1]
	v_mul_lo_u32 v0, v87, s13
	s_xor_b64 exec, exec, s[0:1]
	s_cbranch_execz .LBB29_246
; %bb.245:
	v_mul_lo_u32 v2, v2, s55
	v_mul_lo_u32 v3, v168, s79
	v_add3_u32 v2, v2, v3, v70
	v_ashrrev_i32_e32 v3, 31, v2
	v_lshl_add_u64 v[2:3], v[2:3], 3, s[6:7]
	global_load_dwordx2 v[4:5], v[2:3], off
	global_load_dwordx2 v[6:7], v[2:3], off offset:512
	v_mul_u32_u24_e32 v2, 0x210, v85
	v_lshlrev_b32_e32 v3, 2, v70
	v_add3_u32 v2, 0, v2, v3
	s_waitcnt vmcnt(1)
	v_cvt_pk_f16_f32 v3, v4, v5
	s_waitcnt vmcnt(0)
	v_cvt_pk_f16_f32 v4, v6, v7
	v_pk_mul_f16 v3, v3, v0
	v_pk_mul_f16 v4, v4, v0
	ds_write2st64_b32 v2, v3, v4 offset1:1
.LBB29_246:
	s_or_b64 exec, exec, s[0:1]
	v_lshrrev_b32_e32 v2, 2, v86
	v_add_u32_e32 v2, s11, v2
	v_cmp_le_i32_e64 s[0:1], s36, v2
	s_xor_b64 s[4:5], vcc, -1
	s_sub_i32 s3, 0, s10
	s_or_b64 s[0:1], s[0:1], s[4:5]
	s_and_saveexec_b64 s[16:17], s[0:1]
	s_xor_b64 s[0:1], exec, s[16:17]
; %bb.247:
	s_movk_i32 s13, 0x210
	v_mad_u32_u24 v2, v86, s13, v1
	v_mov_b32_e32 v3, 0
	ds_write2st64_b32 v2, v3, v3 offset1:1
                                        ; implicit-def: $vgpr2
                                        ; implicit-def: $vgpr86
; %bb.248:
	s_or_saveexec_b64 s[0:1], s[0:1]
	s_mul_i32 s3, s3, s12
	s_xor_b64 exec, exec, s[0:1]
	s_cbranch_execz .LBB29_250
; %bb.249:
	v_mul_lo_u32 v2, v2, s55
	v_mul_lo_u32 v3, v168, s79
	v_add3_u32 v2, v2, v3, v70
	v_ashrrev_i32_e32 v3, 31, v2
	v_lshl_add_u64 v[2:3], v[2:3], 3, s[6:7]
	global_load_dwordx2 v[4:5], v[2:3], off
	global_load_dwordx2 v[6:7], v[2:3], off offset:512
	v_mul_u32_u24_e32 v2, 0x210, v86
	v_lshlrev_b32_e32 v3, 2, v70
	v_add3_u32 v2, 0, v2, v3
	s_waitcnt vmcnt(1)
	v_cvt_pk_f16_f32 v3, v4, v5
	s_waitcnt vmcnt(0)
	v_cvt_pk_f16_f32 v4, v6, v7
	v_pk_mul_f16 v3, v3, v0
	v_pk_mul_f16 v4, v4, v0
	ds_write2st64_b32 v2, v3, v4 offset1:1
.LBB29_250:
	s_or_b64 exec, exec, s[0:1]
	v_lshrrev_b32_e32 v2, 2, v84
	v_add_u32_e32 v2, s11, v2
	v_cmp_le_i32_e32 vcc, s36, v2
	s_mul_hi_u32 s13, s12, s3
	s_or_b64 s[0:1], vcc, s[4:5]
	s_and_saveexec_b64 s[16:17], s[0:1]
	s_xor_b64 s[0:1], exec, s[16:17]
; %bb.251:
	s_movk_i32 s3, 0x210
	v_mad_u32_u24 v2, v84, s3, v1
	v_mov_b32_e32 v3, 0
	ds_write2st64_b32 v2, v3, v3 offset1:1
                                        ; implicit-def: $vgpr2
                                        ; implicit-def: $vgpr84
; %bb.252:
	s_or_saveexec_b64 s[0:1], s[0:1]
	s_abs_i32 s3, s8
	s_add_i32 s12, s12, s13
	s_xor_b64 exec, exec, s[0:1]
	s_cbranch_execz .LBB29_254
; %bb.253:
	v_mul_lo_u32 v2, v2, s55
	v_mul_lo_u32 v3, v168, s79
	v_add3_u32 v2, v2, v3, v70
	v_ashrrev_i32_e32 v3, 31, v2
	v_lshl_add_u64 v[2:3], v[2:3], 3, s[6:7]
	global_load_dwordx2 v[4:5], v[2:3], off
	global_load_dwordx2 v[6:7], v[2:3], off offset:512
	v_mul_u32_u24_e32 v2, 0x210, v84
	v_lshlrev_b32_e32 v3, 2, v70
	v_add3_u32 v2, 0, v2, v3
	s_waitcnt vmcnt(1)
	v_cvt_pk_f16_f32 v3, v4, v5
	s_waitcnt vmcnt(0)
	v_cvt_pk_f16_f32 v4, v6, v7
	v_pk_mul_f16 v3, v3, v0
	v_pk_mul_f16 v4, v4, v0
	ds_write2st64_b32 v2, v3, v4 offset1:1
.LBB29_254:
	s_or_b64 exec, exec, s[0:1]
	v_lshrrev_b32_e32 v2, 2, v47
	v_add_u32_e32 v2, s11, v2
	v_cmp_le_i32_e32 vcc, s36, v2
	s_mul_hi_u32 s15, s3, s12
	s_or_b64 s[0:1], vcc, s[4:5]
	s_and_saveexec_b64 s[4:5], s[0:1]
	s_xor_b64 s[0:1], exec, s[4:5]
; %bb.255:
	s_movk_i32 s4, 0x210
	v_mad_u32_u24 v0, v47, s4, v1
	v_mov_b32_e32 v1, 0
	ds_write2st64_b32 v0, v1, v1 offset1:1
                                        ; implicit-def: $vgpr2
                                        ; implicit-def: $vgpr47
                                        ; implicit-def: $vgpr0
; %bb.256:
	s_or_saveexec_b64 s[0:1], s[0:1]
	s_ashr_i32 s16, s8, 31
	s_xor_b64 exec, exec, s[0:1]
	s_cbranch_execz .LBB29_258
; %bb.257:
	v_mul_lo_u32 v1, v2, s55
	v_mul_lo_u32 v2, v168, s79
	v_add3_u32 v2, v1, v2, v70
	v_ashrrev_i32_e32 v3, 31, v2
	v_lshl_add_u64 v[2:3], v[2:3], 3, s[6:7]
	global_load_dwordx2 v[4:5], v[2:3], off
	global_load_dwordx2 v[6:7], v[2:3], off offset:512
	v_mul_u32_u24_e32 v1, 0x210, v47
	v_lshlrev_b32_e32 v2, 2, v70
	v_add3_u32 v1, 0, v1, v2
	s_waitcnt vmcnt(1)
	v_cvt_pk_f16_f32 v2, v4, v5
	s_waitcnt vmcnt(0)
	v_cvt_pk_f16_f32 v3, v6, v7
	v_pk_mul_f16 v2, v2, v0
	v_pk_mul_f16 v0, v3, v0
	ds_write2st64_b32 v1, v2, v0 offset1:1
.LBB29_258:
	s_or_b64 exec, exec, s[0:1]
	s_mul_hi_u32 s0, s40, s8
	s_mul_i32 s1, s40, s16
	s_add_i32 s0, s0, s1
	s_mul_i32 s1, s41, s8
	s_add_i32 s0, s0, s1
	s_mul_i32 s1, s40, s8
	s_add_u32 s1, s18, s1
	s_mul_i32 s4, s9, s53
	s_addc_u32 s0, s19, s0
	s_ashr_i32 s5, s4, 31
	s_add_u32 s12, s1, s4
	s_mul_i32 s15, s15, s10
	s_addc_u32 s13, s0, s5
	s_sub_i32 s0, s3, s15
	s_sub_i32 s1, s0, s10
	s_cmp_ge_u32 s0, s10
	s_cselect_b32 s0, s1, s0
	s_sub_i32 s1, s0, s10
	s_cmp_ge_u32 s0, s10
	s_cselect_b32 s0, s1, s0
	s_xor_b32 s0, s0, s16
	s_sub_i32 s0, s0, s16
	s_ashr_i32 s1, s0, 31
	s_mul_i32 s1, s48, s1
	s_mul_hi_u32 s3, s48, s0
	s_add_i32 s1, s3, s1
	s_mul_i32 s3, s49, s0
	s_add_i32 s1, s1, s3
	s_mul_i32 s0, s48, s0
	s_add_u32 s4, s22, s0
	s_addc_u32 s5, s23, s1
	s_mul_hi_u32 s0, s46, s8
	s_mul_i32 s1, s46, s16
	s_add_i32 s0, s0, s1
	s_mul_i32 s1, s47, s8
	s_add_i32 s0, s0, s1
	s_mul_i32 s1, s46, s8
	s_add_u32 s1, s20, s1
	s_mul_i32 s9, s9, s43
	s_addc_u32 s0, s21, s0
	s_ashr_i32 s6, s9, 31
	s_add_u32 s3, s1, s9
	v_lshrrev_b32_e32 v1, 3, v70
	s_addc_u32 s10, s0, s6
	v_and_b32_e32 v33, 0xff0, v183
	s_movk_i32 s6, 0x210
	v_and_b32_e32 v72, 15, v70
	v_and_b32_e32 v1, 0x7e, v1
	v_mad_u32_u24 v0, v33, s6, 0
	v_mul_u32_u24_e32 v77, 0x210, v72
	v_lshlrev_b32_e32 v73, 2, v1
	v_add3_u32 v0, v0, v77, v73
	s_waitcnt lgkmcnt(0)
	s_barrier
	ds_read2_b64 v[28:31], v0 offset1:4
	ds_read2_b64 v[24:27], v0 offset0:8 offset1:12
	ds_read2_b64 v[20:23], v0 offset0:16 offset1:20
	;; [unrolled: 1-line block ×7, first 2 shown]
	v_lshrrev_b32_e32 v32, 5, v70
	v_add_u32_e32 v81, -1, v146
	v_lshl_add_u32 v78, v85, 1, v32
	v_cmp_ge_i32_e32 vcc, s70, v81
	v_mul_lo_u32 v34, s38, v78
	v_mul_lo_u32 v32, s14, v78
	s_and_b64 vcc, exec, vcc
	v_cmp_gt_u32_e64 s[0:1], 4, v78
	v_ashrrev_i32_e32 v35, 31, v34
	v_lshrrev_b32_e32 v75, 2, v70
	v_and_or_b32 v76, v70, 12, v33
	v_ashrrev_i32_e32 v33, 31, v32
	v_lshlrev_b32_e32 v74, 1, v72
	s_waitcnt lgkmcnt(0)
	s_barrier
	s_cbranch_vccnz .LBB29_265
; %bb.259:
	v_and_b32_e32 v54, 48, v186
	v_and_b32_e32 v69, 0xfc, v75
	v_mad_u32_u24 v68, v54, s6, 0
	v_add_u16_e32 v54, v54, v69
	v_lshrrev_b32_e32 v55, 2, v76
	v_lshrrev_b16_e32 v54, 1, v54
	v_mul_u32_u24_e32 v55, 0x90, v55
	v_lshlrev_b32_e32 v54, 2, v54
	v_add_u32_e32 v36, s11, v78
	v_add3_u32 v79, 0, v55, v54
	v_mbcnt_hi_u32_b32 v54, -1, v191
	v_mul_hi_u32 v37, s34, v36
	v_and_b32_e32 v55, 64, v54
	v_add_u32_e32 v37, v36, v37
	v_add_u32_e32 v55, 64, v55
	v_xor_b32_e32 v56, 32, v54
	v_lshrrev_b32_e32 v37, s35, v37
	v_cmp_lt_i32_e32 vcc, v56, v55
	v_mul_lo_u32 v37, v37, s36
	v_sub_u32_e32 v37, v36, v37
	v_cndmask_b32_e32 v56, v54, v56, vcc
	v_lshlrev_b32_e32 v36, 2, v70
	v_lshlrev_b32_e32 v97, 2, v56
	v_xor_b32_e32 v56, 16, v54
	s_movk_i32 s7, 0x90
	v_and_b32_e32 v36, 0x7c, v36
	v_cmp_lt_i32_e32 vcc, v56, v55
	v_mad_u32_u24 v40, v78, s7, 0
	v_mul_u32_u24_e32 v41, 0x180, v78
	v_lshlrev_b32_e32 v42, 2, v36
	s_lshl_b32 s7, s38, 3
	v_cndmask_b32_e32 v54, v54, v56, vcc
	s_lshl_b32 s6, s14, 3
	v_add_u32_e32 v82, v40, v36
	v_add3_u32 v83, v40, v41, v42
	v_add_u32_e32 v40, s7, v34
	v_lshlrev_b32_e32 v98, 2, v54
	v_add_u32_e32 v54, s6, v32
	v_add_u32_e32 v42, s7, v40
	;; [unrolled: 1-line block ×9, first 2 shown]
	v_mad_i64_i32 v[38:39], s[8:9], v37, s44, 0
	v_add_u32_e32 v50, s7, v48
	v_add_u32_e32 v64, s6, v62
	v_or_b32_e32 v80, 3, v75
	v_lshl_add_u64 v[38:39], v[38:39], 1, s[4:5]
	v_mov_b32_e32 v37, 0
	v_add_u32_e32 v52, s7, v50
	v_add_u32_e32 v66, s6, v64
	v_mul_u32_u24_e32 v69, 0x210, v69
	v_mul_u32_u24_e32 v80, 0x210, v80
	v_lshl_add_u64 v[38:39], v[38:39], 0, v[36:37]
	v_add_u32_e32 v84, 0x1080, v83
	v_ashrrev_i32_e32 v41, 31, v40
	v_add_u32_e32 v86, 0x2100, v83
	v_ashrrev_i32_e32 v43, 31, v42
	;; [unrolled: 2-line block ×7, first 2 shown]
	v_add3_u32 v92, v68, v77, v73
	v_ashrrev_i32_e32 v55, 31, v54
	v_ashrrev_i32_e32 v57, 31, v56
	;; [unrolled: 1-line block ×7, first 2 shown]
	v_add3_u32 v111, v68, v69, v74
	v_add3_u32 v113, v68, v80, v74
	s_lshl_b32 s6, s70, 6
	v_mov_b32_e32 v80, 0xfeffffff
	v_lshlrev_b32_e32 v36, 2, v36
	v_add_u32_e32 v115, 0x8400, v79
	s_mov_b32 s15, 0x3fb8aa3b
	s_mov_b32 s16, 0xc2ce8ed0
	;; [unrolled: 1-line block ×5, first 2 shown]
	v_mov_b32_e32 v118, 0x7f800000
	v_mov_b32_e32 v129, v37
	;; [unrolled: 1-line block ×34, first 2 shown]
	s_ashr_i32 s7, s6, 31
	s_and_saveexec_b64 s[8:9], s[0:1]
	s_cbranch_execz .LBB29_261
.LBB29_260:
	v_lshl_add_u64 v[130:131], s[6:7], 1, v[38:39]
	global_load_dword v79, v[130:131], off
	s_waitcnt vmcnt(0)
	ds_write_b32 v82, v79 offset:33792
.LBB29_261:                             ; =>This Inner Loop Header: Depth=1
	s_or_b64 exec, exec, s[8:9]
	s_mul_hi_i32 s9, s6, s38
	s_mul_i32 s8, s6, s38
	s_lshl_b64 s[8:9], s[8:9], 2
	s_add_u32 s8, s12, s8
	s_addc_u32 s9, s13, s9
	v_lshl_add_u64 v[132:133], v[40:41], 2, s[8:9]
	v_lshl_add_u64 v[134:135], v[132:133], 0, v[36:37]
	;; [unrolled: 1-line block ×16, first 2 shown]
	global_load_dwordx4 v[130:133], v[130:131], off
	s_nop 0
	global_load_dwordx4 v[134:137], v[134:135], off
	s_nop 0
	;; [unrolled: 2-line block ×7, first 2 shown]
	global_load_dwordx4 v[158:161], v[158:159], off
	s_mul_hi_i32 s9, s6, s14
	s_mul_i32 s8, s6, s14
	s_lshl_b64 s[8:9], s[8:9], 2
	s_add_u32 s8, s3, s8
	s_addc_u32 s9, s10, s9
	s_add_i32 s70, s70, 1
	s_add_i32 s6, s6, 64
	s_waitcnt vmcnt(7)
	ds_write_b128 v83, v[130:133]
	s_waitcnt vmcnt(6)
	ds_write_b128 v84, v[134:137]
	s_waitcnt vmcnt(5)
	ds_write_b128 v86, v[138:141]
	s_waitcnt vmcnt(4)
	ds_write_b128 v87, v[142:145]
	s_waitcnt vmcnt(3)
	ds_write_b128 v88, v[146:149]
	s_waitcnt vmcnt(2)
	ds_write_b128 v89, v[150:153]
	s_waitcnt vmcnt(1)
	ds_write_b128 v90, v[154:157]
	s_waitcnt vmcnt(0)
	ds_write_b128 v91, v[158:161]
	s_waitcnt lgkmcnt(0)
	s_barrier
	ds_read2_b64 v[130:133], v92 offset1:4
	s_waitcnt lgkmcnt(0)
	v_mfma_f32_16x16x16_f16 a[0:3], v[130:131], v[28:29], 0
	v_lshl_add_u64 v[148:149], v[62:63], 2, s[8:9]
	v_lshl_add_u64 v[154:155], v[148:149], 0, v[36:37]
	;; [unrolled: 1-line block ×3, first 2 shown]
	v_mfma_f32_16x16x16_f16 a[0:3], v[132:133], v[30:31], a[0:3]
	ds_read2_b64 v[130:133], v92 offset0:8 offset1:12
	v_lshl_add_u64 v[140:141], v[54:55], 2, s[8:9]
	v_lshl_add_u64 v[142:143], v[56:57], 2, s[8:9]
	s_waitcnt lgkmcnt(0)
	v_mfma_f32_16x16x16_f16 a[0:3], v[130:131], v[24:25], a[0:3]
	v_lshl_add_u64 v[144:145], v[58:59], 2, s[8:9]
	v_lshl_add_u64 v[146:147], v[60:61], 2, s[8:9]
	;; [unrolled: 1-line block ×3, first 2 shown]
	v_mfma_f32_16x16x16_f16 a[0:3], v[132:133], v[26:27], a[0:3]
	ds_read2_b64 v[130:133], v92 offset0:16 offset1:20
	ds_read2_b64 v[134:137], v92 offset0:24 offset1:28
	v_lshl_add_u64 v[152:153], v[66:67], 2, s[8:9]
	v_lshl_add_u64 v[138:139], v[138:139], 0, v[36:37]
	s_waitcnt lgkmcnt(1)
	v_mfma_f32_16x16x16_f16 a[0:3], v[130:131], v[20:21], a[0:3]
	v_lshl_add_u64 v[140:141], v[140:141], 0, v[36:37]
	v_lshl_add_u64 v[142:143], v[142:143], 0, v[36:37]
	;; [unrolled: 1-line block ×3, first 2 shown]
	v_mfma_f32_16x16x16_f16 a[0:3], v[132:133], v[22:23], a[0:3]
	ds_read2_b64 v[130:133], v92 offset0:32 offset1:36
	v_lshl_add_u64 v[146:147], v[146:147], 0, v[36:37]
	v_lshl_add_u64 v[156:157], v[150:151], 0, v[36:37]
	s_waitcnt lgkmcnt(1)
	v_mfma_f32_16x16x16_f16 a[0:3], v[134:135], v[16:17], a[0:3]
	v_lshl_add_u64 v[158:159], v[152:153], 0, v[36:37]
	v_mfma_f32_16x16x16_f16 a[0:3], v[136:137], v[18:19], a[0:3]
	ds_read2_b64 v[134:137], v92 offset0:40 offset1:44
	s_waitcnt lgkmcnt(1)
	v_mfma_f32_16x16x16_f16 a[0:3], v[130:131], v[12:13], a[0:3]
	v_mfma_f32_16x16x16_f16 a[0:3], v[132:133], v[14:15], a[0:3]
	ds_read2_b64 v[130:133], v92 offset0:48 offset1:52
	s_waitcnt lgkmcnt(1)
	v_mfma_f32_16x16x16_f16 a[0:3], v[134:135], v[8:9], a[0:3]
	v_mfma_f32_16x16x16_f16 a[0:3], v[136:137], v[10:11], a[0:3]
	ds_read2_b64 v[134:137], v92 offset0:56 offset1:60
	s_waitcnt lgkmcnt(0)
	s_barrier
	v_mfma_f32_16x16x16_f16 a[0:3], v[130:131], v[4:5], a[0:3]
	ds_read2_b32 v[130:131], v115 offset1:1
	s_waitcnt lgkmcnt(0)
	v_cvt_f32_f16_e32 v79, v130
	v_mfma_f32_16x16x16_f16 a[0:3], v[132:133], v[6:7], a[0:3]
	v_cvt_f32_f16_sdwa v130, v130 dst_sel:DWORD dst_unused:UNUSED_PAD src0_sel:WORD_1
	v_cvt_f32_f16_e32 v132, v131
	v_cvt_f32_f16_sdwa v131, v131 dst_sel:DWORD dst_unused:UNUSED_PAD src0_sel:WORD_1
	v_mfma_f32_16x16x16_f16 a[0:3], v[134:135], v[0:1], a[0:3]
	v_mfma_f32_16x16x16_f16 a[0:3], v[136:137], v[2:3], a[0:3]
	s_nop 7
	v_accvgpr_read_b32 v133, a0
	v_accvgpr_read_b32 v134, a1
	;; [unrolled: 1-line block ×4, first 2 shown]
	v_add_f32_e32 v162, v133, v79
	v_add_f32_e32 v163, v134, v130
	;; [unrolled: 1-line block ×8, first 2 shown]
	v_max3_f32 v79, v80, v79, v130
	v_max3_f32 v79, v79, v131, v132
	ds_bpermute_b32 v148, v97, v79
	global_load_dwordx4 v[130:133], v[138:139], off
	global_load_dwordx4 v[134:137], v[140:141], off
	s_nop 0
	global_load_dwordx4 v[138:141], v[142:143], off
	s_nop 0
	global_load_dwordx4 v[142:145], v[144:145], off
	s_waitcnt lgkmcnt(0)
	v_max_f32_e32 v148, v148, v148
	v_max_f32_e32 v79, v79, v148
	global_load_dwordx4 v[146:149], v[146:147], off
	s_nop 0
	global_load_dwordx4 v[150:153], v[154:155], off
	s_nop 0
	global_load_dwordx4 v[154:157], v[156:157], off
	s_nop 0
	global_load_dwordx4 v[158:161], v[158:159], off
	ds_bpermute_b32 v166, v98, v79
	s_waitcnt vmcnt(7)
	ds_write_b128 v83, v[130:133]
	s_waitcnt vmcnt(6)
	ds_write_b128 v84, v[134:137]
	s_waitcnt vmcnt(5)
	ds_write_b128 v86, v[138:141]
	s_waitcnt vmcnt(4)
	ds_write_b128 v87, v[142:145]
	s_waitcnt vmcnt(3)
	ds_write_b128 v88, v[146:149]
	s_waitcnt vmcnt(2)
	ds_write_b128 v89, v[150:153]
	s_waitcnt vmcnt(1)
	ds_write_b128 v90, v[154:157]
	s_waitcnt vmcnt(0)
	ds_write_b128 v91, v[158:161]
	s_waitcnt lgkmcnt(8)
	v_max_f32_e32 v166, v166, v166
	v_max_f32_e32 v79, v79, v166
	v_sub_f32_e32 v162, v162, v79
	v_sub_f32_e32 v163, v163, v79
	v_mul_f32_e32 v166, 0x3fb8aa3b, v162
	v_sub_f32_e32 v164, v164, v79
	v_mul_f32_e32 v167, 0x3fb8aa3b, v163
	v_fma_f32 v172, v162, s15, -v166
	v_rndne_f32_e32 v173, v166
	v_sub_f32_e32 v165, v165, v79
	v_mul_f32_e32 v169, 0x3fb8aa3b, v164
	v_fma_f32 v174, v163, s15, -v167
	v_rndne_f32_e32 v175, v167
	v_fmac_f32_e32 v172, 0x32a5705f, v162
	v_sub_f32_e32 v166, v166, v173
	v_sub_f32_e32 v80, v80, v79
	v_mul_f32_e32 v170, 0x3fb8aa3b, v165
	v_fma_f32 v176, v164, s15, -v169
	v_rndne_f32_e32 v177, v169
	v_fmac_f32_e32 v174, 0x32a5705f, v163
	v_sub_f32_e32 v167, v167, v175
	v_add_f32_e32 v166, v166, v172
	v_mul_f32_e32 v171, 0x3fb8aa3b, v80
	v_fma_f32 v178, v165, s15, -v170
	v_rndne_f32_e32 v179, v170
	v_cvt_i32_f32_e32 v173, v173
	v_fmac_f32_e32 v176, 0x32a5705f, v164
	v_sub_f32_e32 v169, v169, v177
	v_add_f32_e32 v167, v167, v174
	v_exp_f32_e32 v166, v166
	v_fma_f32 v180, v80, s15, -v171
	v_rndne_f32_e32 v181, v171
	v_cvt_i32_f32_e32 v175, v175
	v_fmac_f32_e32 v178, 0x32a5705f, v165
	v_sub_f32_e32 v170, v170, v179
	v_add_f32_e32 v169, v169, v176
	v_exp_f32_e32 v167, v167
	v_cvt_i32_f32_e32 v177, v177
	v_fmac_f32_e32 v180, 0x32a5705f, v80
	v_sub_f32_e32 v171, v171, v181
	v_add_f32_e32 v170, v170, v178
	v_exp_f32_e32 v169, v169
	v_cvt_i32_f32_e32 v179, v179
	v_add_f32_e32 v171, v171, v180
	v_exp_f32_e32 v170, v170
	v_cvt_i32_f32_e32 v181, v181
	v_exp_f32_e32 v171, v171
	v_ldexp_f32 v166, v166, v173
	v_cmp_ngt_f32_e32 vcc, s16, v162
	v_ldexp_f32 v167, v167, v175
	v_ldexp_f32 v169, v169, v177
	v_cndmask_b32_e32 v166, 0, v166, vcc
	v_cmp_ngt_f32_e32 vcc, s16, v163
	v_ldexp_f32 v170, v170, v179
	v_ldexp_f32 v171, v171, v181
	v_cndmask_b32_e32 v167, 0, v167, vcc
	v_cmp_ngt_f32_e32 vcc, s16, v164
	s_waitcnt lgkmcnt(0)
	s_barrier
	v_cndmask_b32_e32 v169, 0, v169, vcc
	v_cmp_ngt_f32_e32 vcc, s16, v165
	s_nop 1
	v_cndmask_b32_e32 v170, 0, v170, vcc
	v_cmp_ngt_f32_e32 vcc, s16, v80
	s_nop 1
	v_cndmask_b32_e32 v171, 0, v171, vcc
	v_cmp_nlt_f32_e32 vcc, s17, v162
	s_nop 1
	v_cndmask_b32_e32 v162, v118, v166, vcc
	v_cmp_nlt_f32_e32 vcc, s17, v163
	;; [unrolled: 3-line block ×3, first 2 shown]
	v_add_f32_e32 v167, v162, v163
	s_nop 0
	v_cndmask_b32_e32 v164, v118, v169, vcc
	v_cmp_nlt_f32_e32 vcc, s17, v80
	v_add_f32_e32 v167, v164, v167
	s_nop 0
	v_cndmask_b32_e32 v166, v118, v171, vcc
	v_cmp_le_f32_e32 vcc, s18, v80
	s_nop 1
	v_cndmask_b32_e32 v166, 0, v166, vcc
	v_cvt_f16_f32_e32 v169, v166
	v_cmp_nlt_f32_e32 vcc, s17, v165
	s_nop 1
	v_cndmask_b32_e32 v165, v118, v170, vcc
	v_add_f32_e32 v80, v165, v167
	v_fmac_f32_e32 v80, v129, v166
	v_mul_u32_u24_e32 v129, 0x10001, v169
	v_pk_mul_f16 v128, v128, v129
	v_pk_mul_f16 v127, v127, v129
	;; [unrolled: 1-line block ×32, first 2 shown]
	ds_read_u16 v116, v111 offset:1056
	ds_read_u16 v129, v111 offset:1088
	ds_read_u16 v130, v111 offset:1120
	ds_read_u16 v131, v111 offset:1152
	ds_read_u16 v132, v111 offset:1184
	ds_read_u16 v133, v111 offset:1216
	ds_read_u16 v134, v111 offset:1248
	ds_read_u16 v135, v111 offset:1280
	ds_read_u16 v117, v113
	ds_read_u16 v136, v113 offset:32
	ds_read_u16 v137, v113 offset:64
	;; [unrolled: 1-line block ×7, first 2 shown]
	s_waitcnt lgkmcnt(7)
	v_perm_b32 v117, v117, v116, s19
	ds_read_u16 v116, v111
	ds_read_u16 v143, v111 offset:32
	ds_read_u16 v144, v111 offset:64
	ds_read_u16 v145, v111 offset:96
	ds_read_u16 v146, v111 offset:128
	ds_read_u16 v147, v111 offset:160
	ds_read_u16 v148, v111 offset:192
	ds_read_u16 v149, v111 offset:224
	ds_read_u16 v150, v111 offset:528
	ds_read_u16 v151, v111 offset:560
	ds_read_u16 v152, v111 offset:592
	ds_read_u16 v153, v111 offset:624
	ds_read_u16 v154, v111 offset:656
	ds_read_u16 v155, v111 offset:688
	ds_read_u16 v156, v111 offset:720
	ds_read_u16 v157, v111 offset:752
	s_waitcnt lgkmcnt(7)
	v_perm_b32 v116, v150, v116, s19
	v_cvt_f32_f16_e32 v150, v128
	v_cvt_f32_f16_sdwa v128, v128 dst_sel:DWORD dst_unused:UNUSED_PAD src0_sel:WORD_1
	v_cvt_f32_f16_e32 v158, v127
	v_cvt_f32_f16_sdwa v127, v127 dst_sel:DWORD dst_unused:UNUSED_PAD src0_sel:WORD_1
	v_cvt_pk_f16_f32 v69, v164, v165
	v_cvt_pk_f16_f32 v68, v162, v163
	v_accvgpr_write_b32 a0, v150
	v_accvgpr_write_b32 a1, v128
	;; [unrolled: 1-line block ×4, first 2 shown]
	v_cvt_f32_f16_e32 v179, v170
	v_cvt_f32_f16_sdwa v170, v170 dst_sel:DWORD dst_unused:UNUSED_PAD src0_sel:WORD_1
	v_mfma_f32_16x16x16_f16 a[0:3], v[116:117], v[68:69], a[0:3]
	v_perm_b32 v117, v136, v129, s19
	s_waitcnt lgkmcnt(6)
	v_perm_b32 v116, v151, v143, s19
	v_cvt_f32_f16_e32 v129, v126
	v_cvt_f32_f16_sdwa v126, v126 dst_sel:DWORD dst_unused:UNUSED_PAD src0_sel:WORD_1
	v_cvt_f32_f16_e32 v136, v125
	v_cvt_f32_f16_sdwa v125, v125 dst_sel:DWORD dst_unused:UNUSED_PAD src0_sel:WORD_1
	v_cvt_f32_f16_e32 v143, v167
	v_cmp_lt_i32_e32 vcc, s70, v81
	v_accvgpr_read_b32 v127, a0
	v_accvgpr_read_b32 v128, a1
	;; [unrolled: 1-line block ×4, first 2 shown]
	v_accvgpr_write_b32 a0, v129
	v_accvgpr_write_b32 a1, v126
	;; [unrolled: 1-line block ×4, first 2 shown]
	v_cvt_pk_f16_f32 v128, v127, v128
	v_cvt_pk_f16_f32 v127, v150, v158
	v_mfma_f32_16x16x16_f16 a[0:3], v[116:117], v[68:69], a[0:3]
	v_perm_b32 v117, v137, v130, s19
	s_waitcnt lgkmcnt(5)
	v_perm_b32 v116, v152, v144, s19
	v_cvt_f32_f16_e32 v130, v124
	v_cvt_f32_f16_sdwa v124, v124 dst_sel:DWORD dst_unused:UNUSED_PAD src0_sel:WORD_1
	v_cvt_f32_f16_e32 v137, v123
	v_cvt_f32_f16_sdwa v123, v123 dst_sel:DWORD dst_unused:UNUSED_PAD src0_sel:WORD_1
	v_cvt_f32_f16_sdwa v144, v167 dst_sel:DWORD dst_unused:UNUSED_PAD src0_sel:WORD_1
	s_and_b64 vcc, exec, vcc
	v_accvgpr_read_b32 v125, a0
	v_accvgpr_read_b32 v126, a1
	v_accvgpr_read_b32 v129, a2
	v_accvgpr_read_b32 v136, a3
	v_accvgpr_write_b32 a0, v130
	v_accvgpr_write_b32 a1, v124
	;; [unrolled: 1-line block ×4, first 2 shown]
	v_cvt_pk_f16_f32 v126, v125, v126
	v_cvt_pk_f16_f32 v125, v129, v136
	v_mfma_f32_16x16x16_f16 a[0:3], v[116:117], v[68:69], a[0:3]
	v_perm_b32 v117, v138, v131, s19
	s_waitcnt lgkmcnt(4)
	v_perm_b32 v116, v153, v145, s19
	v_cvt_f32_f16_e32 v131, v122
	v_cvt_f32_f16_sdwa v122, v122 dst_sel:DWORD dst_unused:UNUSED_PAD src0_sel:WORD_1
	v_cvt_f32_f16_e32 v138, v121
	v_cvt_f32_f16_sdwa v121, v121 dst_sel:DWORD dst_unused:UNUSED_PAD src0_sel:WORD_1
	s_nop 0
	v_accvgpr_read_b32 v123, a0
	v_accvgpr_read_b32 v124, a1
	;; [unrolled: 1-line block ×4, first 2 shown]
	v_accvgpr_write_b32 a0, v131
	v_accvgpr_write_b32 a1, v122
	;; [unrolled: 1-line block ×4, first 2 shown]
	v_cvt_pk_f16_f32 v124, v123, v124
	v_cvt_pk_f16_f32 v123, v130, v137
	v_mfma_f32_16x16x16_f16 a[0:3], v[116:117], v[68:69], a[0:3]
	v_perm_b32 v117, v139, v132, s19
	s_waitcnt lgkmcnt(3)
	v_perm_b32 v116, v154, v146, s19
	v_cvt_f32_f16_e32 v132, v120
	v_cvt_f32_f16_sdwa v120, v120 dst_sel:DWORD dst_unused:UNUSED_PAD src0_sel:WORD_1
	v_cvt_f32_f16_e32 v139, v119
	v_cvt_f32_f16_sdwa v119, v119 dst_sel:DWORD dst_unused:UNUSED_PAD src0_sel:WORD_1
	s_nop 0
	v_accvgpr_read_b32 v121, a0
	v_accvgpr_read_b32 v122, a1
	;; [unrolled: 1-line block ×4, first 2 shown]
	v_accvgpr_write_b32 a0, v132
	v_accvgpr_write_b32 a1, v120
	;; [unrolled: 1-line block ×4, first 2 shown]
	v_cvt_pk_f16_f32 v122, v121, v122
	v_cvt_pk_f16_f32 v121, v131, v138
	v_mfma_f32_16x16x16_f16 a[0:3], v[116:117], v[68:69], a[0:3]
	v_perm_b32 v117, v140, v133, s19
	s_waitcnt lgkmcnt(2)
	v_perm_b32 v116, v155, v147, s19
	v_cvt_f32_f16_e32 v133, v166
	v_cvt_f32_f16_sdwa v140, v166 dst_sel:DWORD dst_unused:UNUSED_PAD src0_sel:WORD_1
	s_nop 2
	v_accvgpr_read_b32 v119, a0
	v_accvgpr_read_b32 v120, a1
	;; [unrolled: 1-line block ×4, first 2 shown]
	v_accvgpr_write_b32 a0, v133
	v_accvgpr_write_b32 a1, v140
	;; [unrolled: 1-line block ×4, first 2 shown]
	v_cvt_pk_f16_f32 v120, v119, v120
	v_cvt_pk_f16_f32 v119, v132, v139
	v_mfma_f32_16x16x16_f16 a[0:3], v[116:117], v[68:69], a[0:3]
	v_perm_b32 v117, v141, v134, s19
	s_waitcnt lgkmcnt(1)
	v_perm_b32 v116, v156, v148, s19
	v_cvt_f32_f16_e32 v134, v114
	v_cvt_f32_f16_sdwa v114, v114 dst_sel:DWORD dst_unused:UNUSED_PAD src0_sel:WORD_1
	v_cvt_f32_f16_e32 v141, v112
	v_cvt_f32_f16_sdwa v112, v112 dst_sel:DWORD dst_unused:UNUSED_PAD src0_sel:WORD_1
	s_nop 0
	v_accvgpr_read_b32 v133, a0
	v_accvgpr_read_b32 v140, a1
	v_accvgpr_read_b32 v143, a2
	v_accvgpr_read_b32 v144, a3
	v_accvgpr_write_b32 a0, v134
	v_accvgpr_write_b32 a1, v114
	;; [unrolled: 1-line block ×4, first 2 shown]
	s_nop 1
	v_mfma_f32_16x16x16_f16 a[0:3], v[116:117], v[68:69], a[0:3]
	v_perm_b32 v117, v142, v135, s19
	s_waitcnt lgkmcnt(0)
	v_perm_b32 v116, v157, v149, s19
	v_cvt_f32_f16_e32 v135, v110
	v_cvt_f32_f16_sdwa v110, v110 dst_sel:DWORD dst_unused:UNUSED_PAD src0_sel:WORD_1
	v_cvt_f32_f16_e32 v142, v109
	v_cvt_f32_f16_sdwa v109, v109 dst_sel:DWORD dst_unused:UNUSED_PAD src0_sel:WORD_1
	s_nop 0
	v_accvgpr_read_b32 v112, a0
	v_accvgpr_read_b32 v114, a1
	;; [unrolled: 1-line block ×4, first 2 shown]
	v_accvgpr_write_b32 a0, v135
	v_accvgpr_write_b32 a1, v110
	;; [unrolled: 1-line block ×4, first 2 shown]
	v_cvt_pk_f16_f32 v114, v112, v114
	v_cvt_pk_f16_f32 v112, v134, v141
	v_mfma_f32_16x16x16_f16 a[0:3], v[116:117], v[68:69], a[0:3]
	ds_read_u16 v109, v111 offset:1312
	ds_read_u16 v146, v111 offset:1344
	;; [unrolled: 1-line block ×16, first 2 shown]
	s_waitcnt lgkmcnt(7)
	v_perm_b32 v117, v116, v109, s19
	ds_read_u16 v109, v111 offset:256
	ds_read_u16 v162, v111 offset:288
	;; [unrolled: 1-line block ×16, first 2 shown]
	s_waitcnt lgkmcnt(7)
	v_perm_b32 v116, v116, v109, s19
	v_cvt_f32_f16_e32 v109, v169
	v_cvt_f32_f16_sdwa v169, v169 dst_sel:DWORD dst_unused:UNUSED_PAD src0_sel:WORD_1
	v_accvgpr_read_b32 v110, a0
	v_accvgpr_read_b32 v135, a1
	;; [unrolled: 1-line block ×4, first 2 shown]
	v_accvgpr_write_b32 a0, v109
	v_accvgpr_write_b32 a1, v169
	;; [unrolled: 1-line block ×4, first 2 shown]
	v_cvt_f32_f16_e32 v109, v108
	v_cvt_f32_f16_sdwa v108, v108 dst_sel:DWORD dst_unused:UNUSED_PAD src0_sel:WORD_1
	v_mfma_f32_16x16x16_f16 a[0:3], v[116:117], v[68:69], a[0:3]
	v_perm_b32 v117, v154, v146, s19
	s_waitcnt lgkmcnt(6)
	v_perm_b32 v116, v172, v162, s19
	v_cvt_f32_f16_e32 v146, v107
	v_cvt_f32_f16_sdwa v107, v107 dst_sel:DWORD dst_unused:UNUSED_PAD src0_sel:WORD_1
	v_cvt_pk_f16_f32 v110, v110, v135
	s_waitcnt lgkmcnt(0)
	s_barrier
	v_accvgpr_read_b32 v169, a0
	v_accvgpr_read_b32 v170, a1
	v_accvgpr_read_b32 v179, a2
	v_accvgpr_read_b32 v180, a3
	v_accvgpr_write_b32 a0, v109
	v_accvgpr_write_b32 a1, v108
	v_accvgpr_write_b32 a2, v146
	v_accvgpr_write_b32 a3, v107
	v_perm_b32 v109, v155, v147, s19
	v_perm_b32 v108, v173, v163, s19
	v_mfma_f32_16x16x16_f16 a[0:3], v[116:117], v[68:69], a[0:3]
	v_cvt_f32_f16_e32 v107, v106
	v_cvt_f32_f16_sdwa v106, v106 dst_sel:DWORD dst_unused:UNUSED_PAD src0_sel:WORD_1
	v_cvt_f32_f16_e32 v147, v105
	v_cvt_f32_f16_sdwa v105, v105 dst_sel:DWORD dst_unused:UNUSED_PAD src0_sel:WORD_1
	s_nop 3
	v_accvgpr_read_b32 v116, a0
	v_accvgpr_read_b32 v117, a1
	v_accvgpr_read_b32 v146, a2
	v_accvgpr_read_b32 v154, a3
	v_accvgpr_write_b32 a0, v107
	v_accvgpr_write_b32 a1, v106
	v_accvgpr_write_b32 a2, v147
	v_accvgpr_write_b32 a3, v105
	v_perm_b32 v107, v156, v148, s19
	v_perm_b32 v106, v174, v164, s19
	v_mfma_f32_16x16x16_f16 a[0:3], v[108:109], v[68:69], a[0:3]
	v_cvt_f32_f16_e32 v105, v104
	v_cvt_f32_f16_sdwa v104, v104 dst_sel:DWORD dst_unused:UNUSED_PAD src0_sel:WORD_1
	v_cvt_f32_f16_e32 v148, v103
	v_cvt_f32_f16_sdwa v103, v103 dst_sel:DWORD dst_unused:UNUSED_PAD src0_sel:WORD_1
	s_nop 3
	;; [unrolled: 16-line block ×3, first 2 shown]
	v_accvgpr_read_b32 v106, a0
	v_accvgpr_read_b32 v107, a1
	;; [unrolled: 1-line block ×4, first 2 shown]
	v_accvgpr_write_b32 a0, v103
	v_accvgpr_write_b32 a1, v102
	;; [unrolled: 1-line block ×4, first 2 shown]
	v_perm_b32 v103, v159, v151, s19
	v_perm_b32 v102, v176, v166, s19
	v_mfma_f32_16x16x16_f16 a[0:3], v[104:105], v[68:69], a[0:3]
	v_cvt_f32_f16_e32 v101, v100
	v_cvt_f32_f16_sdwa v100, v100 dst_sel:DWORD dst_unused:UNUSED_PAD src0_sel:WORD_1
	v_cvt_f32_f16_e32 v151, v99
	v_cvt_f32_f16_sdwa v99, v99 dst_sel:DWORD dst_unused:UNUSED_PAD src0_sel:WORD_1
	;; [unrolled: 2-line block ×3, first 2 shown]
	s_nop 1
	v_accvgpr_read_b32 v104, a0
	v_accvgpr_read_b32 v105, a1
	;; [unrolled: 1-line block ×4, first 2 shown]
	v_accvgpr_write_b32 a0, v101
	v_accvgpr_write_b32 a1, v100
	;; [unrolled: 1-line block ×4, first 2 shown]
	v_perm_b32 v101, v160, v152, s19
	v_perm_b32 v100, v177, v167, s19
	v_mfma_f32_16x16x16_f16 a[0:3], v[102:103], v[68:69], a[0:3]
	v_cvt_f32_f16_e32 v152, v96
	v_cvt_f32_f16_sdwa v96, v96 dst_sel:DWORD dst_unused:UNUSED_PAD src0_sel:WORD_1
	v_cvt_f32_f16_e32 v160, v93
	v_cvt_f32_f16_sdwa v93, v93 dst_sel:DWORD dst_unused:UNUSED_PAD src0_sel:WORD_1
	s_nop 3
	v_accvgpr_read_b32 v99, a0
	v_accvgpr_read_b32 v102, a1
	v_accvgpr_read_b32 v103, a2
	v_accvgpr_read_b32 v151, a3
	v_accvgpr_write_b32 a0, v152
	v_accvgpr_write_b32 a1, v96
	;; [unrolled: 1-line block ×4, first 2 shown]
	s_nop 1
	v_mfma_f32_16x16x16_f16 a[0:3], v[100:101], v[68:69], a[0:3]
	v_perm_b32 v101, v161, v153, s19
	v_perm_b32 v100, v178, v171, s19
	v_cvt_f32_f16_e32 v153, v94
	v_cvt_f32_f16_sdwa v94, v94 dst_sel:DWORD dst_unused:UNUSED_PAD src0_sel:WORD_1
	s_nop 3
	v_accvgpr_read_b32 v95, a0
	v_accvgpr_read_b32 v96, a1
	;; [unrolled: 1-line block ×4, first 2 shown]
	v_accvgpr_write_b32 a0, v153
	v_accvgpr_write_b32 a1, v94
	;; [unrolled: 1-line block ×4, first 2 shown]
	s_nop 1
	v_mfma_f32_16x16x16_f16 a[0:3], v[100:101], v[68:69], a[0:3]
	v_cvt_pk_f16_f32 v100, v104, v105
	v_cvt_pk_f16_f32 v101, v148, v156
	v_cvt_pk_f16_f32 v104, v108, v109
	v_cvt_pk_f16_f32 v105, v146, v154
	v_cvt_pk_f16_f32 v108, v169, v170
	v_cvt_pk_f16_f32 v109, v142, v145
	s_nop 1
	v_accvgpr_read_b32 v68, a0
	v_accvgpr_read_b32 v69, a1
	;; [unrolled: 1-line block ×4, first 2 shown]
	v_cvt_pk_f16_f32 v69, v68, v69
	v_cvt_pk_f16_f32 v68, v93, v94
	;; [unrolled: 1-line block ×13, first 2 shown]
	s_cbranch_vccz .LBB29_266
; %bb.262:                              ;   in Loop: Header=BB29_261 Depth=1
	v_mov_b32_e32 v129, v80
	v_mov_b32_e32 v80, v79
	s_ashr_i32 s7, s6, 31
	s_and_saveexec_b64 s[8:9], s[0:1]
	s_cbranch_execnz .LBB29_260
	s_branch .LBB29_261
.LBB29_263:
                                        ; implicit-def: $sgpr54_sgpr55
	s_load_dwordx2 s[50:51], s[0:1], 0x74
	v_cvt_f32_u32_e32 v1, s33
	s_branch .LBB29_2
.LBB29_264:
                                        ; implicit-def: $sgpr6_sgpr7
	s_load_dwordx2 s[34:35], s[0:1], 0x5c
	v_mov_b64_e32 v[38:39], s[6:7]
	s_branch .LBB29_5
.LBB29_265:
	v_mov_b32_e32 v79, 0xfeffffff
	v_mov_b32_e32 v80, 0
	;; [unrolled: 1-line block ×34, first 2 shown]
.LBB29_266:
	s_lshl_b32 s0, s70, 6
	s_ashr_i32 s1, s0, 31
	v_cmp_gt_u32_e32 vcc, 4, v78
	s_and_saveexec_b64 s[6:7], vcc
	s_cbranch_execz .LBB29_268
; %bb.267:
	v_or_b32_e32 v36, s11, v78
	v_mul_hi_u32 v37, s34, v36
	v_add_u32_e32 v37, v36, v37
	v_lshrrev_b32_e32 v37, s35, v37
	s_lshl_b64 s[8:9], s[0:1], 1
	v_mul_lo_u32 v37, v37, s36
	s_add_u32 s4, s4, s8
	v_sub_u32_e32 v37, v36, v37
	s_addc_u32 s5, s5, s9
	v_lshlrev_b32_e32 v36, 2, v70
	v_mad_i64_i32 v[38:39], s[8:9], v37, s44, 0
	v_and_b32_e32 v36, 0x7c, v36
	v_lshl_add_u64 v[38:39], v[38:39], 1, s[4:5]
	v_mov_b32_e32 v37, 0
	v_lshl_add_u64 v[38:39], v[38:39], 0, v[36:37]
	global_load_dword v37, v[38:39], off
	v_mul_u32_u24_e32 v38, 0x90, v78
	v_add3_u32 v36, 0, v38, v36
	s_waitcnt vmcnt(0)
	ds_write_b32 v36, v37 offset:33792
.LBB29_268:
	s_or_b64 exec, exec, s[6:7]
	s_mul_hi_i32 s5, s0, s38
	s_mul_i32 s4, s0, s38
	s_lshl_b64 s[4:5], s[4:5], 2
	s_add_u32 s4, s12, s4
	s_addc_u32 s5, s13, s5
	s_lshl_b32 s1, s38, 3
	v_lshlrev_b32_e32 v36, 4, v70
	v_lshl_add_u64 v[38:39], v[34:35], 2, s[4:5]
	v_add_u32_e32 v34, s1, v34
	v_and_b32_e32 v36, 0x1f0, v36
	v_mov_b32_e32 v37, 0
	v_ashrrev_i32_e32 v35, 31, v34
	v_lshl_add_u64 v[66:67], v[38:39], 0, v[36:37]
	v_lshl_add_u64 v[38:39], v[34:35], 2, s[4:5]
	v_add_u32_e32 v34, s1, v34
	v_ashrrev_i32_e32 v35, 31, v34
	v_lshl_add_u64 v[82:83], v[38:39], 0, v[36:37]
	v_lshl_add_u64 v[38:39], v[34:35], 2, s[4:5]
	v_add_u32_e32 v34, s1, v34
	;; [unrolled: 4-line block ×6, first 2 shown]
	v_ashrrev_i32_e32 v35, 31, v34
	v_lshl_add_u64 v[34:35], v[34:35], 2, s[4:5]
	v_lshl_add_u64 v[132:133], v[38:39], 0, v[36:37]
	;; [unrolled: 1-line block ×3, first 2 shown]
	global_load_dwordx4 v[38:41], v[66:67], off
	global_load_dwordx4 v[42:45], v[82:83], off
	;; [unrolled: 1-line block ×7, first 2 shown]
                                        ; kill: killed $vgpr132_vgpr133
                                        ; kill: killed $vgpr130_vgpr131
                                        ; kill: killed $vgpr90_vgpr91
                                        ; kill: killed $vgpr88_vgpr89
                                        ; kill: killed $vgpr86_vgpr87
                                        ; kill: killed $vgpr82_vgpr83
                                        ; kill: killed $vgpr66_vgpr67
	s_nop 0
	global_load_dwordx4 v[86:89], v[34:35], off
	s_movk_i32 s6, 0x210
	v_and_b32_e32 v35, 48, v186
	v_mul_u32_u24_e32 v34, 0x210, v78
	v_mad_u32_u24 v66, v35, s6, 0
	v_add3_u32 v78, 0, v34, v36
	v_add3_u32 v34, v66, v77, v73
	s_movk_i32 s8, 0x90
	s_mov_b32 s9, 0x8400
	s_mul_hi_i32 s1, s0, s14
	s_mul_i32 s0, s0, s14
	s_lshl_b64 s[0:1], s[0:1], 2
	s_add_u32 s0, s3, s0
	s_addc_u32 s1, s10, s1
	s_lshl_b32 s3, s14, 3
	s_mov_b32 s5, 0x3fb8aa3b
	s_mov_b32 s7, 0xc2ce8ed0
	;; [unrolled: 1-line block ×3, first 2 shown]
	s_waitcnt vmcnt(7)
	ds_write_b128 v78, v[38:41]
	s_waitcnt vmcnt(6)
	ds_write_b128 v78, v[42:45] offset:4224
	s_waitcnt vmcnt(5)
	ds_write_b128 v78, v[46:49] offset:8448
	;; [unrolled: 2-line block ×7, first 2 shown]
	s_waitcnt lgkmcnt(0)
	s_barrier
	ds_read2_b64 v[38:41], v34 offset1:4
	ds_read2_b64 v[42:45], v34 offset0:8 offset1:12
	s_waitcnt lgkmcnt(1)
	v_mfma_f32_16x16x16_f16 a[0:3], v[38:39], v[28:29], 0
	v_and_b32_e32 v50, 0xfc, v75
	v_mbcnt_hi_u32_b32 v39, -1, v191
	v_lshrrev_b32_e32 v38, 2, v76
	v_mfma_f32_16x16x16_f16 a[0:3], v[40:41], v[30:31], a[0:3]
	ds_read2_b64 v[28:31], v34 offset0:16 offset1:20
	v_mov_b32_e32 v51, 0x7f800000
	s_waitcnt lgkmcnt(1)
	v_mfma_f32_16x16x16_f16 a[0:3], v[42:43], v[24:25], a[0:3]
	v_mfma_f32_16x16x16_f16 a[0:3], v[44:45], v[26:27], a[0:3]
	ds_read2_b64 v[24:27], v34 offset0:24 offset1:28
	s_waitcnt lgkmcnt(1)
	v_mfma_f32_16x16x16_f16 a[0:3], v[28:29], v[20:21], a[0:3]
	v_add_u16_e32 v29, v35, v50
	v_and_b32_e32 v35, 64, v39
	v_mad_u32_u24 v28, v38, s8, 0
	v_mfma_f32_16x16x16_f16 a[0:3], v[30:31], v[22:23], a[0:3]
	ds_read2_b64 v[20:23], v34 offset0:32 offset1:36
	v_xor_b32_e32 v30, 32, v39
	v_xor_b32_e32 v31, 16, v39
	s_waitcnt lgkmcnt(1)
	v_mfma_f32_16x16x16_f16 a[0:3], v[24:25], v[16:17], a[0:3]
	v_lshrrev_b16_e32 v16, 1, v29
	v_lshlrev_b32_e32 v25, 2, v16
	v_add_u32_e32 v24, 64, v35
	v_mfma_f32_16x16x16_f16 a[0:3], v[26:27], v[18:19], a[0:3]
	ds_read2_b64 v[16:19], v34 offset0:40 offset1:44
	v_cmp_lt_i32_e32 vcc, v30, v24
	v_mul_u32_u24_e32 v50, 0x210, v50
	s_waitcnt lgkmcnt(1)
	v_mfma_f32_16x16x16_f16 a[0:3], v[20:21], v[12:13], a[0:3]
	v_cndmask_b32_e32 v26, v39, v30, vcc
	v_cmp_lt_i32_e32 vcc, v31, v24
	v_add3_u32 v20, v28, v25, s9
	v_mfma_f32_16x16x16_f16 a[0:3], v[22:23], v[14:15], a[0:3]
	v_cndmask_b32_e32 v12, v39, v31, vcc
	v_lshlrev_b32_e32 v65, 2, v12
	ds_read2_b64 v[12:15], v34 offset0:48 offset1:52
	s_waitcnt lgkmcnt(1)
	v_mfma_f32_16x16x16_f16 a[0:3], v[16:17], v[8:9], a[0:3]
	v_lshlrev_b32_e32 v67, 2, v26
	v_mfma_f32_16x16x16_f16 a[0:3], v[18:19], v[10:11], a[0:3]
	ds_read2_b64 v[8:11], v34 offset0:56 offset1:60
	s_waitcnt lgkmcnt(0)
	s_barrier
	v_mfma_f32_16x16x16_f16 a[0:3], v[12:13], v[4:5], a[0:3]
	ds_read2_b32 v[4:5], v20 offset1:1
	v_lshl_add_u64 v[12:13], v[32:33], 2, s[0:1]
	v_mfma_f32_16x16x16_f16 a[0:3], v[14:15], v[6:7], a[0:3]
	v_add_u32_e32 v6, s3, v32
	v_lshl_add_u64 v[38:39], v[12:13], 0, v[36:37]
	s_waitcnt lgkmcnt(0)
	v_cvt_f32_f16_e32 v7, v4
	v_mfma_f32_16x16x16_f16 a[0:3], v[8:9], v[0:1], a[0:3]
	v_cvt_f32_f16_sdwa v0, v4 dst_sel:DWORD dst_unused:UNUSED_PAD src0_sel:WORD_1
	v_cvt_f32_f16_e32 v1, v5
	v_cvt_f32_f16_sdwa v4, v5 dst_sel:DWORD dst_unused:UNUSED_PAD src0_sel:WORD_1
	v_mfma_f32_16x16x16_f16 a[0:3], v[10:11], v[2:3], a[0:3]
	s_nop 7
	v_accvgpr_read_b32 v2, a0
	v_accvgpr_read_b32 v3, a1
	;; [unrolled: 1-line block ×4, first 2 shown]
	v_add_f32_e32 v9, v2, v7
	v_add_f32_e32 v10, v3, v0
	;; [unrolled: 1-line block ×8, first 2 shown]
	v_max3_f32 v0, v79, v0, v1
	v_max3_f32 v4, v0, v2, v3
	ds_bpermute_b32 v5, v67, v4
	v_ashrrev_i32_e32 v7, 31, v6
	v_add_u32_e32 v0, s3, v6
	v_lshl_add_u64 v[2:3], v[6:7], 2, s[0:1]
	v_lshl_add_u64 v[40:41], v[2:3], 0, v[36:37]
	s_waitcnt lgkmcnt(0)
	v_max_f32_e32 v5, v5, v5
	v_max_f32_e32 v6, v4, v5
	ds_bpermute_b32 v7, v65, v6
	v_add_u32_e32 v4, s3, v0
	v_ashrrev_i32_e32 v5, 31, v4
	v_ashrrev_i32_e32 v1, 31, v0
	v_lshl_add_u64 v[0:1], v[0:1], 2, s[0:1]
	s_waitcnt lgkmcnt(0)
	v_max_f32_e32 v2, v7, v7
	v_max_f32_e32 v2, v6, v2
	v_sub_f32_e32 v3, v9, v2
	v_sub_f32_e32 v6, v10, v2
	v_mul_f32_e32 v7, 0x3fb8aa3b, v3
	v_sub_f32_e32 v53, v11, v2
	v_mul_f32_e32 v8, 0x3fb8aa3b, v6
	v_fma_f32 v10, v3, s5, -v7
	v_rndne_f32_e32 v11, v7
	v_mul_f32_e32 v9, 0x3fb8aa3b, v53
	v_fma_f32 v12, v6, s5, -v8
	v_rndne_f32_e32 v13, v8
	v_fmac_f32_e32 v10, 0x32a5705f, v3
	v_sub_f32_e32 v7, v7, v11
	v_fma_f32 v14, v53, s5, -v9
	v_rndne_f32_e32 v15, v9
	v_fmac_f32_e32 v12, 0x32a5705f, v6
	v_sub_f32_e32 v8, v8, v13
	v_add_f32_e32 v7, v7, v10
	v_cvt_i32_f32_e32 v11, v11
	v_fmac_f32_e32 v14, 0x32a5705f, v53
	v_sub_f32_e32 v9, v9, v15
	v_add_f32_e32 v8, v8, v12
	v_exp_f32_e32 v7, v7
	v_cvt_i32_f32_e32 v13, v13
	v_add_f32_e32 v9, v9, v14
	v_exp_f32_e32 v8, v8
	v_cvt_i32_f32_e32 v15, v15
	v_exp_f32_e32 v9, v9
	v_ldexp_f32 v7, v7, v11
	v_cmp_ngt_f32_e32 vcc, s7, v3
	v_ldexp_f32 v8, v8, v13
	v_ldexp_f32 v9, v9, v15
	v_cndmask_b32_e32 v7, 0, v7, vcc
	v_cmp_ngt_f32_e32 vcc, s7, v6
	v_lshl_add_u64 v[0:1], v[0:1], 0, v[36:37]
	s_nop 0
	v_cndmask_b32_e32 v8, 0, v8, vcc
	v_cmp_ngt_f32_e32 vcc, s7, v53
	s_nop 1
	v_cndmask_b32_e32 v54, 0, v9, vcc
	v_cmp_nlt_f32_e32 vcc, s4, v3
	s_nop 1
	v_cndmask_b32_e32 v55, v51, v7, vcc
	v_cmp_nlt_f32_e32 vcc, s4, v6
	v_lshl_add_u64 v[6:7], v[4:5], 2, s[0:1]
	v_add_u32_e32 v4, s3, v4
	v_ashrrev_i32_e32 v5, 31, v4
	v_lshl_add_u64 v[42:43], v[6:7], 0, v[36:37]
	v_lshl_add_u64 v[6:7], v[4:5], 2, s[0:1]
	v_add_u32_e32 v4, s3, v4
	v_ashrrev_i32_e32 v5, 31, v4
	v_lshl_add_u64 v[44:45], v[6:7], 0, v[36:37]
	;; [unrolled: 4-line block ×4, first 2 shown]
	v_cndmask_b32_e32 v56, v51, v8, vcc
	v_lshl_add_u64 v[48:49], v[6:7], 0, v[36:37]
	v_lshl_add_u64 v[36:37], v[4:5], 0, v[36:37]
	global_load_dwordx4 v[4:7], v[38:39], off
	global_load_dwordx4 v[8:11], v[40:41], off
	;; [unrolled: 1-line block ×8, first 2 shown]
	v_cmp_nlt_f32_e32 vcc, s4, v53
	v_add_f32_e32 v3, v55, v56
	s_mov_b32 s0, 0xc1a00000
	v_cndmask_b32_e32 v0, v51, v54, vcc
	v_add_f32_e32 v1, v0, v3
	v_sub_f32_e32 v3, v52, v2
	v_mul_f32_e32 v36, 0x3fb8aa3b, v3
	v_fma_f32 v37, v3, s5, -v36
	v_rndne_f32_e32 v38, v36
	v_fmac_f32_e32 v37, 0x32a5705f, v3
	v_sub_f32_e32 v36, v36, v38
	v_add_f32_e32 v36, v36, v37
	v_cvt_i32_f32_e32 v37, v38
	v_sub_f32_e32 v38, v79, v2
	v_mul_f32_e32 v39, 0x3fb8aa3b, v38
	v_fma_f32 v40, v38, s5, -v39
	v_rndne_f32_e32 v41, v39
	v_fmac_f32_e32 v40, 0x32a5705f, v38
	v_sub_f32_e32 v39, v39, v41
	v_exp_f32_e32 v36, v36
	v_add_f32_e32 v39, v39, v40
	v_exp_f32_e32 v39, v39
	v_cvt_i32_f32_e32 v40, v41
	v_ldexp_f32 v36, v36, v37
	v_cmp_ngt_f32_e32 vcc, s7, v3
	s_waitcnt vmcnt(7)
	ds_write_b128 v78, v[4:7]
	s_waitcnt vmcnt(6)
	ds_write_b128 v78, v[8:11] offset:4224
	s_waitcnt vmcnt(5)
	ds_write_b128 v78, v[12:15] offset:8448
	;; [unrolled: 2-line block ×7, first 2 shown]
	v_cndmask_b32_e32 v36, 0, v36, vcc
	v_ldexp_f32 v37, v39, v40
	v_cmp_ngt_f32_e32 vcc, s7, v38
	v_add3_u32 v6, v66, v50, v74
	s_waitcnt lgkmcnt(0)
	v_cndmask_b32_e32 v37, 0, v37, vcc
	v_cmp_nlt_f32_e32 vcc, s4, v38
	s_barrier
	s_nop 0
	v_cndmask_b32_e32 v37, v51, v37, vcc
	v_cmp_le_f32_e32 vcc, s0, v38
	s_mov_b32 s0, 0x5040100
	s_nop 0
	v_cndmask_b32_e32 v37, 0, v37, vcc
	v_cvt_f16_f32_e32 v38, v37
	v_cmp_nlt_f32_e32 vcc, s4, v3
	s_nop 1
	v_cndmask_b32_e32 v36, v51, v36, vcc
	v_add_f32_e32 v3, v36, v1
	v_mul_u32_u24_e32 v1, 0x10001, v38
	v_fmac_f32_e32 v3, v80, v37
	v_pk_mul_f16 v37, v128, v1
	v_pk_mul_f16 v38, v127, v1
	v_pk_mul_f16 v39, v126, v1
	v_pk_mul_f16 v40, v125, v1
	v_pk_mul_f16 v41, v124, v1
	v_pk_mul_f16 v42, v123, v1
	v_pk_mul_f16 v43, v122, v1
	v_pk_mul_f16 v44, v121, v1
	v_pk_mul_f16 v45, v120, v1
	v_pk_mul_f16 v46, v119, v1
	v_pk_mul_f16 v47, v117, v1
	v_pk_mul_f16 v48, v116, v1
	v_pk_mul_f16 v49, v114, v1
	v_pk_mul_f16 v51, v112, v1
	v_pk_mul_f16 v52, v110, v1
	v_pk_mul_f16 v53, v109, v1
	v_pk_mul_f16 v54, v108, v1
	v_pk_mul_f16 v57, v107, v1
	v_pk_mul_f16 v58, v106, v1
	v_pk_mul_f16 v59, v105, v1
	v_pk_mul_f16 v60, v104, v1
	v_pk_mul_f16 v61, v103, v1
	v_pk_mul_f16 v62, v102, v1
	v_pk_mul_f16 v63, v101, v1
	v_pk_mul_f16 v64, v100, v1
	v_pk_mul_f16 v76, v99, v1
	v_pk_mul_f16 v77, v96, v1
	v_pk_mul_f16 v79, v95, v1
	v_pk_mul_f16 v80, v94, v1
	v_pk_mul_f16 v81, v93, v1
	v_pk_mul_f16 v69, v69, v1
	v_pk_mul_f16 v68, v68, v1
	v_or_b32_e32 v1, 3, v75
	v_mul_u32_u24_e32 v75, 0x210, v1
	v_add3_u32 v7, v66, v75, v74
	ds_read_u16 v4, v6 offset:1056
	ds_read_u16 v8, v6 offset:1088
	;; [unrolled: 1-line block ×8, first 2 shown]
	ds_read_u16 v5, v7
	ds_read_u16 v15, v7 offset:32
	ds_read_u16 v16, v7 offset:64
	;; [unrolled: 1-line block ×7, first 2 shown]
	v_cvt_pk_f16_f32 v1, v0, v36
	s_waitcnt lgkmcnt(7)
	v_perm_b32 v5, v5, v4, s0
	ds_read_u16 v4, v6
	ds_read_u16 v22, v6 offset:32
	ds_read_u16 v23, v6 offset:64
	ds_read_u16 v24, v6 offset:96
	ds_read_u16 v25, v6 offset:128
	ds_read_u16 v26, v6 offset:160
	ds_read_u16 v27, v6 offset:192
	ds_read_u16 v28, v6 offset:224
	ds_read_u16 v29, v6 offset:528
	ds_read_u16 v30, v6 offset:560
	ds_read_u16 v31, v6 offset:592
	ds_read_u16 v32, v6 offset:624
	ds_read_u16 v33, v6 offset:656
	ds_read_u16 v34, v6 offset:688
	ds_read_u16 v35, v6 offset:720
	ds_read_u16 v36, v6 offset:752
	s_waitcnt lgkmcnt(7)
	v_perm_b32 v4, v29, v4, s0
	v_cvt_f32_f16_e32 v29, v37
	v_cvt_f32_f16_sdwa v37, v37 dst_sel:DWORD dst_unused:UNUSED_PAD src0_sel:WORD_1
	v_cvt_f32_f16_e32 v50, v38
	v_cvt_f32_f16_sdwa v38, v38 dst_sel:DWORD dst_unused:UNUSED_PAD src0_sel:WORD_1
	v_cvt_pk_f16_f32 v0, v55, v56
	v_accvgpr_write_b32 a0, v29
	v_accvgpr_write_b32 a1, v37
	;; [unrolled: 1-line block ×4, first 2 shown]
	v_cvt_f32_f16_sdwa v29, v40 dst_sel:DWORD dst_unused:UNUSED_PAD src0_sel:WORD_1
	v_cvt_f32_f16_sdwa v37, v57 dst_sel:DWORD dst_unused:UNUSED_PAD src0_sel:WORD_1
	v_mfma_f32_16x16x16_f16 a[0:3], v[4:5], v[0:1], a[0:3]
	v_perm_b32 v5, v15, v8, s0
	s_waitcnt lgkmcnt(6)
	v_perm_b32 v4, v30, v22, s0
	v_cvt_f32_f16_e32 v8, v39
	v_cvt_f32_f16_sdwa v15, v39 dst_sel:DWORD dst_unused:UNUSED_PAD src0_sel:WORD_1
	v_cvt_f32_f16_e32 v22, v40
	v_accvgpr_write_b32 a7, v29
	v_accvgpr_write_b32 a4, v8
	;; [unrolled: 1-line block ×4, first 2 shown]
	v_cvt_f32_f16_e32 v8, v41
	v_cvt_f32_f16_e32 v15, v42
	v_mfma_f32_16x16x16_f16 a[4:7], v[4:5], v[0:1], a[4:7]
	v_perm_b32 v5, v16, v9, s0
	s_waitcnt lgkmcnt(5)
	v_perm_b32 v4, v31, v23, s0
	v_cvt_f32_f16_sdwa v9, v41 dst_sel:DWORD dst_unused:UNUSED_PAD src0_sel:WORD_1
	v_cvt_f32_f16_sdwa v16, v42 dst_sel:DWORD dst_unused:UNUSED_PAD src0_sel:WORD_1
	v_accvgpr_write_b32 a8, v8
	v_accvgpr_write_b32 a10, v15
	v_accvgpr_write_b32 a9, v9
	v_accvgpr_write_b32 a11, v16
	v_cvt_f32_f16_e32 v8, v43
	v_cvt_f32_f16_sdwa v9, v43 dst_sel:DWORD dst_unused:UNUSED_PAD src0_sel:WORD_1
	v_mfma_f32_16x16x16_f16 a[8:11], v[4:5], v[0:1], a[8:11]
	v_perm_b32 v5, v17, v10, s0
	s_waitcnt lgkmcnt(4)
	v_perm_b32 v4, v32, v24, s0
	v_cvt_f32_f16_e32 v10, v44
	v_cvt_f32_f16_sdwa v15, v44 dst_sel:DWORD dst_unused:UNUSED_PAD src0_sel:WORD_1
	v_accvgpr_write_b32 a12, v8
	v_accvgpr_write_b32 a13, v9
	v_accvgpr_write_b32 a14, v10
	v_accvgpr_write_b32 a15, v15
	v_cvt_f32_f16_e32 v8, v45
	v_cvt_f32_f16_sdwa v9, v45 dst_sel:DWORD dst_unused:UNUSED_PAD src0_sel:WORD_1
	v_mfma_f32_16x16x16_f16 a[12:15], v[4:5], v[0:1], a[12:15]
	v_perm_b32 v5, v18, v11, s0
	s_waitcnt lgkmcnt(3)
	v_perm_b32 v4, v33, v25, s0
	v_cvt_f32_f16_e32 v10, v46
	;; [unrolled: 12-line block ×5, first 2 shown]
	v_cvt_f32_f16_sdwa v11, v53 dst_sel:DWORD dst_unused:UNUSED_PAD src0_sel:WORD_1
	v_accvgpr_write_b32 a28, v8
	v_accvgpr_write_b32 a29, v9
	;; [unrolled: 1-line block ×4, first 2 shown]
	v_cvt_f32_f16_sdwa v35, v54 dst_sel:DWORD dst_unused:UNUSED_PAD src0_sel:WORD_1
	v_cvt_f32_f16_e32 v36, v57
	v_mfma_f32_16x16x16_f16 a[28:31], v[4:5], v[0:1], a[28:31]
	ds_read_u16 v4, v6 offset:1312
	ds_read_u16 v8, v6 offset:1344
	;; [unrolled: 1-line block ×16, first 2 shown]
	s_waitcnt lgkmcnt(7)
	v_perm_b32 v5, v5, v4, s0
	ds_read_u16 v4, v6 offset:256
	ds_read_u16 v21, v6 offset:288
	;; [unrolled: 1-line block ×16, first 2 shown]
	s_waitcnt lgkmcnt(7)
	v_perm_b32 v4, v28, v4, s0
	v_cvt_f32_f16_e32 v28, v54
	v_accvgpr_write_b32 a33, v35
	v_accvgpr_write_b32 a34, v36
	;; [unrolled: 1-line block ×4, first 2 shown]
	v_cvt_f32_f16_sdwa v28, v59 dst_sel:DWORD dst_unused:UNUSED_PAD src0_sel:WORD_1
	s_waitcnt lgkmcnt(0)
	v_mfma_f32_16x16x16_f16 a[32:35], v[4:5], v[0:1], a[32:35]
	v_perm_b32 v5, v15, v8, s0
	v_perm_b32 v4, v29, v21, s0
	v_cvt_f32_f16_e32 v8, v58
	v_cvt_f32_f16_sdwa v15, v58 dst_sel:DWORD dst_unused:UNUSED_PAD src0_sel:WORD_1
	v_cvt_f32_f16_e32 v21, v59
	v_accvgpr_write_b32 a39, v28
	v_accvgpr_write_b32 a36, v8
	;; [unrolled: 1-line block ×4, first 2 shown]
	v_cvt_f32_f16_e32 v8, v60
	v_cvt_f32_f16_e32 v15, v61
	v_mfma_f32_16x16x16_f16 a[36:39], v[4:5], v[0:1], a[36:39]
	v_perm_b32 v5, v16, v9, s0
	v_perm_b32 v4, v30, v22, s0
	v_cvt_f32_f16_sdwa v9, v60 dst_sel:DWORD dst_unused:UNUSED_PAD src0_sel:WORD_1
	v_cvt_f32_f16_sdwa v16, v61 dst_sel:DWORD dst_unused:UNUSED_PAD src0_sel:WORD_1
	v_accvgpr_write_b32 a40, v8
	v_accvgpr_write_b32 a42, v15
	v_accvgpr_write_b32 a41, v9
	v_accvgpr_write_b32 a43, v16
	v_cvt_f32_f16_e32 v8, v62
	v_cvt_f32_f16_sdwa v9, v62 dst_sel:DWORD dst_unused:UNUSED_PAD src0_sel:WORD_1
	v_mfma_f32_16x16x16_f16 a[40:43], v[4:5], v[0:1], a[40:43]
	v_perm_b32 v5, v17, v10, s0
	v_perm_b32 v4, v31, v23, s0
	v_cvt_f32_f16_e32 v10, v63
	v_cvt_f32_f16_sdwa v15, v63 dst_sel:DWORD dst_unused:UNUSED_PAD src0_sel:WORD_1
	v_accvgpr_write_b32 a44, v8
	v_accvgpr_write_b32 a45, v9
	v_accvgpr_write_b32 a46, v10
	v_accvgpr_write_b32 a47, v15
	v_cvt_f32_f16_e32 v8, v64
	v_cvt_f32_f16_sdwa v9, v64 dst_sel:DWORD dst_unused:UNUSED_PAD src0_sel:WORD_1
	v_mfma_f32_16x16x16_f16 a[44:47], v[4:5], v[0:1], a[44:47]
	v_perm_b32 v5, v18, v11, s0
	v_perm_b32 v4, v32, v24, s0
	v_cvt_f32_f16_e32 v10, v76
	;; [unrolled: 11-line block ×4, first 2 shown]
	v_cvt_f32_f16_sdwa v11, v81 dst_sel:DWORD dst_unused:UNUSED_PAD src0_sel:WORD_1
	v_accvgpr_write_b32 a56, v8
	v_accvgpr_write_b32 a57, v9
	;; [unrolled: 1-line block ×4, first 2 shown]
	v_cvt_f32_f16_e32 v8, v68
	v_cvt_f32_f16_sdwa v9, v68 dst_sel:DWORD dst_unused:UNUSED_PAD src0_sel:WORD_1
	v_mfma_f32_16x16x16_f16 a[56:59], v[4:5], v[0:1], a[56:59]
	v_perm_b32 v4, v6, v27, s0
	v_cvt_f32_f16_e32 v6, v69
	v_perm_b32 v5, v7, v14, s0
	v_cvt_f32_f16_sdwa v7, v69 dst_sel:DWORD dst_unused:UNUSED_PAD src0_sel:WORD_1
	v_accvgpr_write_b32 a62, v8
	v_accvgpr_write_b32 a60, v6
	ds_bpermute_b32 v6, v67, v3
	v_accvgpr_write_b32 a61, v7
	v_accvgpr_write_b32 a63, v9
	v_cmp_gt_u32_e64 s[0:1], 16, v70
	s_barrier
	v_mfma_f32_16x16x16_f16 a[60:63], v[4:5], v[0:1], a[60:63]
	s_waitcnt lgkmcnt(0)
	v_add_f32_e32 v0, v3, v6
	ds_bpermute_b32 v1, v65, v0
	s_waitcnt lgkmcnt(0)
	s_and_saveexec_b64 s[4:5], s[0:1]
; %bb.269:
	v_add_f32_e32 v0, v0, v1
	v_or_b32_e32 v1, v186, v70
	v_mad_u32_u24 v1, v1, s6, 0
	ds_write2_b32 v1, v2, v0 offset0:128 offset1:129
; %bb.270:
	s_or_b64 exec, exec, s[4:5]
	v_cmp_eq_u32_e32 vcc, 0, v168
	v_cmp_ne_u32_e64 s[4:5], 0, v168
	s_waitcnt lgkmcnt(0)
	s_barrier
	s_and_saveexec_b64 s[6:7], s[4:5]
	s_xor_b64 s[4:5], exec, s[6:7]
	s_cbranch_execz .LBB29_272
; %bb.271:
	s_barrier
                                        ; implicit-def: $vgpr67
                                        ; implicit-def: $vgpr65
                                        ; implicit-def: $vgpr183
.LBB29_272:
	s_or_saveexec_b64 s[6:7], s[4:5]
	v_accvgpr_read_b32 v63, a3
	v_accvgpr_read_b32 v59, a7
	;; [unrolled: 1-line block ×64, first 2 shown]
	s_xor_b64 exec, exec, s[6:7]
	s_cbranch_execz .LBB29_276
; %bb.273:
	v_add_u32_e32 v64, v186, v70
	s_movk_i32 s3, 0x210
	v_mad_u32_u24 v74, v64, s3, 0
	ds_read_b64 v[68:69], v74 offset:512
	s_mov_b32 s3, 0x3fb8aa3b
	s_mov_b32 s8, 0x42b17218
	s_mov_b32 s9, 0
	s_waitcnt lgkmcnt(0)
	ds_bpermute_b32 v64, v67, v68
	v_max_f32_e32 v66, v68, v68
	s_barrier
	s_waitcnt lgkmcnt(0)
	v_max_f32_e32 v64, v64, v64
	v_max_f32_e32 v64, v66, v64
	ds_bpermute_b32 v66, v65, v64
	s_waitcnt lgkmcnt(0)
	v_max_f32_e32 v66, v66, v66
	v_max_f32_e32 v64, v64, v66
	v_sub_f32_e32 v66, v68, v64
	v_mul_f32_e32 v68, 0x3fb8aa3b, v66
	v_fma_f32 v75, v66, s3, -v68
	v_rndne_f32_e32 v76, v68
	v_fmamk_f32 v75, v66, 0x32a5705f, v75
	v_sub_f32_e32 v68, v68, v76
	v_add_f32_e32 v68, v68, v75
	v_cvt_i32_f32_e32 v76, v76
	v_exp_f32_e32 v68, v68
	s_mov_b32 s3, 0xc2ce8ed0
	v_cmp_ngt_f32_e64 s[4:5], s3, v66
	v_mov_b32_e32 v75, 0x7f800000
	v_ldexp_f32 v68, v68, v76
	v_cndmask_b32_e64 v68, 0, v68, s[4:5]
	v_cmp_nlt_f32_e64 s[4:5], s8, v66
	s_nop 1
	v_cndmask_b32_e64 v66, v75, v68, s[4:5]
	v_mul_f32_e32 v68, v69, v66
	ds_bpermute_b32 v67, v67, v68
	s_waitcnt lgkmcnt(0)
	v_fmac_f32_e32 v67, v69, v66
	ds_bpermute_b32 v65, v65, v67
	s_waitcnt lgkmcnt(0)
	v_add_f32_e32 v67, v67, v65
	ds_write_b64 v74, v[66:67] offset:512
	s_and_saveexec_b64 s[4:5], s[0:1]
	s_cbranch_execz .LBB29_275
; %bb.274:
	s_add_i32 s0, s33, s2
	s_lshl_b32 s8, s0, 4
	s_lshl_b64 s[0:1], s[8:9], 3
	s_add_u32 s0, s30, s0
	v_or_b32_e32 v65, v183, v70
	s_addc_u32 s1, s31, s1
	v_lshlrev_b32_e32 v66, 3, v65
	v_mov_b32_e32 v65, v67
	global_store_dwordx2 v66, v[64:65], s[0:1]
.LBB29_275:
	s_or_b64 exec, exec, s[4:5]
.LBB29_276:
	s_or_b64 exec, exec, s[6:7]
	v_cvt_pk_f16_f32 v4, v4, v5
	v_or_b32_e32 v5, v186, v72
	v_mul_u32_u24_e32 v5, 0x210, v5
	v_cvt_pk_f16_f32 v62, v62, v63
	v_cvt_pk_f16_f32 v60, v60, v61
	s_mov_b32 s3, 0
	s_movk_i32 s4, 0x210
	v_add3_u32 v5, 0, v73, v5
	v_cvt_pk_f16_f32 v58, v58, v59
	v_cvt_pk_f16_f32 v56, v56, v57
	;; [unrolled: 1-line block ×29, first 2 shown]
	ds_write2_b32 v5, v60, v62 offset1:1
	ds_write2_b32 v5, v56, v58 offset0:8 offset1:9
	ds_write2_b32 v5, v52, v54 offset0:16 offset1:17
	;; [unrolled: 1-line block ×15, first 2 shown]
	s_waitcnt lgkmcnt(0)
	s_barrier
	s_and_saveexec_b64 s[0:1], vcc
	s_cbranch_execz .LBB29_278
; %bb.277:
	s_lshl_b32 s2, s2, 11
	s_lshl_b64 s[6:7], s[2:3], 3
	s_add_u32 s5, s30, s6
	s_addc_u32 s6, s31, s7
	s_lshl_b32 s2, s33, 5
	s_lshl_b64 s[2:3], s[2:3], 3
	s_add_u32 s2, s5, s2
	v_bfe_u32 v0, v85, 2, 4
	s_movk_i32 s5, 0x3c0
	v_and_or_b32 v0, v85, s5, v0
	v_mad_u32_u24 v1, v0, s4, 0
	v_lshlrev_b32_e32 v0, 2, v70
	v_add_u32_e32 v10, v1, v0
	ds_read2st64_b32 v[2:3], v10 offset1:1
	ds_read2st64_b32 v[4:5], v1 offset0:2 offset1:35
	ds_read2st64_b32 v[6:7], v10 offset0:33 offset1:34
	;; [unrolled: 1-line block ×4, first 2 shown]
	s_waitcnt lgkmcnt(4)
	v_cvt_f32_f16_e32 v12, v2
	v_cvt_f32_f16_sdwa v13, v2 dst_sel:DWORD dst_unused:UNUSED_PAD src0_sel:WORD_1
	ds_read2st64_b32 v[14:15], v1 offset0:68 offset1:101
	s_waitcnt lgkmcnt(3)
	v_cvt_f32_f16_e32 v16, v6
	v_cvt_f32_f16_sdwa v17, v6 dst_sel:DWORD dst_unused:UNUSED_PAD src0_sel:WORD_1
	s_waitcnt lgkmcnt(2)
	v_cvt_f32_f16_e32 v18, v8
	v_cvt_f32_f16_sdwa v19, v8 dst_sel:DWORD dst_unused:UNUSED_PAD src0_sel:WORD_1
	v_lshlrev_b32_e32 v2, 5, v85
	s_waitcnt lgkmcnt(1)
	v_cvt_f32_f16_e32 v20, v10
	v_cvt_f32_f16_sdwa v21, v10 dst_sel:DWORD dst_unused:UNUSED_PAD src0_sel:WORD_1
	v_add_lshl_u32 v1, v70, v2, 3
	v_pk_fma_f32 v[12:13], v[4:5], v[12:13], 0 op_sel_hi:[0,1,0]
	v_mov_b32_e32 v2, v5
	v_pk_fma_f32 v[12:13], v[2:3], v[16:17], v[12:13] op_sel_hi:[0,1,1]
	s_waitcnt lgkmcnt(0)
	v_pk_fma_f32 v[12:13], v[14:15], v[18:19], v[12:13] op_sel_hi:[0,1,1]
	v_mov_b32_e32 v6, v15
	s_addc_u32 s3, s6, s3
	v_pk_fma_f32 v[12:13], v[6:7], v[20:21], v[12:13] op_sel_hi:[0,1,1]
	global_store_dwordx2 v1, v[12:13], s[2:3]
	v_cvt_f32_f16_e32 v12, v3
	v_cvt_f32_f16_sdwa v13, v3 dst_sel:DWORD dst_unused:UNUSED_PAD src0_sel:WORD_1
	v_cvt_f32_f16_e32 v16, v7
	v_cvt_f32_f16_sdwa v17, v7 dst_sel:DWORD dst_unused:UNUSED_PAD src0_sel:WORD_1
	;; [unrolled: 2-line block ×4, first 2 shown]
	v_pk_fma_f32 v[4:5], v[4:5], v[12:13], 0 op_sel_hi:[0,1,0]
	v_pk_fma_f32 v[2:3], v[2:3], v[16:17], v[4:5] op_sel_hi:[0,1,1]
	;; [unrolled: 1-line block ×4, first 2 shown]
	global_store_dwordx2 v1, v[2:3], s[2:3] offset:512
	v_add_u32_e32 v1, 1, v71
	v_lshlrev_b32_e32 v2, 2, v1
	v_and_b32_e32 v3, 15, v1
	s_movk_i32 s5, 0x7c0
	v_and_or_b32 v2, v2, s5, v3
	v_mad_u32_u24 v14, v2, s4, 0
	v_add_u32_e32 v10, v14, v0
	ds_read2st64_b32 v[2:3], v10 offset1:1
	ds_read2st64_b32 v[4:5], v14 offset0:2 offset1:35
	ds_read2st64_b32 v[6:7], v10 offset0:33 offset1:34
	ds_read2st64_b32 v[8:9], v10 offset0:66 offset1:67
	ds_read2st64_b32 v[10:11], v10 offset0:99 offset1:100
	s_waitcnt lgkmcnt(4)
	v_cvt_f32_f16_e32 v12, v2
	v_cvt_f32_f16_sdwa v13, v2 dst_sel:DWORD dst_unused:UNUSED_PAD src0_sel:WORD_1
	ds_read2st64_b32 v[14:15], v14 offset0:68 offset1:101
	s_waitcnt lgkmcnt(3)
	v_cvt_f32_f16_e32 v16, v6
	v_cvt_f32_f16_sdwa v17, v6 dst_sel:DWORD dst_unused:UNUSED_PAD src0_sel:WORD_1
	s_waitcnt lgkmcnt(2)
	v_cvt_f32_f16_e32 v18, v8
	v_cvt_f32_f16_sdwa v19, v8 dst_sel:DWORD dst_unused:UNUSED_PAD src0_sel:WORD_1
	s_waitcnt lgkmcnt(1)
	v_cvt_f32_f16_e32 v20, v10
	v_cvt_f32_f16_sdwa v21, v10 dst_sel:DWORD dst_unused:UNUSED_PAD src0_sel:WORD_1
	v_pk_fma_f32 v[12:13], v[4:5], v[12:13], 0 op_sel_hi:[0,1,0]
	v_mov_b32_e32 v2, v5
	v_pk_fma_f32 v[12:13], v[2:3], v[16:17], v[12:13] op_sel_hi:[0,1,1]
	v_lshlrev_b32_e32 v1, 7, v1
	s_waitcnt lgkmcnt(0)
	v_pk_fma_f32 v[12:13], v[14:15], v[18:19], v[12:13] op_sel_hi:[0,1,1]
	v_mov_b32_e32 v6, v15
	v_add_lshl_u32 v1, v70, v1, 3
	v_pk_fma_f32 v[12:13], v[6:7], v[20:21], v[12:13] op_sel_hi:[0,1,1]
	global_store_dwordx2 v1, v[12:13], s[2:3]
	v_cvt_f32_f16_e32 v12, v3
	v_cvt_f32_f16_sdwa v13, v3 dst_sel:DWORD dst_unused:UNUSED_PAD src0_sel:WORD_1
	v_cvt_f32_f16_e32 v16, v7
	v_cvt_f32_f16_sdwa v17, v7 dst_sel:DWORD dst_unused:UNUSED_PAD src0_sel:WORD_1
	v_cvt_f32_f16_e32 v8, v9
	v_cvt_f32_f16_sdwa v9, v9 dst_sel:DWORD dst_unused:UNUSED_PAD src0_sel:WORD_1
	v_cvt_f32_f16_e32 v10, v11
	v_cvt_f32_f16_sdwa v11, v11 dst_sel:DWORD dst_unused:UNUSED_PAD src0_sel:WORD_1
	v_pk_fma_f32 v[4:5], v[4:5], v[12:13], 0 op_sel_hi:[0,1,0]
	v_pk_fma_f32 v[2:3], v[2:3], v[16:17], v[4:5] op_sel_hi:[0,1,1]
	v_pk_fma_f32 v[2:3], v[14:15], v[8:9], v[2:3] op_sel_hi:[0,1,1]
	v_pk_fma_f32 v[2:3], v[6:7], v[10:11], v[2:3] op_sel_hi:[0,1,1]
	global_store_dwordx2 v1, v[2:3], s[2:3] offset:512
	v_add_u32_e32 v1, 2, v71
	v_lshlrev_b32_e32 v2, 2, v1
	v_and_b32_e32 v3, 15, v1
	v_and_or_b32 v2, v2, s5, v3
	v_mad_u32_u24 v14, v2, s4, 0
	v_add_u32_e32 v10, v14, v0
	ds_read2st64_b32 v[2:3], v10 offset1:1
	ds_read2st64_b32 v[4:5], v14 offset0:2 offset1:35
	ds_read2st64_b32 v[6:7], v10 offset0:33 offset1:34
	ds_read2st64_b32 v[8:9], v10 offset0:66 offset1:67
	ds_read2st64_b32 v[10:11], v10 offset0:99 offset1:100
	s_waitcnt lgkmcnt(4)
	v_cvt_f32_f16_e32 v12, v2
	v_cvt_f32_f16_sdwa v13, v2 dst_sel:DWORD dst_unused:UNUSED_PAD src0_sel:WORD_1
	ds_read2st64_b32 v[14:15], v14 offset0:68 offset1:101
	s_waitcnt lgkmcnt(3)
	v_cvt_f32_f16_e32 v16, v6
	v_cvt_f32_f16_sdwa v17, v6 dst_sel:DWORD dst_unused:UNUSED_PAD src0_sel:WORD_1
	s_waitcnt lgkmcnt(2)
	v_cvt_f32_f16_e32 v18, v8
	v_cvt_f32_f16_sdwa v19, v8 dst_sel:DWORD dst_unused:UNUSED_PAD src0_sel:WORD_1
	s_waitcnt lgkmcnt(1)
	v_cvt_f32_f16_e32 v20, v10
	v_cvt_f32_f16_sdwa v21, v10 dst_sel:DWORD dst_unused:UNUSED_PAD src0_sel:WORD_1
	v_pk_fma_f32 v[12:13], v[4:5], v[12:13], 0 op_sel_hi:[0,1,0]
	v_mov_b32_e32 v2, v5
	v_pk_fma_f32 v[12:13], v[2:3], v[16:17], v[12:13] op_sel_hi:[0,1,1]
	v_lshlrev_b32_e32 v1, 7, v1
	s_waitcnt lgkmcnt(0)
	v_pk_fma_f32 v[12:13], v[14:15], v[18:19], v[12:13] op_sel_hi:[0,1,1]
	v_mov_b32_e32 v6, v15
	v_add_lshl_u32 v1, v70, v1, 3
	v_pk_fma_f32 v[12:13], v[6:7], v[20:21], v[12:13] op_sel_hi:[0,1,1]
	global_store_dwordx2 v1, v[12:13], s[2:3]
	v_cvt_f32_f16_e32 v12, v3
	v_cvt_f32_f16_sdwa v13, v3 dst_sel:DWORD dst_unused:UNUSED_PAD src0_sel:WORD_1
	v_cvt_f32_f16_e32 v16, v7
	v_cvt_f32_f16_sdwa v17, v7 dst_sel:DWORD dst_unused:UNUSED_PAD src0_sel:WORD_1
	v_cvt_f32_f16_e32 v8, v9
	v_cvt_f32_f16_sdwa v9, v9 dst_sel:DWORD dst_unused:UNUSED_PAD src0_sel:WORD_1
	v_cvt_f32_f16_e32 v10, v11
	v_cvt_f32_f16_sdwa v11, v11 dst_sel:DWORD dst_unused:UNUSED_PAD src0_sel:WORD_1
	v_pk_fma_f32 v[4:5], v[4:5], v[12:13], 0 op_sel_hi:[0,1,0]
	v_pk_fma_f32 v[2:3], v[2:3], v[16:17], v[4:5] op_sel_hi:[0,1,1]
	v_pk_fma_f32 v[2:3], v[14:15], v[8:9], v[2:3] op_sel_hi:[0,1,1]
	v_pk_fma_f32 v[2:3], v[6:7], v[10:11], v[2:3] op_sel_hi:[0,1,1]
	global_store_dwordx2 v1, v[2:3], s[2:3] offset:512
	v_add_u32_e32 v1, 3, v71
	v_lshlrev_b32_e32 v2, 2, v1
	v_and_b32_e32 v3, 15, v1
	v_and_or_b32 v2, v2, s5, v3
	v_mad_u32_u24 v14, v2, s4, 0
	v_add_u32_e32 v10, v14, v0
	ds_read2st64_b32 v[2:3], v10 offset1:1
	ds_read2st64_b32 v[4:5], v14 offset0:2 offset1:35
	ds_read2st64_b32 v[6:7], v10 offset0:33 offset1:34
	ds_read2st64_b32 v[8:9], v10 offset0:66 offset1:67
	ds_read2st64_b32 v[10:11], v10 offset0:99 offset1:100
	s_waitcnt lgkmcnt(4)
	v_cvt_f32_f16_e32 v12, v2
	v_cvt_f32_f16_sdwa v13, v2 dst_sel:DWORD dst_unused:UNUSED_PAD src0_sel:WORD_1
	ds_read2st64_b32 v[14:15], v14 offset0:68 offset1:101
	s_waitcnt lgkmcnt(3)
	v_cvt_f32_f16_e32 v16, v6
	v_cvt_f32_f16_sdwa v17, v6 dst_sel:DWORD dst_unused:UNUSED_PAD src0_sel:WORD_1
	s_waitcnt lgkmcnt(2)
	v_cvt_f32_f16_e32 v18, v8
	v_cvt_f32_f16_sdwa v19, v8 dst_sel:DWORD dst_unused:UNUSED_PAD src0_sel:WORD_1
	s_waitcnt lgkmcnt(1)
	v_cvt_f32_f16_e32 v20, v10
	v_cvt_f32_f16_sdwa v21, v10 dst_sel:DWORD dst_unused:UNUSED_PAD src0_sel:WORD_1
	v_pk_fma_f32 v[12:13], v[4:5], v[12:13], 0 op_sel_hi:[0,1,0]
	v_mov_b32_e32 v2, v5
	v_pk_fma_f32 v[12:13], v[2:3], v[16:17], v[12:13] op_sel_hi:[0,1,1]
	v_lshlrev_b32_e32 v1, 7, v1
	s_waitcnt lgkmcnt(0)
	v_pk_fma_f32 v[12:13], v[14:15], v[18:19], v[12:13] op_sel_hi:[0,1,1]
	v_mov_b32_e32 v6, v15
	v_add_lshl_u32 v1, v70, v1, 3
	v_pk_fma_f32 v[12:13], v[6:7], v[20:21], v[12:13] op_sel_hi:[0,1,1]
	global_store_dwordx2 v1, v[12:13], s[2:3]
	v_cvt_f32_f16_e32 v12, v3
	v_cvt_f32_f16_sdwa v13, v3 dst_sel:DWORD dst_unused:UNUSED_PAD src0_sel:WORD_1
	v_cvt_f32_f16_e32 v16, v7
	v_cvt_f32_f16_sdwa v17, v7 dst_sel:DWORD dst_unused:UNUSED_PAD src0_sel:WORD_1
	v_cvt_f32_f16_e32 v8, v9
	v_cvt_f32_f16_sdwa v9, v9 dst_sel:DWORD dst_unused:UNUSED_PAD src0_sel:WORD_1
	v_cvt_f32_f16_e32 v10, v11
	v_cvt_f32_f16_sdwa v11, v11 dst_sel:DWORD dst_unused:UNUSED_PAD src0_sel:WORD_1
	v_pk_fma_f32 v[4:5], v[4:5], v[12:13], 0 op_sel_hi:[0,1,0]
	v_pk_fma_f32 v[2:3], v[2:3], v[16:17], v[4:5] op_sel_hi:[0,1,1]
	v_pk_fma_f32 v[2:3], v[14:15], v[8:9], v[2:3] op_sel_hi:[0,1,1]
	v_pk_fma_f32 v[2:3], v[6:7], v[10:11], v[2:3] op_sel_hi:[0,1,1]
	global_store_dwordx2 v1, v[2:3], s[2:3] offset:512
	v_add_u32_e32 v1, 4, v71
	v_lshlrev_b32_e32 v2, 2, v1
	v_and_b32_e32 v3, 15, v1
	v_and_or_b32 v2, v2, s5, v3
	v_mad_u32_u24 v14, v2, s4, 0
	v_add_u32_e32 v10, v14, v0
	ds_read2st64_b32 v[2:3], v10 offset1:1
	ds_read2st64_b32 v[4:5], v14 offset0:2 offset1:35
	ds_read2st64_b32 v[6:7], v10 offset0:33 offset1:34
	ds_read2st64_b32 v[8:9], v10 offset0:66 offset1:67
	ds_read2st64_b32 v[10:11], v10 offset0:99 offset1:100
	s_waitcnt lgkmcnt(4)
	v_cvt_f32_f16_e32 v12, v2
	v_cvt_f32_f16_sdwa v13, v2 dst_sel:DWORD dst_unused:UNUSED_PAD src0_sel:WORD_1
	ds_read2st64_b32 v[14:15], v14 offset0:68 offset1:101
	s_waitcnt lgkmcnt(3)
	v_cvt_f32_f16_e32 v16, v6
	v_cvt_f32_f16_sdwa v17, v6 dst_sel:DWORD dst_unused:UNUSED_PAD src0_sel:WORD_1
	s_waitcnt lgkmcnt(2)
	v_cvt_f32_f16_e32 v18, v8
	v_cvt_f32_f16_sdwa v19, v8 dst_sel:DWORD dst_unused:UNUSED_PAD src0_sel:WORD_1
	s_waitcnt lgkmcnt(1)
	v_cvt_f32_f16_e32 v20, v10
	v_cvt_f32_f16_sdwa v21, v10 dst_sel:DWORD dst_unused:UNUSED_PAD src0_sel:WORD_1
	v_pk_fma_f32 v[12:13], v[4:5], v[12:13], 0 op_sel_hi:[0,1,0]
	v_mov_b32_e32 v2, v5
	v_pk_fma_f32 v[12:13], v[2:3], v[16:17], v[12:13] op_sel_hi:[0,1,1]
	v_lshlrev_b32_e32 v1, 7, v1
	s_waitcnt lgkmcnt(0)
	v_pk_fma_f32 v[12:13], v[14:15], v[18:19], v[12:13] op_sel_hi:[0,1,1]
	v_mov_b32_e32 v6, v15
	v_add_lshl_u32 v1, v70, v1, 3
	v_pk_fma_f32 v[12:13], v[6:7], v[20:21], v[12:13] op_sel_hi:[0,1,1]
	global_store_dwordx2 v1, v[12:13], s[2:3]
	v_cvt_f32_f16_e32 v12, v3
	v_cvt_f32_f16_sdwa v13, v3 dst_sel:DWORD dst_unused:UNUSED_PAD src0_sel:WORD_1
	v_cvt_f32_f16_e32 v16, v7
	v_cvt_f32_f16_sdwa v17, v7 dst_sel:DWORD dst_unused:UNUSED_PAD src0_sel:WORD_1
	v_cvt_f32_f16_e32 v8, v9
	v_cvt_f32_f16_sdwa v9, v9 dst_sel:DWORD dst_unused:UNUSED_PAD src0_sel:WORD_1
	v_cvt_f32_f16_e32 v10, v11
	v_cvt_f32_f16_sdwa v11, v11 dst_sel:DWORD dst_unused:UNUSED_PAD src0_sel:WORD_1
	v_pk_fma_f32 v[4:5], v[4:5], v[12:13], 0 op_sel_hi:[0,1,0]
	v_pk_fma_f32 v[2:3], v[2:3], v[16:17], v[4:5] op_sel_hi:[0,1,1]
	v_pk_fma_f32 v[2:3], v[14:15], v[8:9], v[2:3] op_sel_hi:[0,1,1]
	v_pk_fma_f32 v[2:3], v[6:7], v[10:11], v[2:3] op_sel_hi:[0,1,1]
	global_store_dwordx2 v1, v[2:3], s[2:3] offset:512
	v_add_u32_e32 v1, 5, v71
	v_lshlrev_b32_e32 v2, 2, v1
	v_and_b32_e32 v3, 15, v1
	v_and_or_b32 v2, v2, s5, v3
	v_mad_u32_u24 v14, v2, s4, 0
	v_add_u32_e32 v10, v14, v0
	ds_read2st64_b32 v[2:3], v10 offset1:1
	ds_read2st64_b32 v[4:5], v14 offset0:2 offset1:35
	ds_read2st64_b32 v[6:7], v10 offset0:33 offset1:34
	ds_read2st64_b32 v[8:9], v10 offset0:66 offset1:67
	ds_read2st64_b32 v[10:11], v10 offset0:99 offset1:100
	s_waitcnt lgkmcnt(4)
	v_cvt_f32_f16_e32 v12, v2
	v_cvt_f32_f16_sdwa v13, v2 dst_sel:DWORD dst_unused:UNUSED_PAD src0_sel:WORD_1
	ds_read2st64_b32 v[14:15], v14 offset0:68 offset1:101
	s_waitcnt lgkmcnt(3)
	v_cvt_f32_f16_e32 v16, v6
	v_cvt_f32_f16_sdwa v17, v6 dst_sel:DWORD dst_unused:UNUSED_PAD src0_sel:WORD_1
	s_waitcnt lgkmcnt(2)
	v_cvt_f32_f16_e32 v18, v8
	v_cvt_f32_f16_sdwa v19, v8 dst_sel:DWORD dst_unused:UNUSED_PAD src0_sel:WORD_1
	s_waitcnt lgkmcnt(1)
	v_cvt_f32_f16_e32 v20, v10
	v_cvt_f32_f16_sdwa v21, v10 dst_sel:DWORD dst_unused:UNUSED_PAD src0_sel:WORD_1
	v_pk_fma_f32 v[12:13], v[4:5], v[12:13], 0 op_sel_hi:[0,1,0]
	v_mov_b32_e32 v2, v5
	v_pk_fma_f32 v[12:13], v[2:3], v[16:17], v[12:13] op_sel_hi:[0,1,1]
	v_lshlrev_b32_e32 v1, 7, v1
	s_waitcnt lgkmcnt(0)
	v_pk_fma_f32 v[12:13], v[14:15], v[18:19], v[12:13] op_sel_hi:[0,1,1]
	v_mov_b32_e32 v6, v15
	v_add_lshl_u32 v1, v70, v1, 3
	v_pk_fma_f32 v[12:13], v[6:7], v[20:21], v[12:13] op_sel_hi:[0,1,1]
	global_store_dwordx2 v1, v[12:13], s[2:3]
	v_cvt_f32_f16_e32 v12, v3
	v_cvt_f32_f16_sdwa v13, v3 dst_sel:DWORD dst_unused:UNUSED_PAD src0_sel:WORD_1
	v_cvt_f32_f16_e32 v16, v7
	v_cvt_f32_f16_sdwa v17, v7 dst_sel:DWORD dst_unused:UNUSED_PAD src0_sel:WORD_1
	v_cvt_f32_f16_e32 v8, v9
	v_cvt_f32_f16_sdwa v9, v9 dst_sel:DWORD dst_unused:UNUSED_PAD src0_sel:WORD_1
	v_cvt_f32_f16_e32 v10, v11
	v_cvt_f32_f16_sdwa v11, v11 dst_sel:DWORD dst_unused:UNUSED_PAD src0_sel:WORD_1
	v_pk_fma_f32 v[4:5], v[4:5], v[12:13], 0 op_sel_hi:[0,1,0]
	v_pk_fma_f32 v[2:3], v[2:3], v[16:17], v[4:5] op_sel_hi:[0,1,1]
	v_pk_fma_f32 v[2:3], v[14:15], v[8:9], v[2:3] op_sel_hi:[0,1,1]
	v_pk_fma_f32 v[2:3], v[6:7], v[10:11], v[2:3] op_sel_hi:[0,1,1]
	global_store_dwordx2 v1, v[2:3], s[2:3] offset:512
	v_add_u32_e32 v1, 6, v71
	v_lshlrev_b32_e32 v2, 2, v1
	v_and_b32_e32 v3, 15, v1
	v_and_or_b32 v2, v2, s5, v3
	v_mad_u32_u24 v14, v2, s4, 0
	v_add_u32_e32 v10, v14, v0
	ds_read2st64_b32 v[2:3], v10 offset1:1
	ds_read2st64_b32 v[4:5], v14 offset0:2 offset1:35
	ds_read2st64_b32 v[6:7], v10 offset0:33 offset1:34
	ds_read2st64_b32 v[8:9], v10 offset0:66 offset1:67
	ds_read2st64_b32 v[10:11], v10 offset0:99 offset1:100
	s_waitcnt lgkmcnt(4)
	v_cvt_f32_f16_e32 v12, v2
	v_cvt_f32_f16_sdwa v13, v2 dst_sel:DWORD dst_unused:UNUSED_PAD src0_sel:WORD_1
	ds_read2st64_b32 v[14:15], v14 offset0:68 offset1:101
	s_waitcnt lgkmcnt(3)
	v_cvt_f32_f16_e32 v16, v6
	v_cvt_f32_f16_sdwa v17, v6 dst_sel:DWORD dst_unused:UNUSED_PAD src0_sel:WORD_1
	s_waitcnt lgkmcnt(2)
	v_cvt_f32_f16_e32 v18, v8
	v_cvt_f32_f16_sdwa v19, v8 dst_sel:DWORD dst_unused:UNUSED_PAD src0_sel:WORD_1
	s_waitcnt lgkmcnt(1)
	v_cvt_f32_f16_e32 v20, v10
	v_cvt_f32_f16_sdwa v21, v10 dst_sel:DWORD dst_unused:UNUSED_PAD src0_sel:WORD_1
	v_pk_fma_f32 v[12:13], v[4:5], v[12:13], 0 op_sel_hi:[0,1,0]
	v_mov_b32_e32 v2, v5
	v_pk_fma_f32 v[12:13], v[2:3], v[16:17], v[12:13] op_sel_hi:[0,1,1]
	v_lshlrev_b32_e32 v1, 7, v1
	s_waitcnt lgkmcnt(0)
	v_pk_fma_f32 v[12:13], v[14:15], v[18:19], v[12:13] op_sel_hi:[0,1,1]
	v_mov_b32_e32 v6, v15
	v_add_lshl_u32 v1, v70, v1, 3
	v_pk_fma_f32 v[12:13], v[6:7], v[20:21], v[12:13] op_sel_hi:[0,1,1]
	global_store_dwordx2 v1, v[12:13], s[2:3]
	v_cvt_f32_f16_e32 v12, v3
	v_cvt_f32_f16_sdwa v13, v3 dst_sel:DWORD dst_unused:UNUSED_PAD src0_sel:WORD_1
	v_cvt_f32_f16_e32 v16, v7
	v_cvt_f32_f16_sdwa v17, v7 dst_sel:DWORD dst_unused:UNUSED_PAD src0_sel:WORD_1
	v_cvt_f32_f16_e32 v8, v9
	v_cvt_f32_f16_sdwa v9, v9 dst_sel:DWORD dst_unused:UNUSED_PAD src0_sel:WORD_1
	v_cvt_f32_f16_e32 v10, v11
	v_cvt_f32_f16_sdwa v11, v11 dst_sel:DWORD dst_unused:UNUSED_PAD src0_sel:WORD_1
	v_pk_fma_f32 v[4:5], v[4:5], v[12:13], 0 op_sel_hi:[0,1,0]
	v_pk_fma_f32 v[2:3], v[2:3], v[16:17], v[4:5] op_sel_hi:[0,1,1]
	v_pk_fma_f32 v[2:3], v[14:15], v[8:9], v[2:3] op_sel_hi:[0,1,1]
	v_pk_fma_f32 v[2:3], v[6:7], v[10:11], v[2:3] op_sel_hi:[0,1,1]
	global_store_dwordx2 v1, v[2:3], s[2:3] offset:512
	v_add_u32_e32 v1, 7, v71
	v_lshlrev_b32_e32 v2, 2, v1
	v_and_b32_e32 v3, 15, v1
	v_and_or_b32 v2, v2, s5, v3
	v_mad_u32_u24 v14, v2, s4, 0
	v_add_u32_e32 v10, v14, v0
	ds_read2st64_b32 v[2:3], v10 offset1:1
	ds_read2st64_b32 v[4:5], v14 offset0:2 offset1:35
	ds_read2st64_b32 v[6:7], v10 offset0:33 offset1:34
	ds_read2st64_b32 v[8:9], v10 offset0:66 offset1:67
	ds_read2st64_b32 v[10:11], v10 offset0:99 offset1:100
	s_waitcnt lgkmcnt(4)
	v_cvt_f32_f16_e32 v12, v2
	v_cvt_f32_f16_sdwa v13, v2 dst_sel:DWORD dst_unused:UNUSED_PAD src0_sel:WORD_1
	ds_read2st64_b32 v[14:15], v14 offset0:68 offset1:101
	s_waitcnt lgkmcnt(3)
	v_cvt_f32_f16_e32 v16, v6
	v_cvt_f32_f16_sdwa v17, v6 dst_sel:DWORD dst_unused:UNUSED_PAD src0_sel:WORD_1
	s_waitcnt lgkmcnt(2)
	v_cvt_f32_f16_e32 v18, v8
	v_cvt_f32_f16_sdwa v19, v8 dst_sel:DWORD dst_unused:UNUSED_PAD src0_sel:WORD_1
	s_waitcnt lgkmcnt(1)
	v_cvt_f32_f16_e32 v20, v10
	v_cvt_f32_f16_sdwa v21, v10 dst_sel:DWORD dst_unused:UNUSED_PAD src0_sel:WORD_1
	v_pk_fma_f32 v[12:13], v[4:5], v[12:13], 0 op_sel_hi:[0,1,0]
	v_mov_b32_e32 v2, v5
	v_pk_fma_f32 v[12:13], v[2:3], v[16:17], v[12:13] op_sel_hi:[0,1,1]
	v_lshlrev_b32_e32 v1, 7, v1
	s_waitcnt lgkmcnt(0)
	v_pk_fma_f32 v[12:13], v[14:15], v[18:19], v[12:13] op_sel_hi:[0,1,1]
	v_mov_b32_e32 v6, v15
	v_add_lshl_u32 v1, v70, v1, 3
	v_pk_fma_f32 v[12:13], v[6:7], v[20:21], v[12:13] op_sel_hi:[0,1,1]
	global_store_dwordx2 v1, v[12:13], s[2:3]
	v_cvt_f32_f16_e32 v12, v3
	v_cvt_f32_f16_sdwa v13, v3 dst_sel:DWORD dst_unused:UNUSED_PAD src0_sel:WORD_1
	v_cvt_f32_f16_e32 v16, v7
	v_cvt_f32_f16_sdwa v17, v7 dst_sel:DWORD dst_unused:UNUSED_PAD src0_sel:WORD_1
	v_cvt_f32_f16_e32 v8, v9
	v_cvt_f32_f16_sdwa v9, v9 dst_sel:DWORD dst_unused:UNUSED_PAD src0_sel:WORD_1
	v_cvt_f32_f16_e32 v10, v11
	v_cvt_f32_f16_sdwa v11, v11 dst_sel:DWORD dst_unused:UNUSED_PAD src0_sel:WORD_1
	v_pk_fma_f32 v[4:5], v[4:5], v[12:13], 0 op_sel_hi:[0,1,0]
	v_pk_fma_f32 v[2:3], v[2:3], v[16:17], v[4:5] op_sel_hi:[0,1,1]
	v_pk_fma_f32 v[2:3], v[14:15], v[8:9], v[2:3] op_sel_hi:[0,1,1]
	v_pk_fma_f32 v[2:3], v[6:7], v[10:11], v[2:3] op_sel_hi:[0,1,1]
	global_store_dwordx2 v1, v[2:3], s[2:3] offset:512
	v_add_u32_e32 v1, 8, v71
	v_lshlrev_b32_e32 v2, 2, v1
	v_and_b32_e32 v3, 15, v1
	v_and_or_b32 v2, v2, s5, v3
	v_mad_u32_u24 v14, v2, s4, 0
	v_add_u32_e32 v10, v14, v0
	ds_read2st64_b32 v[2:3], v10 offset1:1
	ds_read2st64_b32 v[4:5], v14 offset0:2 offset1:35
	ds_read2st64_b32 v[6:7], v10 offset0:33 offset1:34
	ds_read2st64_b32 v[8:9], v10 offset0:66 offset1:67
	ds_read2st64_b32 v[10:11], v10 offset0:99 offset1:100
	s_waitcnt lgkmcnt(4)
	v_cvt_f32_f16_e32 v12, v2
	v_cvt_f32_f16_sdwa v13, v2 dst_sel:DWORD dst_unused:UNUSED_PAD src0_sel:WORD_1
	ds_read2st64_b32 v[14:15], v14 offset0:68 offset1:101
	s_waitcnt lgkmcnt(3)
	v_cvt_f32_f16_e32 v16, v6
	v_cvt_f32_f16_sdwa v17, v6 dst_sel:DWORD dst_unused:UNUSED_PAD src0_sel:WORD_1
	s_waitcnt lgkmcnt(2)
	v_cvt_f32_f16_e32 v18, v8
	v_cvt_f32_f16_sdwa v19, v8 dst_sel:DWORD dst_unused:UNUSED_PAD src0_sel:WORD_1
	s_waitcnt lgkmcnt(1)
	v_cvt_f32_f16_e32 v20, v10
	v_cvt_f32_f16_sdwa v21, v10 dst_sel:DWORD dst_unused:UNUSED_PAD src0_sel:WORD_1
	v_pk_fma_f32 v[12:13], v[4:5], v[12:13], 0 op_sel_hi:[0,1,0]
	v_mov_b32_e32 v2, v5
	v_pk_fma_f32 v[12:13], v[2:3], v[16:17], v[12:13] op_sel_hi:[0,1,1]
	v_lshlrev_b32_e32 v1, 7, v1
	s_waitcnt lgkmcnt(0)
	v_pk_fma_f32 v[12:13], v[14:15], v[18:19], v[12:13] op_sel_hi:[0,1,1]
	v_mov_b32_e32 v6, v15
	v_add_lshl_u32 v1, v70, v1, 3
	v_pk_fma_f32 v[12:13], v[6:7], v[20:21], v[12:13] op_sel_hi:[0,1,1]
	global_store_dwordx2 v1, v[12:13], s[2:3]
	v_cvt_f32_f16_e32 v12, v3
	v_cvt_f32_f16_sdwa v13, v3 dst_sel:DWORD dst_unused:UNUSED_PAD src0_sel:WORD_1
	v_cvt_f32_f16_e32 v16, v7
	v_cvt_f32_f16_sdwa v17, v7 dst_sel:DWORD dst_unused:UNUSED_PAD src0_sel:WORD_1
	v_cvt_f32_f16_e32 v8, v9
	v_cvt_f32_f16_sdwa v9, v9 dst_sel:DWORD dst_unused:UNUSED_PAD src0_sel:WORD_1
	v_cvt_f32_f16_e32 v10, v11
	v_cvt_f32_f16_sdwa v11, v11 dst_sel:DWORD dst_unused:UNUSED_PAD src0_sel:WORD_1
	v_pk_fma_f32 v[4:5], v[4:5], v[12:13], 0 op_sel_hi:[0,1,0]
	v_pk_fma_f32 v[2:3], v[2:3], v[16:17], v[4:5] op_sel_hi:[0,1,1]
	v_pk_fma_f32 v[2:3], v[14:15], v[8:9], v[2:3] op_sel_hi:[0,1,1]
	v_pk_fma_f32 v[2:3], v[6:7], v[10:11], v[2:3] op_sel_hi:[0,1,1]
	global_store_dwordx2 v1, v[2:3], s[2:3] offset:512
	v_add_u32_e32 v1, 9, v71
	v_lshlrev_b32_e32 v2, 2, v1
	v_and_b32_e32 v3, 15, v1
	v_and_or_b32 v2, v2, s5, v3
	v_mad_u32_u24 v14, v2, s4, 0
	v_add_u32_e32 v10, v14, v0
	ds_read2st64_b32 v[2:3], v10 offset1:1
	ds_read2st64_b32 v[4:5], v14 offset0:2 offset1:35
	ds_read2st64_b32 v[6:7], v10 offset0:33 offset1:34
	ds_read2st64_b32 v[8:9], v10 offset0:66 offset1:67
	ds_read2st64_b32 v[10:11], v10 offset0:99 offset1:100
	s_waitcnt lgkmcnt(4)
	v_cvt_f32_f16_e32 v12, v2
	v_cvt_f32_f16_sdwa v13, v2 dst_sel:DWORD dst_unused:UNUSED_PAD src0_sel:WORD_1
	ds_read2st64_b32 v[14:15], v14 offset0:68 offset1:101
	s_waitcnt lgkmcnt(3)
	v_cvt_f32_f16_e32 v16, v6
	v_cvt_f32_f16_sdwa v17, v6 dst_sel:DWORD dst_unused:UNUSED_PAD src0_sel:WORD_1
	s_waitcnt lgkmcnt(2)
	v_cvt_f32_f16_e32 v18, v8
	v_cvt_f32_f16_sdwa v19, v8 dst_sel:DWORD dst_unused:UNUSED_PAD src0_sel:WORD_1
	s_waitcnt lgkmcnt(1)
	v_cvt_f32_f16_e32 v20, v10
	v_cvt_f32_f16_sdwa v21, v10 dst_sel:DWORD dst_unused:UNUSED_PAD src0_sel:WORD_1
	v_pk_fma_f32 v[12:13], v[4:5], v[12:13], 0 op_sel_hi:[0,1,0]
	v_mov_b32_e32 v2, v5
	v_pk_fma_f32 v[12:13], v[2:3], v[16:17], v[12:13] op_sel_hi:[0,1,1]
	v_lshlrev_b32_e32 v1, 7, v1
	s_waitcnt lgkmcnt(0)
	v_pk_fma_f32 v[12:13], v[14:15], v[18:19], v[12:13] op_sel_hi:[0,1,1]
	v_mov_b32_e32 v6, v15
	v_add_lshl_u32 v1, v70, v1, 3
	v_pk_fma_f32 v[12:13], v[6:7], v[20:21], v[12:13] op_sel_hi:[0,1,1]
	global_store_dwordx2 v1, v[12:13], s[2:3]
	v_cvt_f32_f16_e32 v12, v3
	v_cvt_f32_f16_sdwa v13, v3 dst_sel:DWORD dst_unused:UNUSED_PAD src0_sel:WORD_1
	v_cvt_f32_f16_e32 v16, v7
	v_cvt_f32_f16_sdwa v17, v7 dst_sel:DWORD dst_unused:UNUSED_PAD src0_sel:WORD_1
	v_cvt_f32_f16_e32 v8, v9
	v_cvt_f32_f16_sdwa v9, v9 dst_sel:DWORD dst_unused:UNUSED_PAD src0_sel:WORD_1
	v_cvt_f32_f16_e32 v10, v11
	v_cvt_f32_f16_sdwa v11, v11 dst_sel:DWORD dst_unused:UNUSED_PAD src0_sel:WORD_1
	v_pk_fma_f32 v[4:5], v[4:5], v[12:13], 0 op_sel_hi:[0,1,0]
	v_pk_fma_f32 v[2:3], v[2:3], v[16:17], v[4:5] op_sel_hi:[0,1,1]
	v_pk_fma_f32 v[2:3], v[14:15], v[8:9], v[2:3] op_sel_hi:[0,1,1]
	v_pk_fma_f32 v[2:3], v[6:7], v[10:11], v[2:3] op_sel_hi:[0,1,1]
	global_store_dwordx2 v1, v[2:3], s[2:3] offset:512
	v_add_u32_e32 v1, 10, v71
	v_lshlrev_b32_e32 v2, 2, v1
	v_and_b32_e32 v3, 15, v1
	v_and_or_b32 v2, v2, s5, v3
	v_mad_u32_u24 v14, v2, s4, 0
	v_add_u32_e32 v10, v14, v0
	ds_read2st64_b32 v[2:3], v10 offset1:1
	ds_read2st64_b32 v[4:5], v14 offset0:2 offset1:35
	ds_read2st64_b32 v[6:7], v10 offset0:33 offset1:34
	ds_read2st64_b32 v[8:9], v10 offset0:66 offset1:67
	ds_read2st64_b32 v[10:11], v10 offset0:99 offset1:100
	s_waitcnt lgkmcnt(4)
	v_cvt_f32_f16_e32 v12, v2
	v_cvt_f32_f16_sdwa v13, v2 dst_sel:DWORD dst_unused:UNUSED_PAD src0_sel:WORD_1
	ds_read2st64_b32 v[14:15], v14 offset0:68 offset1:101
	s_waitcnt lgkmcnt(3)
	v_cvt_f32_f16_e32 v16, v6
	v_cvt_f32_f16_sdwa v17, v6 dst_sel:DWORD dst_unused:UNUSED_PAD src0_sel:WORD_1
	s_waitcnt lgkmcnt(2)
	v_cvt_f32_f16_e32 v18, v8
	v_cvt_f32_f16_sdwa v19, v8 dst_sel:DWORD dst_unused:UNUSED_PAD src0_sel:WORD_1
	s_waitcnt lgkmcnt(1)
	v_cvt_f32_f16_e32 v20, v10
	v_cvt_f32_f16_sdwa v21, v10 dst_sel:DWORD dst_unused:UNUSED_PAD src0_sel:WORD_1
	v_pk_fma_f32 v[12:13], v[4:5], v[12:13], 0 op_sel_hi:[0,1,0]
	v_mov_b32_e32 v2, v5
	v_pk_fma_f32 v[12:13], v[2:3], v[16:17], v[12:13] op_sel_hi:[0,1,1]
	v_lshlrev_b32_e32 v1, 7, v1
	s_waitcnt lgkmcnt(0)
	v_pk_fma_f32 v[12:13], v[14:15], v[18:19], v[12:13] op_sel_hi:[0,1,1]
	v_mov_b32_e32 v6, v15
	v_add_lshl_u32 v1, v70, v1, 3
	v_pk_fma_f32 v[12:13], v[6:7], v[20:21], v[12:13] op_sel_hi:[0,1,1]
	global_store_dwordx2 v1, v[12:13], s[2:3]
	v_cvt_f32_f16_e32 v12, v3
	v_cvt_f32_f16_sdwa v13, v3 dst_sel:DWORD dst_unused:UNUSED_PAD src0_sel:WORD_1
	v_cvt_f32_f16_e32 v16, v7
	v_cvt_f32_f16_sdwa v17, v7 dst_sel:DWORD dst_unused:UNUSED_PAD src0_sel:WORD_1
	v_cvt_f32_f16_e32 v8, v9
	v_cvt_f32_f16_sdwa v9, v9 dst_sel:DWORD dst_unused:UNUSED_PAD src0_sel:WORD_1
	v_cvt_f32_f16_e32 v10, v11
	v_cvt_f32_f16_sdwa v11, v11 dst_sel:DWORD dst_unused:UNUSED_PAD src0_sel:WORD_1
	v_pk_fma_f32 v[4:5], v[4:5], v[12:13], 0 op_sel_hi:[0,1,0]
	v_pk_fma_f32 v[2:3], v[2:3], v[16:17], v[4:5] op_sel_hi:[0,1,1]
	v_pk_fma_f32 v[2:3], v[14:15], v[8:9], v[2:3] op_sel_hi:[0,1,1]
	v_pk_fma_f32 v[2:3], v[6:7], v[10:11], v[2:3] op_sel_hi:[0,1,1]
	global_store_dwordx2 v1, v[2:3], s[2:3] offset:512
	v_add_u32_e32 v1, 11, v71
	v_lshlrev_b32_e32 v2, 2, v1
	v_and_b32_e32 v3, 15, v1
	v_and_or_b32 v2, v2, s5, v3
	v_mad_u32_u24 v14, v2, s4, 0
	v_add_u32_e32 v10, v14, v0
	ds_read2st64_b32 v[2:3], v10 offset1:1
	ds_read2st64_b32 v[4:5], v14 offset0:2 offset1:35
	ds_read2st64_b32 v[6:7], v10 offset0:33 offset1:34
	ds_read2st64_b32 v[8:9], v10 offset0:66 offset1:67
	ds_read2st64_b32 v[10:11], v10 offset0:99 offset1:100
	s_waitcnt lgkmcnt(4)
	v_cvt_f32_f16_e32 v12, v2
	v_cvt_f32_f16_sdwa v13, v2 dst_sel:DWORD dst_unused:UNUSED_PAD src0_sel:WORD_1
	ds_read2st64_b32 v[14:15], v14 offset0:68 offset1:101
	s_waitcnt lgkmcnt(3)
	v_cvt_f32_f16_e32 v16, v6
	v_cvt_f32_f16_sdwa v17, v6 dst_sel:DWORD dst_unused:UNUSED_PAD src0_sel:WORD_1
	s_waitcnt lgkmcnt(2)
	v_cvt_f32_f16_e32 v18, v8
	v_cvt_f32_f16_sdwa v19, v8 dst_sel:DWORD dst_unused:UNUSED_PAD src0_sel:WORD_1
	s_waitcnt lgkmcnt(1)
	v_cvt_f32_f16_e32 v20, v10
	v_cvt_f32_f16_sdwa v21, v10 dst_sel:DWORD dst_unused:UNUSED_PAD src0_sel:WORD_1
	v_pk_fma_f32 v[12:13], v[4:5], v[12:13], 0 op_sel_hi:[0,1,0]
	v_mov_b32_e32 v2, v5
	v_pk_fma_f32 v[12:13], v[2:3], v[16:17], v[12:13] op_sel_hi:[0,1,1]
	v_lshlrev_b32_e32 v1, 7, v1
	s_waitcnt lgkmcnt(0)
	v_pk_fma_f32 v[12:13], v[14:15], v[18:19], v[12:13] op_sel_hi:[0,1,1]
	v_mov_b32_e32 v6, v15
	v_add_lshl_u32 v1, v70, v1, 3
	v_pk_fma_f32 v[12:13], v[6:7], v[20:21], v[12:13] op_sel_hi:[0,1,1]
	global_store_dwordx2 v1, v[12:13], s[2:3]
	v_cvt_f32_f16_e32 v12, v3
	v_cvt_f32_f16_sdwa v13, v3 dst_sel:DWORD dst_unused:UNUSED_PAD src0_sel:WORD_1
	v_cvt_f32_f16_e32 v16, v7
	v_cvt_f32_f16_sdwa v17, v7 dst_sel:DWORD dst_unused:UNUSED_PAD src0_sel:WORD_1
	v_cvt_f32_f16_e32 v8, v9
	v_cvt_f32_f16_sdwa v9, v9 dst_sel:DWORD dst_unused:UNUSED_PAD src0_sel:WORD_1
	v_cvt_f32_f16_e32 v10, v11
	v_cvt_f32_f16_sdwa v11, v11 dst_sel:DWORD dst_unused:UNUSED_PAD src0_sel:WORD_1
	v_pk_fma_f32 v[4:5], v[4:5], v[12:13], 0 op_sel_hi:[0,1,0]
	v_pk_fma_f32 v[2:3], v[2:3], v[16:17], v[4:5] op_sel_hi:[0,1,1]
	v_pk_fma_f32 v[2:3], v[14:15], v[8:9], v[2:3] op_sel_hi:[0,1,1]
	v_pk_fma_f32 v[2:3], v[6:7], v[10:11], v[2:3] op_sel_hi:[0,1,1]
	global_store_dwordx2 v1, v[2:3], s[2:3] offset:512
	v_add_u32_e32 v1, 12, v71
	v_lshlrev_b32_e32 v2, 2, v1
	v_and_b32_e32 v3, 15, v1
	v_and_or_b32 v2, v2, s5, v3
	v_mad_u32_u24 v14, v2, s4, 0
	v_add_u32_e32 v10, v14, v0
	ds_read2st64_b32 v[2:3], v10 offset1:1
	ds_read2st64_b32 v[4:5], v14 offset0:2 offset1:35
	ds_read2st64_b32 v[6:7], v10 offset0:33 offset1:34
	ds_read2st64_b32 v[8:9], v10 offset0:66 offset1:67
	ds_read2st64_b32 v[10:11], v10 offset0:99 offset1:100
	s_waitcnt lgkmcnt(4)
	v_cvt_f32_f16_e32 v12, v2
	v_cvt_f32_f16_sdwa v13, v2 dst_sel:DWORD dst_unused:UNUSED_PAD src0_sel:WORD_1
	ds_read2st64_b32 v[14:15], v14 offset0:68 offset1:101
	s_waitcnt lgkmcnt(3)
	v_cvt_f32_f16_e32 v16, v6
	v_cvt_f32_f16_sdwa v17, v6 dst_sel:DWORD dst_unused:UNUSED_PAD src0_sel:WORD_1
	s_waitcnt lgkmcnt(2)
	v_cvt_f32_f16_e32 v18, v8
	v_cvt_f32_f16_sdwa v19, v8 dst_sel:DWORD dst_unused:UNUSED_PAD src0_sel:WORD_1
	s_waitcnt lgkmcnt(1)
	v_cvt_f32_f16_e32 v20, v10
	v_cvt_f32_f16_sdwa v21, v10 dst_sel:DWORD dst_unused:UNUSED_PAD src0_sel:WORD_1
	v_pk_fma_f32 v[12:13], v[4:5], v[12:13], 0 op_sel_hi:[0,1,0]
	v_mov_b32_e32 v2, v5
	v_pk_fma_f32 v[12:13], v[2:3], v[16:17], v[12:13] op_sel_hi:[0,1,1]
	v_lshlrev_b32_e32 v1, 7, v1
	s_waitcnt lgkmcnt(0)
	v_pk_fma_f32 v[12:13], v[14:15], v[18:19], v[12:13] op_sel_hi:[0,1,1]
	v_mov_b32_e32 v6, v15
	v_add_lshl_u32 v1, v70, v1, 3
	v_pk_fma_f32 v[12:13], v[6:7], v[20:21], v[12:13] op_sel_hi:[0,1,1]
	global_store_dwordx2 v1, v[12:13], s[2:3]
	v_cvt_f32_f16_e32 v12, v3
	v_cvt_f32_f16_sdwa v13, v3 dst_sel:DWORD dst_unused:UNUSED_PAD src0_sel:WORD_1
	v_cvt_f32_f16_e32 v16, v7
	v_cvt_f32_f16_sdwa v17, v7 dst_sel:DWORD dst_unused:UNUSED_PAD src0_sel:WORD_1
	v_cvt_f32_f16_e32 v8, v9
	v_cvt_f32_f16_sdwa v9, v9 dst_sel:DWORD dst_unused:UNUSED_PAD src0_sel:WORD_1
	v_cvt_f32_f16_e32 v10, v11
	v_cvt_f32_f16_sdwa v11, v11 dst_sel:DWORD dst_unused:UNUSED_PAD src0_sel:WORD_1
	v_pk_fma_f32 v[4:5], v[4:5], v[12:13], 0 op_sel_hi:[0,1,0]
	v_pk_fma_f32 v[2:3], v[2:3], v[16:17], v[4:5] op_sel_hi:[0,1,1]
	v_pk_fma_f32 v[2:3], v[14:15], v[8:9], v[2:3] op_sel_hi:[0,1,1]
	v_pk_fma_f32 v[2:3], v[6:7], v[10:11], v[2:3] op_sel_hi:[0,1,1]
	global_store_dwordx2 v1, v[2:3], s[2:3] offset:512
	v_add_u32_e32 v1, 13, v71
	v_lshlrev_b32_e32 v2, 2, v1
	v_and_b32_e32 v3, 15, v1
	v_and_or_b32 v2, v2, s5, v3
	v_mad_u32_u24 v14, v2, s4, 0
	v_add_u32_e32 v10, v14, v0
	ds_read2st64_b32 v[2:3], v10 offset1:1
	ds_read2st64_b32 v[4:5], v14 offset0:2 offset1:35
	ds_read2st64_b32 v[6:7], v10 offset0:33 offset1:34
	ds_read2st64_b32 v[8:9], v10 offset0:66 offset1:67
	ds_read2st64_b32 v[10:11], v10 offset0:99 offset1:100
	s_waitcnt lgkmcnt(4)
	v_cvt_f32_f16_e32 v12, v2
	v_cvt_f32_f16_sdwa v13, v2 dst_sel:DWORD dst_unused:UNUSED_PAD src0_sel:WORD_1
	ds_read2st64_b32 v[14:15], v14 offset0:68 offset1:101
	s_waitcnt lgkmcnt(3)
	v_cvt_f32_f16_e32 v16, v6
	v_cvt_f32_f16_sdwa v17, v6 dst_sel:DWORD dst_unused:UNUSED_PAD src0_sel:WORD_1
	s_waitcnt lgkmcnt(2)
	v_cvt_f32_f16_e32 v18, v8
	v_cvt_f32_f16_sdwa v19, v8 dst_sel:DWORD dst_unused:UNUSED_PAD src0_sel:WORD_1
	s_waitcnt lgkmcnt(1)
	v_cvt_f32_f16_e32 v20, v10
	v_cvt_f32_f16_sdwa v21, v10 dst_sel:DWORD dst_unused:UNUSED_PAD src0_sel:WORD_1
	v_pk_fma_f32 v[12:13], v[4:5], v[12:13], 0 op_sel_hi:[0,1,0]
	v_mov_b32_e32 v2, v5
	v_pk_fma_f32 v[12:13], v[2:3], v[16:17], v[12:13] op_sel_hi:[0,1,1]
	v_lshlrev_b32_e32 v1, 7, v1
	s_waitcnt lgkmcnt(0)
	v_pk_fma_f32 v[12:13], v[14:15], v[18:19], v[12:13] op_sel_hi:[0,1,1]
	v_mov_b32_e32 v6, v15
	v_add_lshl_u32 v1, v70, v1, 3
	v_pk_fma_f32 v[12:13], v[6:7], v[20:21], v[12:13] op_sel_hi:[0,1,1]
	global_store_dwordx2 v1, v[12:13], s[2:3]
	v_cvt_f32_f16_e32 v12, v3
	v_cvt_f32_f16_sdwa v13, v3 dst_sel:DWORD dst_unused:UNUSED_PAD src0_sel:WORD_1
	v_cvt_f32_f16_e32 v16, v7
	v_cvt_f32_f16_sdwa v17, v7 dst_sel:DWORD dst_unused:UNUSED_PAD src0_sel:WORD_1
	v_cvt_f32_f16_e32 v8, v9
	v_cvt_f32_f16_sdwa v9, v9 dst_sel:DWORD dst_unused:UNUSED_PAD src0_sel:WORD_1
	v_cvt_f32_f16_e32 v10, v11
	v_cvt_f32_f16_sdwa v11, v11 dst_sel:DWORD dst_unused:UNUSED_PAD src0_sel:WORD_1
	v_pk_fma_f32 v[4:5], v[4:5], v[12:13], 0 op_sel_hi:[0,1,0]
	v_pk_fma_f32 v[2:3], v[2:3], v[16:17], v[4:5] op_sel_hi:[0,1,1]
	v_pk_fma_f32 v[2:3], v[14:15], v[8:9], v[2:3] op_sel_hi:[0,1,1]
	v_pk_fma_f32 v[2:3], v[6:7], v[10:11], v[2:3] op_sel_hi:[0,1,1]
	global_store_dwordx2 v1, v[2:3], s[2:3] offset:512
	v_add_u32_e32 v1, 14, v71
	v_lshlrev_b32_e32 v2, 2, v1
	v_and_b32_e32 v3, 15, v1
	v_and_or_b32 v2, v2, s5, v3
	v_mad_u32_u24 v14, v2, s4, 0
	v_add_u32_e32 v10, v14, v0
	ds_read2st64_b32 v[2:3], v10 offset1:1
	ds_read2st64_b32 v[4:5], v14 offset0:2 offset1:35
	ds_read2st64_b32 v[6:7], v10 offset0:33 offset1:34
	;; [unrolled: 1-line block ×4, first 2 shown]
	s_waitcnt lgkmcnt(4)
	v_cvt_f32_f16_e32 v12, v2
	v_cvt_f32_f16_sdwa v13, v2 dst_sel:DWORD dst_unused:UNUSED_PAD src0_sel:WORD_1
	ds_read2st64_b32 v[14:15], v14 offset0:68 offset1:101
	s_waitcnt lgkmcnt(3)
	v_cvt_f32_f16_e32 v16, v6
	v_cvt_f32_f16_sdwa v17, v6 dst_sel:DWORD dst_unused:UNUSED_PAD src0_sel:WORD_1
	s_waitcnt lgkmcnt(2)
	v_cvt_f32_f16_e32 v18, v8
	v_cvt_f32_f16_sdwa v19, v8 dst_sel:DWORD dst_unused:UNUSED_PAD src0_sel:WORD_1
	;; [unrolled: 3-line block ×3, first 2 shown]
	v_pk_fma_f32 v[12:13], v[4:5], v[12:13], 0 op_sel_hi:[0,1,0]
	v_mov_b32_e32 v2, v5
	v_pk_fma_f32 v[12:13], v[2:3], v[16:17], v[12:13] op_sel_hi:[0,1,1]
	v_lshlrev_b32_e32 v1, 7, v1
	s_waitcnt lgkmcnt(0)
	v_pk_fma_f32 v[12:13], v[14:15], v[18:19], v[12:13] op_sel_hi:[0,1,1]
	v_mov_b32_e32 v6, v15
	v_add_lshl_u32 v1, v70, v1, 3
	v_pk_fma_f32 v[12:13], v[6:7], v[20:21], v[12:13] op_sel_hi:[0,1,1]
	global_store_dwordx2 v1, v[12:13], s[2:3]
	v_cvt_f32_f16_e32 v12, v3
	v_cvt_f32_f16_sdwa v13, v3 dst_sel:DWORD dst_unused:UNUSED_PAD src0_sel:WORD_1
	v_cvt_f32_f16_e32 v16, v7
	v_cvt_f32_f16_sdwa v17, v7 dst_sel:DWORD dst_unused:UNUSED_PAD src0_sel:WORD_1
	;; [unrolled: 2-line block ×4, first 2 shown]
	v_pk_fma_f32 v[4:5], v[4:5], v[12:13], 0 op_sel_hi:[0,1,0]
	v_pk_fma_f32 v[2:3], v[2:3], v[16:17], v[4:5] op_sel_hi:[0,1,1]
	;; [unrolled: 1-line block ×4, first 2 shown]
	v_add_u32_e32 v12, 15, v71
	global_store_dwordx2 v1, v[2:3], s[2:3] offset:512
	v_lshlrev_b32_e32 v1, 2, v12
	v_and_b32_e32 v2, 15, v12
	v_and_or_b32 v1, v1, s5, v2
	v_mad_u32_u24 v13, v1, s4, 0
	v_add_u32_e32 v8, v13, v0
	ds_read2st64_b32 v[0:1], v8 offset1:1
	ds_read2st64_b32 v[2:3], v13 offset0:2 offset1:35
	ds_read2st64_b32 v[4:5], v8 offset0:33 offset1:34
	;; [unrolled: 1-line block ×4, first 2 shown]
	s_waitcnt lgkmcnt(4)
	v_cvt_f32_f16_e32 v10, v0
	v_cvt_f32_f16_sdwa v11, v0 dst_sel:DWORD dst_unused:UNUSED_PAD src0_sel:WORD_1
	v_lshlrev_b32_e32 v0, 7, v12
	ds_read2st64_b32 v[12:13], v13 offset0:68 offset1:101
	s_waitcnt lgkmcnt(3)
	v_cvt_f32_f16_e32 v14, v4
	v_cvt_f32_f16_sdwa v15, v4 dst_sel:DWORD dst_unused:UNUSED_PAD src0_sel:WORD_1
	s_waitcnt lgkmcnt(2)
	v_cvt_f32_f16_e32 v16, v6
	v_cvt_f32_f16_sdwa v17, v6 dst_sel:DWORD dst_unused:UNUSED_PAD src0_sel:WORD_1
	;; [unrolled: 3-line block ×3, first 2 shown]
	v_add_lshl_u32 v20, v70, v0, 3
	v_pk_fma_f32 v[10:11], v[2:3], v[10:11], 0 op_sel_hi:[0,1,0]
	v_mov_b32_e32 v0, v3
	v_pk_fma_f32 v[10:11], v[0:1], v[14:15], v[10:11] op_sel_hi:[0,1,1]
	s_waitcnt lgkmcnt(0)
	v_pk_fma_f32 v[10:11], v[12:13], v[16:17], v[10:11] op_sel_hi:[0,1,1]
	v_mov_b32_e32 v4, v13
	v_pk_fma_f32 v[10:11], v[4:5], v[18:19], v[10:11] op_sel_hi:[0,1,1]
	global_store_dwordx2 v20, v[10:11], s[2:3]
	v_cvt_f32_f16_e32 v10, v1
	v_cvt_f32_f16_sdwa v11, v1 dst_sel:DWORD dst_unused:UNUSED_PAD src0_sel:WORD_1
	v_cvt_f32_f16_e32 v14, v5
	v_cvt_f32_f16_sdwa v15, v5 dst_sel:DWORD dst_unused:UNUSED_PAD src0_sel:WORD_1
	;; [unrolled: 2-line block ×4, first 2 shown]
	v_pk_fma_f32 v[2:3], v[2:3], v[10:11], 0 op_sel_hi:[0,1,0]
	v_pk_fma_f32 v[0:1], v[0:1], v[14:15], v[2:3] op_sel_hi:[0,1,1]
	;; [unrolled: 1-line block ×4, first 2 shown]
	global_store_dwordx2 v20, v[0:1], s[2:3] offset:512
.LBB29_278:
	s_or_b64 exec, exec, s[0:1]
	s_barrier
	s_endpgm
	.section	.rodata,"a",@progbits
	.p2align	6, 0x0
	.amdhsa_kernel _ZL18flash_attn_ext_f16ILi256ELi256ELi4ELi4ELb0ELb0EEvPKcS1_S1_S1_S1_PKiPfP15HIP_vector_typeIfLj2EEffffjfiS5_IjLj3EEiiiiiiiiiiiliiliiiiil
		.amdhsa_group_segment_fixed_size 0
		.amdhsa_private_segment_fixed_size 0
		.amdhsa_kernarg_size 464
		.amdhsa_user_sgpr_count 2
		.amdhsa_user_sgpr_dispatch_ptr 0
		.amdhsa_user_sgpr_queue_ptr 0
		.amdhsa_user_sgpr_kernarg_segment_ptr 1
		.amdhsa_user_sgpr_dispatch_id 0
		.amdhsa_user_sgpr_kernarg_preload_length 0
		.amdhsa_user_sgpr_kernarg_preload_offset 0
		.amdhsa_user_sgpr_private_segment_size 0
		.amdhsa_uses_dynamic_stack 0
		.amdhsa_enable_private_segment 0
		.amdhsa_system_sgpr_workgroup_id_x 1
		.amdhsa_system_sgpr_workgroup_id_y 0
		.amdhsa_system_sgpr_workgroup_id_z 0
		.amdhsa_system_sgpr_workgroup_info 0
		.amdhsa_system_vgpr_workitem_id 1
		.amdhsa_next_free_vgpr 340
		.amdhsa_next_free_sgpr 93
		.amdhsa_accum_offset 256
		.amdhsa_reserve_vcc 1
		.amdhsa_float_round_mode_32 0
		.amdhsa_float_round_mode_16_64 0
		.amdhsa_float_denorm_mode_32 3
		.amdhsa_float_denorm_mode_16_64 3
		.amdhsa_dx10_clamp 1
		.amdhsa_ieee_mode 1
		.amdhsa_fp16_overflow 0
		.amdhsa_tg_split 0
		.amdhsa_exception_fp_ieee_invalid_op 0
		.amdhsa_exception_fp_denorm_src 0
		.amdhsa_exception_fp_ieee_div_zero 0
		.amdhsa_exception_fp_ieee_overflow 0
		.amdhsa_exception_fp_ieee_underflow 0
		.amdhsa_exception_fp_ieee_inexact 0
		.amdhsa_exception_int_div_zero 0
	.end_amdhsa_kernel
	.section	.text._ZL18flash_attn_ext_f16ILi256ELi256ELi4ELi4ELb0ELb0EEvPKcS1_S1_S1_S1_PKiPfP15HIP_vector_typeIfLj2EEffffjfiS5_IjLj3EEiiiiiiiiiiiliiliiiiil,"axG",@progbits,_ZL18flash_attn_ext_f16ILi256ELi256ELi4ELi4ELb0ELb0EEvPKcS1_S1_S1_S1_PKiPfP15HIP_vector_typeIfLj2EEffffjfiS5_IjLj3EEiiiiiiiiiiiliiliiiiil,comdat
.Lfunc_end29:
	.size	_ZL18flash_attn_ext_f16ILi256ELi256ELi4ELi4ELb0ELb0EEvPKcS1_S1_S1_S1_PKiPfP15HIP_vector_typeIfLj2EEffffjfiS5_IjLj3EEiiiiiiiiiiiliiliiiiil, .Lfunc_end29-_ZL18flash_attn_ext_f16ILi256ELi256ELi4ELi4ELb0ELb0EEvPKcS1_S1_S1_S1_PKiPfP15HIP_vector_typeIfLj2EEffffjfiS5_IjLj3EEiiiiiiiiiiiliiliiiiil
                                        ; -- End function
	.set _ZL18flash_attn_ext_f16ILi256ELi256ELi4ELi4ELb0ELb0EEvPKcS1_S1_S1_S1_PKiPfP15HIP_vector_typeIfLj2EEffffjfiS5_IjLj3EEiiiiiiiiiiiliiliiiiil.num_vgpr, 256
	.set _ZL18flash_attn_ext_f16ILi256ELi256ELi4ELi4ELb0ELb0EEvPKcS1_S1_S1_S1_PKiPfP15HIP_vector_typeIfLj2EEffffjfiS5_IjLj3EEiiiiiiiiiiiliiliiiiil.num_agpr, 84
	.set _ZL18flash_attn_ext_f16ILi256ELi256ELi4ELi4ELb0ELb0EEvPKcS1_S1_S1_S1_PKiPfP15HIP_vector_typeIfLj2EEffffjfiS5_IjLj3EEiiiiiiiiiiiliiliiiiil.numbered_sgpr, 93
	.set _ZL18flash_attn_ext_f16ILi256ELi256ELi4ELi4ELb0ELb0EEvPKcS1_S1_S1_S1_PKiPfP15HIP_vector_typeIfLj2EEffffjfiS5_IjLj3EEiiiiiiiiiiiliiliiiiil.num_named_barrier, 0
	.set _ZL18flash_attn_ext_f16ILi256ELi256ELi4ELi4ELb0ELb0EEvPKcS1_S1_S1_S1_PKiPfP15HIP_vector_typeIfLj2EEffffjfiS5_IjLj3EEiiiiiiiiiiiliiliiiiil.private_seg_size, 0
	.set _ZL18flash_attn_ext_f16ILi256ELi256ELi4ELi4ELb0ELb0EEvPKcS1_S1_S1_S1_PKiPfP15HIP_vector_typeIfLj2EEffffjfiS5_IjLj3EEiiiiiiiiiiiliiliiiiil.uses_vcc, 1
	.set _ZL18flash_attn_ext_f16ILi256ELi256ELi4ELi4ELb0ELb0EEvPKcS1_S1_S1_S1_PKiPfP15HIP_vector_typeIfLj2EEffffjfiS5_IjLj3EEiiiiiiiiiiiliiliiiiil.uses_flat_scratch, 0
	.set _ZL18flash_attn_ext_f16ILi256ELi256ELi4ELi4ELb0ELb0EEvPKcS1_S1_S1_S1_PKiPfP15HIP_vector_typeIfLj2EEffffjfiS5_IjLj3EEiiiiiiiiiiiliiliiiiil.has_dyn_sized_stack, 0
	.set _ZL18flash_attn_ext_f16ILi256ELi256ELi4ELi4ELb0ELb0EEvPKcS1_S1_S1_S1_PKiPfP15HIP_vector_typeIfLj2EEffffjfiS5_IjLj3EEiiiiiiiiiiiliiliiiiil.has_recursion, 0
	.set _ZL18flash_attn_ext_f16ILi256ELi256ELi4ELi4ELb0ELb0EEvPKcS1_S1_S1_S1_PKiPfP15HIP_vector_typeIfLj2EEffffjfiS5_IjLj3EEiiiiiiiiiiiliiliiiiil.has_indirect_call, 0
	.section	.AMDGPU.csdata,"",@progbits
; Kernel info:
; codeLenInByte = 63960
; TotalNumSgprs: 99
; NumVgprs: 256
; NumAgprs: 84
; TotalNumVgprs: 340
; ScratchSize: 0
; MemoryBound: 0
; FloatMode: 240
; IeeeMode: 1
; LDSByteSize: 0 bytes/workgroup (compile time only)
; SGPRBlocks: 12
; VGPRBlocks: 42
; NumSGPRsForWavesPerEU: 99
; NumVGPRsForWavesPerEU: 340
; AccumOffset: 256
; Occupancy: 1
; WaveLimiterHint : 1
; COMPUTE_PGM_RSRC2:SCRATCH_EN: 0
; COMPUTE_PGM_RSRC2:USER_SGPR: 2
; COMPUTE_PGM_RSRC2:TRAP_HANDLER: 0
; COMPUTE_PGM_RSRC2:TGID_X_EN: 1
; COMPUTE_PGM_RSRC2:TGID_Y_EN: 0
; COMPUTE_PGM_RSRC2:TGID_Z_EN: 0
; COMPUTE_PGM_RSRC2:TIDIG_COMP_CNT: 1
; COMPUTE_PGM_RSRC3_GFX90A:ACCUM_OFFSET: 63
; COMPUTE_PGM_RSRC3_GFX90A:TG_SPLIT: 0
	.section	.text._ZL18flash_attn_ext_f16ILi256ELi256ELi4ELi4ELb1ELb0EEvPKcS1_S1_S1_S1_PKiPfP15HIP_vector_typeIfLj2EEffffjfiS5_IjLj3EEiiiiiiiiiiiliiliiiiil,"axG",@progbits,_ZL18flash_attn_ext_f16ILi256ELi256ELi4ELi4ELb1ELb0EEvPKcS1_S1_S1_S1_PKiPfP15HIP_vector_typeIfLj2EEffffjfiS5_IjLj3EEiiiiiiiiiiiliiliiiiil,comdat
	.globl	_ZL18flash_attn_ext_f16ILi256ELi256ELi4ELi4ELb1ELb0EEvPKcS1_S1_S1_S1_PKiPfP15HIP_vector_typeIfLj2EEffffjfiS5_IjLj3EEiiiiiiiiiiiliiliiiiil ; -- Begin function _ZL18flash_attn_ext_f16ILi256ELi256ELi4ELi4ELb1ELb0EEvPKcS1_S1_S1_S1_PKiPfP15HIP_vector_typeIfLj2EEffffjfiS5_IjLj3EEiiiiiiiiiiiliiliiiiil
	.p2align	8
	.type	_ZL18flash_attn_ext_f16ILi256ELi256ELi4ELi4ELb1ELb0EEvPKcS1_S1_S1_S1_PKiPfP15HIP_vector_typeIfLj2EEffffjfiS5_IjLj3EEiiiiiiiiiiiliiliiiiil,@function
_ZL18flash_attn_ext_f16ILi256ELi256ELi4ELi4ELb1ELb0EEvPKcS1_S1_S1_S1_PKiPfP15HIP_vector_typeIfLj2EEffffjfiS5_IjLj3EEiiiiiiiiiiiliiliiiiil: ; @_ZL18flash_attn_ext_f16ILi256ELi256ELi4ELi4ELb1ELb0EEvPKcS1_S1_S1_S1_PKiPfP15HIP_vector_typeIfLj2EEffffjfiS5_IjLj3EEiiiiiiiiiiiliiliiiiil
; %bb.0:
	s_load_dwordx2 s[4:5], s[0:1], 0x80
	s_load_dwordx4 s[36:39], s[0:1], 0x64
	s_load_dword s33, s[0:1], 0xd0
	s_mov_b32 s6, 0
	s_waitcnt lgkmcnt(0)
	s_abs_i32 s3, s5
	v_cvt_f32_u32_e32 v1, s3
	s_sub_i32 s9, 0, s3
	s_abs_i32 s8, s37
	s_xor_b32 s7, s37, s5
	v_rcp_iflag_f32_e32 v1, v1
	s_ashr_i32 s7, s7, 31
	v_mul_f32_e32 v1, 0x4f7ffffe, v1
	v_cvt_u32_f32_e32 v1, v1
	s_nop 0
	v_readfirstlane_b32 s10, v1
	s_mul_i32 s9, s9, s10
	s_mul_hi_u32 s9, s10, s9
	s_add_i32 s10, s10, s9
	s_mul_hi_u32 s9, s8, s10
	s_mul_i32 s10, s9, s3
	s_sub_i32 s8, s8, s10
	s_add_i32 s11, s9, 1
	s_sub_i32 s10, s8, s3
	s_cmp_ge_u32 s8, s3
	s_cselect_b32 s9, s11, s9
	s_cselect_b32 s8, s10, s8
	s_add_i32 s10, s9, 1
	s_cmp_ge_u32 s8, s3
	s_cselect_b32 s3, s10, s9
	s_add_i32 s4, s4, 63
	s_xor_b32 s3, s3, s7
	s_ashr_i32 s8, s4, 31
	s_sub_i32 s74, s3, s7
	s_lshr_b32 s3, s8, 26
	s_add_i32 s4, s4, s3
	s_add_i32 s3, s36, 3
	s_lshr_b32 s75, s3, 2
	s_add_i32 s3, s74, 3
	s_ashr_i32 s79, s4, 6
	s_ashr_i32 s4, s3, 31
	s_lshr_b32 s4, s4, 30
	s_add_i32 s3, s3, s4
	s_ashr_i32 s3, s3, 2
	s_mul_i32 s76, s75, s79
	s_mul_i32 s77, s76, s3
	;; [unrolled: 1-line block ×4, first 2 shown]
	s_ashr_i32 s10, s3, 31
	s_mul_i32 s4, s10, s2
	s_mul_hi_u32 s5, s3, s2
	s_add_i32 s7, s5, s4
	s_cmp_lg_u64 s[6:7], 0
	s_mul_i32 s6, s3, s2
	s_cbranch_scc0 .LBB30_343
; %bb.1:
	s_add_u32 s4, s33, 0
	s_addc_u32 s5, 0, 0
	s_xor_b64 s[8:9], s[4:5], 0
	v_cvt_f32_u32_e32 v1, s8
	v_cvt_f32_u32_e32 v2, s9
	s_sub_u32 s11, 0, s8
	s_subb_u32 s14, 0, s9
	v_fmamk_f32 v1, v2, 0x4f800000, v1
	v_rcp_f32_e32 v1, v1
	s_nop 0
	v_mul_f32_e32 v1, 0x5f7ffffc, v1
	v_mul_f32_e32 v2, 0x2f800000, v1
	v_trunc_f32_e32 v2, v2
	v_fmamk_f32 v1, v2, 0xcf800000, v1
	v_cvt_u32_f32_e32 v2, v2
	v_cvt_u32_f32_e32 v1, v1
	v_readfirstlane_b32 s15, v2
	v_readfirstlane_b32 s12, v1
	s_mul_i32 s13, s11, s15
	s_mul_hi_u32 s17, s11, s12
	s_mul_i32 s16, s14, s12
	s_add_i32 s13, s17, s13
	s_add_i32 s13, s13, s16
	s_mul_i32 s18, s11, s12
	s_mul_i32 s17, s12, s13
	s_mul_hi_u32 s19, s12, s18
	s_mul_hi_u32 s16, s12, s13
	s_add_u32 s17, s19, s17
	s_addc_u32 s16, 0, s16
	s_mul_hi_u32 s20, s15, s18
	s_mul_i32 s18, s15, s18
	s_add_u32 s17, s17, s18
	s_mul_hi_u32 s19, s15, s13
	s_addc_u32 s16, s16, s20
	s_addc_u32 s17, s19, 0
	s_mul_i32 s13, s15, s13
	s_add_u32 s13, s16, s13
	s_addc_u32 s16, 0, s17
	s_add_u32 s17, s12, s13
	s_cselect_b64 s[12:13], -1, 0
	s_cmp_lg_u64 s[12:13], 0
	s_addc_u32 s15, s15, s16
	s_mul_i32 s12, s11, s15
	s_mul_hi_u32 s13, s11, s17
	s_add_i32 s12, s13, s12
	s_mul_i32 s14, s14, s17
	s_add_i32 s12, s12, s14
	s_mul_i32 s11, s11, s17
	s_mul_hi_u32 s14, s15, s11
	s_mul_i32 s16, s15, s11
	s_mul_i32 s19, s17, s12
	s_mul_hi_u32 s11, s17, s11
	s_mul_hi_u32 s18, s17, s12
	s_add_u32 s11, s11, s19
	s_addc_u32 s18, 0, s18
	s_add_u32 s11, s11, s16
	s_mul_hi_u32 s13, s15, s12
	s_addc_u32 s11, s18, s14
	s_addc_u32 s13, s13, 0
	s_mul_i32 s12, s15, s12
	s_add_u32 s11, s11, s12
	s_addc_u32 s14, 0, s13
	s_add_u32 s11, s17, s11
	s_cselect_b64 s[12:13], -1, 0
	s_cmp_lg_u64 s[12:13], 0
	s_addc_u32 s16, s15, s14
	s_ashr_i32 s12, s7, 31
	s_add_u32 s14, s6, s12
	s_mov_b32 s13, s12
	s_addc_u32 s15, s7, s12
	s_xor_b64 s[14:15], s[14:15], s[12:13]
	s_mul_i32 s17, s14, s16
	s_mul_hi_u32 s18, s14, s11
	s_mul_hi_u32 s7, s14, s16
	s_add_u32 s17, s18, s17
	s_addc_u32 s7, 0, s7
	s_mul_hi_u32 s19, s15, s11
	s_mul_i32 s11, s15, s11
	s_add_u32 s11, s17, s11
	s_mul_hi_u32 s18, s15, s16
	s_addc_u32 s7, s7, s19
	s_addc_u32 s11, s18, 0
	s_mul_i32 s16, s15, s16
	s_add_u32 s7, s7, s16
	s_addc_u32 s11, 0, s11
	s_mul_i32 s16, s8, s11
	s_mul_hi_u32 s17, s8, s7
	s_add_i32 s16, s17, s16
	s_mul_i32 s17, s9, s7
	s_add_i32 s20, s16, s17
	s_sub_i32 s18, s15, s20
	s_mul_i32 s16, s8, s7
	s_sub_u32 s14, s14, s16
	s_cselect_b64 s[16:17], -1, 0
	s_cmp_lg_u64 s[16:17], 0
	s_subb_u32 s21, s18, s9
	s_sub_u32 s22, s14, s8
	s_cselect_b64 s[18:19], -1, 0
	s_cmp_lg_u64 s[18:19], 0
	s_subb_u32 s18, s21, 0
	s_cmp_ge_u32 s18, s9
	s_cselect_b32 s19, -1, 0
	s_cmp_ge_u32 s22, s8
	s_cselect_b32 s21, -1, 0
	s_cmp_eq_u32 s18, s9
	s_cselect_b32 s18, s21, s19
	s_add_u32 s19, s7, 1
	s_addc_u32 s21, s11, 0
	s_add_u32 s22, s7, 2
	s_addc_u32 s23, s11, 0
	s_cmp_lg_u32 s18, 0
	s_cselect_b32 s18, s22, s19
	s_cselect_b32 s19, s23, s21
	s_cmp_lg_u64 s[16:17], 0
	s_subb_u32 s15, s15, s20
	s_cmp_ge_u32 s15, s9
	s_cselect_b32 s16, -1, 0
	s_cmp_ge_u32 s14, s8
	s_cselect_b32 s8, -1, 0
	s_cmp_eq_u32 s15, s9
	s_cselect_b32 s8, s8, s16
	s_cmp_lg_u32 s8, 0
	s_cselect_b32 s9, s19, s11
	s_cselect_b32 s8, s18, s7
	s_xor_b64 s[12:13], s[12:13], 0
	s_xor_b64 s[8:9], s[8:9], s[12:13]
	s_sub_u32 s54, s8, s12
	s_load_dwordx2 s[48:49], s[0:1], 0x74
	v_cvt_f32_u32_e32 v1, s33
	s_cbranch_execnz .LBB30_3
.LBB30_2:
	v_rcp_iflag_f32_e32 v2, v1
	s_sub_i32 s4, 0, s33
	v_mul_f32_e32 v2, 0x4f7ffffe, v2
	v_cvt_u32_f32_e32 v2, v2
	s_nop 0
	v_readfirstlane_b32 s5, v2
	s_mul_i32 s4, s4, s5
	s_mul_hi_u32 s4, s5, s4
	s_add_i32 s5, s5, s4
	s_mul_hi_u32 s4, s6, s5
	s_mul_i32 s7, s4, s33
	s_sub_i32 s6, s6, s7
	s_add_i32 s5, s4, 1
	s_sub_i32 s7, s6, s33
	s_cmp_ge_u32 s6, s33
	s_cselect_b32 s4, s5, s4
	s_cselect_b32 s6, s7, s6
	s_add_i32 s5, s4, 1
	s_cmp_ge_u32 s6, s33
	s_cselect_b32 s54, s5, s4
.LBB30_3:
	s_add_i32 s4, s2, 1
	s_mul_i32 s5, s10, s4
	s_mul_hi_u32 s6, s3, s4
	s_add_i32 s9, s6, s5
	s_mov_b32 s8, 0
	s_cmp_lg_u64 s[8:9], 0
	s_mul_i32 s3, s3, s4
	s_cbranch_scc0 .LBB30_344
; %bb.4:
	s_add_u32 s4, s33, 0
	s_addc_u32 s5, 0, 0
	s_xor_b64 s[6:7], s[4:5], 0
	v_cvt_f32_u32_e32 v2, s6
	v_cvt_f32_u32_e32 v3, s7
	s_sub_u32 s8, 0, s6
	s_subb_u32 s12, 0, s7
	v_fmamk_f32 v2, v3, 0x4f800000, v2
	v_rcp_f32_e32 v2, v2
	s_nop 0
	v_mul_f32_e32 v2, 0x5f7ffffc, v2
	v_mul_f32_e32 v3, 0x2f800000, v2
	v_trunc_f32_e32 v3, v3
	v_fmamk_f32 v2, v3, 0xcf800000, v2
	v_cvt_u32_f32_e32 v3, v3
	v_cvt_u32_f32_e32 v2, v2
	v_readfirstlane_b32 s13, v3
	v_readfirstlane_b32 s10, v2
	s_mul_i32 s11, s8, s13
	s_mul_hi_u32 s15, s8, s10
	s_mul_i32 s14, s12, s10
	s_add_i32 s11, s15, s11
	s_add_i32 s11, s11, s14
	s_mul_i32 s16, s8, s10
	s_mul_i32 s15, s10, s11
	s_mul_hi_u32 s17, s10, s16
	s_mul_hi_u32 s14, s10, s11
	s_add_u32 s15, s17, s15
	s_addc_u32 s14, 0, s14
	s_mul_hi_u32 s18, s13, s16
	s_mul_i32 s16, s13, s16
	s_add_u32 s15, s15, s16
	s_mul_hi_u32 s17, s13, s11
	s_addc_u32 s14, s14, s18
	s_addc_u32 s15, s17, 0
	s_mul_i32 s11, s13, s11
	s_add_u32 s11, s14, s11
	s_addc_u32 s14, 0, s15
	s_add_u32 s15, s10, s11
	s_cselect_b64 s[10:11], -1, 0
	s_cmp_lg_u64 s[10:11], 0
	s_addc_u32 s13, s13, s14
	s_mul_i32 s10, s8, s13
	s_mul_hi_u32 s11, s8, s15
	s_add_i32 s10, s11, s10
	s_mul_i32 s12, s12, s15
	s_add_i32 s10, s10, s12
	s_mul_i32 s8, s8, s15
	s_mul_hi_u32 s12, s13, s8
	s_mul_i32 s14, s13, s8
	s_mul_i32 s17, s15, s10
	s_mul_hi_u32 s8, s15, s8
	s_mul_hi_u32 s16, s15, s10
	s_add_u32 s8, s8, s17
	s_addc_u32 s16, 0, s16
	s_add_u32 s8, s8, s14
	s_mul_hi_u32 s11, s13, s10
	s_addc_u32 s8, s16, s12
	s_addc_u32 s11, s11, 0
	s_mul_i32 s10, s13, s10
	s_add_u32 s8, s8, s10
	s_addc_u32 s12, 0, s11
	s_add_u32 s14, s15, s8
	s_cselect_b64 s[10:11], -1, 0
	s_cmp_lg_u64 s[10:11], 0
	s_addc_u32 s12, s13, s12
	s_ashr_i32 s10, s9, 31
	s_add_u32 s8, s3, s10
	s_mov_b32 s11, s10
	s_addc_u32 s9, s9, s10
	s_xor_b64 s[8:9], s[8:9], s[10:11]
	s_mul_i32 s15, s8, s12
	s_mul_hi_u32 s16, s8, s14
	s_mul_hi_u32 s13, s8, s12
	s_add_u32 s15, s16, s15
	s_addc_u32 s13, 0, s13
	s_mul_hi_u32 s17, s9, s14
	s_mul_i32 s14, s9, s14
	s_add_u32 s14, s15, s14
	s_mul_hi_u32 s16, s9, s12
	s_addc_u32 s13, s13, s17
	s_addc_u32 s14, s16, 0
	s_mul_i32 s12, s9, s12
	s_add_u32 s16, s13, s12
	s_addc_u32 s17, 0, s14
	s_mul_i32 s12, s6, s17
	s_mul_hi_u32 s13, s6, s16
	s_add_i32 s12, s13, s12
	s_mul_i32 s13, s7, s16
	s_add_i32 s18, s12, s13
	s_sub_i32 s14, s9, s18
	s_mul_i32 s12, s6, s16
	s_sub_u32 s8, s8, s12
	s_cselect_b64 s[12:13], -1, 0
	s_cmp_lg_u64 s[12:13], 0
	s_subb_u32 s19, s14, s7
	s_sub_u32 s20, s8, s6
	s_cselect_b64 s[14:15], -1, 0
	s_cmp_lg_u64 s[14:15], 0
	s_subb_u32 s14, s19, 0
	s_cmp_ge_u32 s14, s7
	s_cselect_b32 s15, -1, 0
	s_cmp_ge_u32 s20, s6
	s_cselect_b32 s19, -1, 0
	s_cmp_eq_u32 s14, s7
	s_cselect_b32 s14, s19, s15
	s_add_u32 s15, s16, 1
	s_addc_u32 s19, s17, 0
	s_add_u32 s20, s16, 2
	s_addc_u32 s21, s17, 0
	s_cmp_lg_u32 s14, 0
	s_cselect_b32 s14, s20, s15
	s_cselect_b32 s15, s21, s19
	s_cmp_lg_u64 s[12:13], 0
	s_subb_u32 s9, s9, s18
	s_cmp_ge_u32 s9, s7
	s_cselect_b32 s12, -1, 0
	s_cmp_ge_u32 s8, s6
	s_cselect_b32 s6, -1, 0
	s_cmp_eq_u32 s9, s7
	s_cselect_b32 s6, s6, s12
	s_cmp_lg_u32 s6, 0
	s_cselect_b32 s7, s15, s17
	s_cselect_b32 s6, s14, s16
	s_xor_b64 s[8:9], s[10:11], 0
	s_xor_b64 s[6:7], s[6:7], s[8:9]
	s_sub_u32 s6, s6, s8
	s_subb_u32 s7, s7, s9
	s_load_dwordx2 s[34:35], s[0:1], 0x5c
	v_mov_b64_e32 v[38:39], s[6:7]
	s_cbranch_execnz .LBB30_6
.LBB30_5:
	v_rcp_iflag_f32_e32 v1, v1
	s_sub_i32 s4, 0, s33
	v_mul_f32_e32 v1, 0x4f7ffffe, v1
	v_cvt_u32_f32_e32 v1, v1
	v_mul_lo_u32 v2, s4, v1
	v_mul_hi_u32 v2, v1, v2
	v_add_u32_e32 v1, v1, v2
	v_mul_hi_u32 v1, s3, v1
	v_mul_lo_u32 v3, v1, s33
	v_sub_u32_e32 v3, s3, v3
	v_add_u32_e32 v2, 1, v1
	v_subrev_u32_e32 v4, s33, v3
	v_cmp_le_u32_e32 vcc, s33, v3
	s_nop 1
	v_cndmask_b32_e32 v3, v3, v4, vcc
	v_cndmask_b32_e32 v1, v1, v2, vcc
	v_add_u32_e32 v2, 1, v1
	v_cmp_le_u32_e32 vcc, s33, v3
	s_nop 1
	v_cndmask_b32_e32 v38, v1, v2, vcc
.LBB30_6:
	s_abs_i32 s81, s79
	v_cvt_f32_u32_e32 v1, s81
	s_load_dwordx16 s[16:31], s[0:1], 0x0
	s_load_dword s4, s[0:1], 0x40
	s_load_dword s3, s[0:1], 0x54
	s_load_dwordx2 s[52:53], s[0:1], 0x8c
	s_load_dwordx4 s[40:43], s[0:1], 0x98
	s_load_dwordx2 s[46:47], s[0:1], 0xa8
	s_load_dwordx2 s[56:57], s[0:1], 0xb8
	;; [unrolled: 1-line block ×3, first 2 shown]
	s_waitcnt lgkmcnt(0)
	s_ashr_i32 s38, s52, 2
	s_sub_i32 s6, 0, s81
	v_rcp_iflag_f32_e32 v1, v1
	s_abs_i32 s1, s54
	s_ashr_i32 s55, s39, 3
	s_ashr_i32 s80, s48, 3
	v_mul_f32_e32 v1, 0x4f7ffffe, v1
	v_cvt_u32_f32_e32 v1, v1
	s_ashr_i32 s44, s57, 1
	s_ashr_i32 s14, s42, 2
	;; [unrolled: 1-line block ×3, first 2 shown]
	v_readfirstlane_b32 s52, v1
	s_mul_i32 s6, s6, s52
	s_mul_hi_u32 s6, s52, s6
	s_add_i32 s52, s52, s6
	s_mul_hi_u32 s6, s1, s52
	s_mul_i32 s6, s6, s81
	s_sub_i32 s1, s1, s6
	s_ashr_i32 s42, s79, 31
	s_sub_i32 s6, s1, s81
	s_cmp_ge_u32 s1, s81
	s_cselect_b32 s1, s6, s1
	s_sub_i32 s6, s1, s81
	s_cmp_ge_u32 s1, s81
	s_cselect_b32 s1, s6, s1
	s_xor_b32 s1, s1, s0
	s_sub_i32 s70, s1, s0
	v_subrev_u32_e32 v1, s54, v38
	v_add_u32_e32 v1, s70, v1
	v_cvt_f16_f32_e32 v87, s4
	v_cmp_ge_i32_e32 vcc, s54, v38
	v_cmp_gt_i32_e64 s[0:1], s79, v1
	s_or_b64 s[0:1], s[0:1], vcc
	v_bfe_u32 v85, v0, 10, 10
	v_bfe_u32 v168, v0, 10, 2
	s_mov_b32 s5, 0
	v_min_i32_e32 v146, s79, v1
	v_cmp_lt_i32_e64 s[8:9], s54, v38
	s_and_b64 vcc, exec, s[0:1]
	v_lshlrev_b32_e32 v183, 2, v85
	v_lshlrev_b32_e32 v185, 4, v85
	v_cmp_eq_u32_e64 s[0:1], 0, v168
	v_cmp_ne_u32_e64 s[10:11], 0, v168
	v_lshrrev_b32_e32 v88, 10, v0
	v_add_u32_e32 v86, 4, v85
	v_add_u32_e32 v84, 8, v85
	;; [unrolled: 1-line block ×3, first 2 shown]
	s_cbranch_vccz .LBB30_9
; %bb.7:
	s_andn2_b64 vcc, exec, s[8:9]
	s_cbranch_vccz .LBB30_304
.LBB30_8:
	s_endpgm
.LBB30_9:
	v_and_b32_e32 v2, 0x3f0, v183
	s_movk_i32 s12, 0x210
	v_and_b32_e32 v4, 15, v0
	v_lshrrev_b32_e32 v6, 1, v0
	v_and_b32_e32 v40, 0x3ff, v0
	v_mad_u32_u24 v3, v2, s12, 0
	v_mul_u32_u24_e32 v5, 0x210, v4
	v_and_b32_e32 v6, 0x78, v6
	v_lshlrev_b32_e32 v1, 2, v40
	v_add3_u32 v171, v3, v5, v6
	v_bfe_u32 v3, v0, 5, 5
	v_lshl_add_u32 v172, v85, 1, v3
	s_movk_i32 s4, 0x90
	v_and_b32_e32 v42, 0x7c, v1
	v_mad_u32_u24 v3, v172, s4, 0
	v_mul_u32_u24_e32 v7, 0x180, v172
	v_lshlrev_b32_e32 v8, 2, v42
	v_add3_u32 v173, v3, v7, v8
	v_and_b32_e32 v7, 48, v185
	v_mad_u32_u24 v8, v7, s12, 0
	v_add3_u32 v174, v8, v5, v6
	v_bfe_u32 v5, v0, 2, 8
	v_and_b32_e32 v9, 60, v5
	v_and_or_b32 v2, v0, 12, v2
	v_add_u16_e32 v7, v7, v9
	s_cmp_eq_u64 s[24:25], 0
	v_lshrrev_b32_e32 v2, 2, v2
	v_lshrrev_b16_e32 v7, 1, v7
	s_cselect_b64 s[58:59], -1, 0
	s_cmp_lg_u64 s[26:27], 0
	v_mul_u32_u24_e32 v2, 0x90, v2
	v_lshlrev_b32_e32 v7, 2, v7
	s_cselect_b64 s[60:61], -1, 0
	v_add3_u32 v175, 0, v2, v7
	v_mul_u32_u24_e32 v2, 0x210, v9
	v_or_b32_e32 v5, 3, v5
	v_lshlrev_b32_e32 v7, 1, v4
	s_lshl_b32 s4, s2, 4
	v_bfe_u32 v178, v88, 2, 8
	s_ashr_i32 s45, s44, 31
	s_ashr_i32 s39, s38, 31
	s_lshl_b32 s6, s38, 3
	s_ashr_i32 s15, s14, 31
	s_lshl_b32 s7, s14, 3
	v_mul_u32_u24_e32 v5, 0x210, v5
	v_add3_u32 v176, v8, v2, v7
	s_lshl_b64 s[4:5], s[4:5], 3
	v_add_u32_e32 v2, 1, v178
	v_add3_u32 v177, v8, v5, v7
	s_add_u32 s8, s30, s4
	v_lshlrev_b32_e32 v5, 2, v2
	v_and_b32_e32 v7, 15, v2
	s_movk_i32 s4, 0x1c0
	v_and_or_b32 v5, v5, s4, v7
	v_add_u32_e32 v7, 2, v178
	v_lshlrev_b32_e32 v8, 2, v7
	v_and_b32_e32 v9, 15, v7
	v_and_or_b32 v8, v8, s4, v9
	v_add_u32_e32 v9, 3, v178
	v_lshlrev_b32_e32 v10, 2, v9
	v_and_b32_e32 v11, 15, v9
	;; [unrolled: 4-line block ×7, first 2 shown]
	v_and_or_b32 v20, v20, s4, v21
	v_add_u32_e32 v21, 9, v178
	s_addc_u32 s9, s31, s5
	v_lshlrev_b32_e32 v22, 2, v21
	v_and_b32_e32 v23, 15, v21
	s_abs_i32 s57, s78
	v_and_or_b32 v22, v22, s4, v23
	v_add_u32_e32 v23, 10, v178
	v_cvt_f32_u32_e32 v32, s57
	v_lshlrev_b32_e32 v24, 2, v23
	v_and_b32_e32 v25, 15, v23
	v_and_or_b32 v24, v24, s4, v25
	v_add_u32_e32 v25, 11, v178
	v_lshlrev_b32_e32 v26, 2, v25
	v_and_b32_e32 v27, 15, v25
	s_abs_i32 s82, s77
	v_and_or_b32 v26, v26, s4, v27
	v_add_u32_e32 v27, 12, v178
	v_rcp_iflag_f32_e32 v32, v32
	v_cvt_f32_u32_e32 v37, s82
	v_lshlrev_b32_e32 v28, 2, v27
	v_and_b32_e32 v29, 15, v27
	v_and_or_b32 v28, v28, s4, v29
	v_add_u32_e32 v29, 13, v178
	s_abs_i32 s83, s76
	v_lshlrev_b32_e32 v30, 2, v29
	v_and_b32_e32 v31, 15, v29
	v_cvt_f32_u32_e32 v39, s83
	v_and_or_b32 v30, v30, s4, v31
	v_add_u32_e32 v31, 14, v178
	v_mul_f32_e32 v32, 0x4f7ffffe, v32
	v_rcp_iflag_f32_e32 v37, v37
	v_lshlrev_b32_e32 v33, 2, v31
	v_and_b32_e32 v34, 15, v31
	v_cvt_u32_f32_e32 v32, v32
	v_and_or_b32 v33, v33, s4, v34
	v_add_u32_e32 v34, 15, v178
	v_lshlrev_b32_e32 v35, 2, v34
	v_and_b32_e32 v36, 15, v34
	v_rcp_iflag_f32_e32 v39, v39
	v_and_or_b32 v35, v35, s4, v36
	s_sub_i32 s4, 0, s57
	v_mul_f32_e32 v37, 0x4f7ffffe, v37
	v_mul_lo_u32 v36, s4, v32
	v_cvt_u32_f32_e32 v37, v37
	v_mul_hi_u32 v36, v32, v36
	s_abs_i32 s84, s56
	v_add_u32_e32 v179, v32, v36
	v_mul_f32_e32 v36, 0x4f7ffffe, v39
	v_cvt_f32_u32_e32 v39, s84
	s_sub_i32 s4, 0, s82
	v_mul_lo_u32 v32, s4, v37
	v_mul_hi_u32 v32, v37, v32
	v_add_u32_e32 v180, v37, v32
	v_rcp_iflag_f32_e32 v32, v39
	v_accvgpr_write_b32 a5, v183
	v_accvgpr_write_b32 a4, v185
	s_movk_i32 s63, 0xc0
	v_mul_f32_e32 v32, 0x4f7ffffe, v32
	v_cvt_u32_f32_e32 v32, v32
	v_lshrrev_b32_e32 v187, 2, v2
	v_and_b32_e32 v188, 3, v2
	v_lshrrev_b32_e32 v2, 2, v7
	v_readfirstlane_b32 s62, v32
	v_or_b32_e32 v32, v183, v40
	v_lshlrev_b32_e32 v44, 3, v32
	v_lshlrev_b32_e32 v32, 1, v40
	v_and_b32_e32 v46, 62, v32
	v_lshl_add_u32 v182, v46, 1, v3
	v_add_u32_e32 v3, v185, v40
	v_mul_u32_u24_e32 v183, 0x210, v3
	v_or_b32_e32 v3, v185, v4
	v_mul_u32_u24_e32 v185, 0x210, v3
	v_bfe_u32 v3, v85, 2, 4
	v_and_or_b32 v3, v88, s63, v3
	v_mad_u32_u24 v186, v3, s12, 0
	v_lshrrev_b32_e32 v3, 2, v9
	v_accvgpr_write_b32 a11, v2
	v_and_b32_e32 v2, 3, v7
	v_accvgpr_write_b32 a14, v3
	v_and_b32_e32 v3, 3, v9
	v_mad_u32_u24 v189, v5, s12, 0
	v_accvgpr_write_b32 a12, v2
	v_mad_u32_u24 v2, v8, s12, 0
	v_accvgpr_write_b32 a15, v3
	v_mad_u32_u24 v3, v10, s12, 0
	v_lshrrev_b32_e32 v4, 2, v11
	v_lshrrev_b32_e32 v5, 2, v13
	v_add_u32_e32 v184, 0, v6
	v_accvgpr_write_b32 a17, v4
	v_mad_u32_u24 v4, v12, s12, 0
	v_accvgpr_write_b32 a19, v5
	v_and_b32_e32 v5, 3, v13
	v_lshrrev_b32_e32 v6, 2, v15
	v_accvgpr_write_b32 a13, v2
	v_add_u32_e32 v232, v2, v1
	v_add_u32_e32 v2, v3, v1
	v_accvgpr_write_b32 a20, v5
	v_mad_u32_u24 v5, v14, s12, 0
	v_accvgpr_write_b32 a22, v6
	v_and_b32_e32 v6, 3, v15
	v_lshrrev_b32_e32 v7, 2, v17
	v_accvgpr_write_b32 a50, v2
	v_add_u32_e32 v2, v4, v1
	v_accvgpr_write_b32 a23, v6
	v_mad_u32_u24 v6, v16, s12, 0
	v_accvgpr_write_b32 a25, v7
	v_and_b32_e32 v7, 3, v17
	v_accvgpr_write_b32 a51, v2
	v_add_u32_e32 v2, v5, v1
	v_accvgpr_write_b32 a26, v7
	v_mad_u32_u24 v7, v18, s12, 0
	v_lshrrev_b32_e32 v8, 2, v19
	v_lshrrev_b32_e32 v9, 2, v21
	v_accvgpr_write_b32 a52, v2
	v_add_u32_e32 v2, v6, v1
	v_accvgpr_write_b32 a28, v8
	v_mad_u32_u24 v8, v20, s12, 0
	v_accvgpr_write_b32 a30, v9
	v_and_b32_e32 v9, 3, v21
	v_lshrrev_b32_e32 v10, 2, v23
	v_accvgpr_write_b32 a53, v2
	v_add_u32_e32 v2, v7, v1
	v_accvgpr_write_b32 a31, v9
	v_mad_u32_u24 v9, v22, s12, 0
	v_accvgpr_write_b32 a33, v10
	v_and_b32_e32 v10, 3, v23
	;; [unrolled: 7-line block ×3, first 2 shown]
	v_accvgpr_write_b32 a55, v2
	v_add_u32_e32 v2, v9, v1
	v_accvgpr_write_b32 a37, v11
	v_mad_u32_u24 v11, v26, s12, 0
	v_lshrrev_b32_e32 v12, 2, v27
	v_lshrrev_b32_e32 v13, 2, v29
	v_accvgpr_write_b32 a56, v2
	v_add_u32_e32 v2, v10, v1
	v_accvgpr_write_b32 a39, v12
	v_mad_u32_u24 v12, v28, s12, 0
	v_accvgpr_write_b32 a41, v13
	v_and_b32_e32 v13, 3, v29
	v_lshrrev_b32_e32 v14, 2, v31
	v_accvgpr_write_b32 a57, v2
	v_add_u32_e32 v2, v11, v1
	v_accvgpr_write_b32 a42, v13
	v_mad_u32_u24 v13, v30, s12, 0
	v_accvgpr_write_b32 a44, v14
	v_and_b32_e32 v14, 3, v31
	v_accvgpr_write_b32 a58, v2
	v_add_u32_e32 v2, v12, v1
	v_accvgpr_write_b32 a45, v14
	v_mad_u32_u24 v14, v33, s12, 0
	v_accvgpr_write_b32 a59, v2
	v_add_u32_e32 v2, v13, v1
	v_mov_b32_e32 v45, 0
	v_accvgpr_write_b32 a60, v2
	v_add_u32_e32 v2, v14, v1
	v_accvgpr_write_b32 a16, v3
	v_accvgpr_write_b32 a61, v2
	v_lshl_add_u64 v[2:3], s[8:9], 0, v[44:45]
	v_mov_b32_e32 v43, v45
	v_accvgpr_write_b32 a65, v3
	v_mul_lo_u32 v64, s14, v172
	v_accvgpr_write_b32 a64, v2
	v_lshl_add_u64 v[2:3], s[22:23], 0, v[42:43]
	v_ashrrev_i32_e32 v65, 31, v64
	v_accvgpr_write_b32 a67, v3
	v_add_u32_e32 v66, s7, v64
	v_accvgpr_write_b32 a66, v2
	v_lshl_add_u64 v[2:3], v[64:65], 2, s[20:21]
	v_ashrrev_i32_e32 v67, 31, v66
	v_accvgpr_write_b32 a69, v3
	v_add_u32_e32 v68, s7, v66
	v_accvgpr_write_b32 a68, v2
	v_lshl_add_u64 v[2:3], v[66:67], 2, s[20:21]
	v_ashrrev_i32_e32 v69, 31, v68
	v_accvgpr_write_b32 a71, v3
	v_add_u32_e32 v70, s7, v68
	v_accvgpr_write_b32 a70, v2
	v_lshl_add_u64 v[2:3], v[68:69], 2, s[20:21]
	v_ashrrev_i32_e32 v71, 31, v70
	v_accvgpr_write_b32 a73, v3
	v_add_u32_e32 v72, s7, v70
	v_accvgpr_write_b32 a72, v2
	v_lshl_add_u64 v[2:3], v[70:71], 2, s[20:21]
	v_ashrrev_i32_e32 v73, 31, v72
	v_accvgpr_write_b32 a75, v3
	v_add_u32_e32 v74, s7, v72
	v_accvgpr_write_b32 a74, v2
	v_lshl_add_u64 v[2:3], v[72:73], 2, s[20:21]
	v_mul_lo_u32 v48, s38, v172
	v_ashrrev_i32_e32 v75, 31, v74
	v_accvgpr_write_b32 a77, v3
	v_add_u32_e32 v50, s6, v48
	v_add_u32_e32 v76, s7, v74
	v_accvgpr_write_b32 a76, v2
	v_lshl_add_u64 v[2:3], v[74:75], 2, s[20:21]
	v_add_u32_e32 v52, s6, v50
	v_ashrrev_i32_e32 v77, 31, v76
	v_lshrrev_b32_e32 v15, 2, v34
	v_accvgpr_write_b32 a79, v3
	v_cvt_u32_f32_e32 v36, v36
	v_add_u32_e32 v54, s6, v52
	v_add_u32_e32 v78, s7, v76
	v_accvgpr_write_b32 a47, v15
	v_and_b32_e32 v15, 3, v34
	v_accvgpr_write_b32 a78, v2
	v_lshl_add_u64 v[2:3], v[76:77], 2, s[20:21]
	v_add_u32_e32 v56, s6, v54
	v_ashrrev_i32_e32 v79, 31, v78
	v_accvgpr_write_b32 a48, v15
	v_mad_u32_u24 v15, v35, s12, 0
	s_sub_i32 s63, 0, s84
	v_accvgpr_write_b32 a81, v3
	v_add_u32_e32 v58, s6, v56
	v_add_u32_e32 v229, 0, v1
	;; [unrolled: 1-line block ×5, first 2 shown]
	s_mul_i32 s63, s63, s62
	v_accvgpr_write_b32 a80, v2
	v_lshl_add_u64 v[2:3], v[78:79], 2, s[20:21]
	s_sub_i32 s4, 0, s83
	v_ashrrev_i32_e32 v49, 31, v48
	v_add_u32_e32 v60, s6, v58
	v_accvgpr_write_b32 a62, v1
	s_mul_hi_u32 s63, s62, s63
	v_and_b32_e32 v1, 31, v0
	v_accvgpr_write_b32 a83, v3
	v_mul_lo_u32 v37, s4, v36
	v_add_u32_e32 v62, s6, v60
	s_add_i32 s89, s62, s63
	v_mad_u64_u32 v[80:81], s[62:63], v168, s80, v[40:41]
	v_lshlrev_b32_e32 v82, 4, v1
                                        ; implicit-def: $vgpr1
                                        ; implicit-def: $vgpr1
	;; [unrolled: 1-line block ×3, first 2 shown]
	v_accvgpr_write_b32 a82, v2
	v_lshl_add_u64 v[2:3], v[48:49], 2, s[18:19]
	v_mul_hi_u32 v37, v36, v37
	s_mov_b32 s13, 0x10001
	v_ashrrev_i32_e32 v51, 31, v50
	v_ashrrev_i32_e32 v53, 31, v52
	v_ashrrev_i32_e32 v55, 31, v54
	v_ashrrev_i32_e32 v57, 31, v56
	v_ashrrev_i32_e32 v59, 31, v58
	v_ashrrev_i32_e32 v61, 31, v60
	v_ashrrev_i32_e32 v63, 31, v62
	s_lshl_b64 s[62:63], s[44:45], 1
	v_mbcnt_lo_u32_b32 v1, -1, 0
	v_mad_u32_u24 v255, v85, s12, v229
	v_accvgpr_write_b32 a85, v3
	v_add_u32_e32 v181, v36, v37
	s_mul_i32 s85, s36, s37
	v_cmp_gt_u32_e64 s[4:5], 4, v172
	v_cmp_gt_u32_e64 s[6:7], 16, v40
	v_accvgpr_write_b32 a18, v4
	v_accvgpr_write_b32 a21, v5
	;; [unrolled: 1-line block ×12, first 2 shown]
	s_ashr_i32 s86, s78, 31
	s_ashr_i32 s87, s77, 31
	;; [unrolled: 1-line block ×3, first 2 shown]
	v_mov_b32_e32 v41, v45
	v_mov_b32_e32 v83, v45
	s_lshl_b64 s[64:65], s[14:15], 8
	s_lshl_b64 s[66:67], s[38:39], 8
	s_mov_b32 s45, 0x3f200000
	s_mov_b32 s63, 0x3fb8aa3b
	s_mov_b32 s90, 0xc2ce8ed0
	s_mov_b32 s91, 0x42b17218
	s_brev_b32 s92, -2
	s_mov_b32 s93, 0xc1a00000
	s_mov_b32 s94, 0x5040100
	s_movk_i32 s95, 0x47
	s_mov_b64 s[68:69], 0x80
	v_mbcnt_hi_u32_b32 v81, -1, v1
	v_accvgpr_write_b32 a9, v87
	v_mul_lo_u32 v246, v87, s13
	v_add_u32_e32 v247, 0x1080, v173
	v_add_u32_e32 v248, 0x2100, v173
	;; [unrolled: 1-line block ×7, first 2 shown]
	v_mul_u32_u24_e32 v254, 0x210, v85
	v_accvgpr_write_b32 a8, v86
	v_lshrrev_b32_e32 v226, 2, v86
	v_add_u32_e32 v227, 0x840, v255
	v_accvgpr_write_b32 a7, v84
	v_lshrrev_b32_e32 v223, 2, v84
	v_add_u32_e32 v224, 0x1080, v255
	;; [unrolled: 3-line block ×3, first 2 shown]
	v_accvgpr_write_b32 a10, v88
	v_bfe_u32 v221, v88, 4, 6
	v_bfe_u32 v244, v85, 2, 2
	v_mov_b32_e32 v218, 0x3ca908c9
	v_mov_b32_e32 v243, 0x7f800000
	v_and_b32_e32 v84, 3, v0
	v_accvgpr_write_b32 a84, v2
	v_lshl_add_u64 v[108:109], v[50:51], 2, s[18:19]
	v_lshl_add_u64 v[110:111], v[52:53], 2, s[18:19]
	;; [unrolled: 1-line block ×7, first 2 shown]
	s_branch .LBB30_12
.LBB30_10:                              ;   in Loop: Header=BB30_12 Depth=1
	s_or_b64 exec, exec, s[70:71]
	s_barrier
.LBB30_11:                              ;   in Loop: Header=BB30_12 Depth=1
	s_add_i32 s8, s54, s79
	s_abs_i32 s12, s8
	s_mul_hi_u32 s13, s12, s52
	s_mul_i32 s13, s13, s81
	s_sub_i32 s12, s12, s13
	s_ashr_i32 s9, s8, 31
	s_sub_i32 s13, s12, s81
	s_cmp_ge_u32 s12, s81
	s_cselect_b32 s12, s13, s12
	s_sub_i32 s13, s12, s81
	s_cmp_ge_u32 s12, s81
	s_cselect_b32 s12, s13, s12
	s_xor_b32 s12, s12, s9
	s_sub_i32 s9, s9, s12
	s_add_i32 s54, s8, s9
	v_subrev_u32_e32 v1, s54, v38
	v_cmp_lt_i32_e64 s[8:9], s54, v38
	v_cmp_le_i32_e32 vcc, s79, v1
	s_and_b64 s[12:13], vcc, s[8:9]
	v_min_i32_e32 v146, s79, v1
	s_mov_b32 s70, 0
	s_and_b64 vcc, exec, s[12:13]
	s_cbranch_vccz .LBB30_303
.LBB30_12:                              ; =>This Loop Header: Depth=1
                                        ;     Child Loop BB30_180 Depth 2
                                        ;     Child Loop BB30_34 Depth 2
	s_abs_i32 s9, s54
	v_mul_hi_u32 v1, s9, v179
	v_mul_lo_u32 v2, v1, s57
	v_sub_u32_e32 v2, s9, v2
	v_add_u32_e32 v3, 1, v1
	v_subrev_u32_e32 v4, s57, v2
	v_cmp_le_u32_e32 vcc, s57, v2
	s_ashr_i32 s8, s54, 31
	s_xor_b32 s8, s8, s86
	v_cndmask_b32_e32 v1, v1, v3, vcc
	v_cndmask_b32_e32 v2, v2, v4, vcc
	v_add_u32_e32 v3, 1, v1
	v_cmp_le_u32_e32 vcc, s57, v2
	s_nop 1
	v_cndmask_b32_e32 v1, v1, v3, vcc
	v_xor_b32_e32 v1, s8, v1
	v_subrev_u32_e32 v1, s8, v1
	v_mul_lo_u32 v2, v1, s78
	v_sub_u32_e32 v3, s54, v2
	v_sub_u32_e32 v4, 0, v3
	v_max_i32_e32 v4, v3, v4
	v_mul_hi_u32 v5, v4, v180
	v_mul_lo_u32 v6, v5, s82
	v_sub_u32_e32 v4, v4, v6
	v_add_u32_e32 v6, 1, v5
	v_subrev_u32_e32 v7, s82, v4
	v_cmp_le_u32_e32 vcc, s82, v4
	v_ashrrev_i32_e32 v2, 31, v3
	v_xor_b32_e32 v2, s87, v2
	v_cndmask_b32_e32 v5, v5, v6, vcc
	v_cndmask_b32_e32 v4, v4, v7, vcc
	v_add_u32_e32 v6, 1, v5
	v_cmp_le_u32_e32 vcc, s82, v4
	s_nop 1
	v_cndmask_b32_e32 v4, v5, v6, vcc
	v_xor_b32_e32 v4, v4, v2
	v_sub_u32_e32 v2, v4, v2
	v_mul_lo_u32 v4, v2, s77
	v_sub_u32_e32 v3, v3, v4
	v_sub_u32_e32 v5, 0, v3
	v_max_i32_e32 v5, v3, v5
	v_mul_hi_u32 v6, v5, v181
	v_mul_lo_u32 v7, v6, s83
	v_sub_u32_e32 v5, v5, v7
	v_add_u32_e32 v7, 1, v6
	v_subrev_u32_e32 v8, s83, v5
	v_cmp_le_u32_e32 vcc, s83, v5
	v_ashrrev_i32_e32 v4, 31, v3
	v_xor_b32_e32 v4, s88, v4
	v_cndmask_b32_e32 v6, v6, v7, vcc
	v_cndmask_b32_e32 v5, v5, v8, vcc
	v_add_u32_e32 v7, 1, v6
	v_cmp_le_u32_e32 vcc, s83, v5
	s_nop 1
	v_cndmask_b32_e32 v5, v6, v7, vcc
	v_xor_b32_e32 v5, v5, v4
	v_sub_u32_e32 v4, v5, v4
	v_mul_lo_u32 v5, v4, s76
	v_sub_u32_e32 v3, v3, v5
	v_sub_u32_e32 v6, 0, v3
	v_ashrrev_i32_e32 v5, 31, v3
	v_max_i32_e32 v3, v3, v6
	v_mul_hi_u32 v6, v3, s52
	v_mul_lo_u32 v7, v6, s81
	v_sub_u32_e32 v3, v3, v7
	v_add_u32_e32 v7, 1, v6
	v_subrev_u32_e32 v8, s81, v3
	v_cmp_le_u32_e32 vcc, s81, v3
	v_xor_b32_e32 v5, s42, v5
	s_nop 0
	v_cndmask_b32_e32 v6, v6, v7, vcc
	v_cndmask_b32_e32 v3, v3, v8, vcc
	v_add_u32_e32 v7, 1, v6
	v_cmp_le_u32_e32 vcc, s81, v3
	s_nop 1
	v_cndmask_b32_e32 v3, v6, v7, vcc
	v_xor_b32_e32 v3, v3, v5
	s_andn2_b64 vcc, exec, s[60:61]
	v_sub_u32_e32 v3, v3, v5
	s_cbranch_vccnz .LBB30_14
; %bb.13:                               ;   in Loop: Header=BB30_12 Depth=1
	v_mul_lo_u32 v5, v1, s75
	v_add_u32_e32 v6, v3, v5
	v_ashrrev_i32_e32 v7, 31, v6
	v_lshlrev_b64 v[6:7], 2, v[6:7]
	v_lshl_add_u64 v[6:7], s[26:27], 0, v[6:7]
	global_load_dword v5, v[6:7], off
	s_waitcnt vmcnt(0)
	v_ashrrev_i32_e32 v6, 31, v5
	v_lshrrev_b32_e32 v6, 26, v6
	v_add_u32_e32 v5, v5, v6
	v_ashrrev_i32_e32 v5, 6, v5
	v_min_i32_e32 v146, v146, v5
.LBB30_14:                              ;   in Loop: Header=BB30_12 Depth=1
	v_mul_lo_u32 v5, v2, s74
	v_lshlrev_b32_e32 v43, 2, v4
	v_add_u32_e32 v4, v43, v5
	v_mul_lo_u32 v6, v1, s49
	v_ashrrev_i32_e32 v7, 31, v6
	v_mul_lo_u32 v8, v4, s48
	v_lshl_add_u64 v[6:7], s[16:17], 0, v[6:7]
	v_ashrrev_i32_e32 v9, 31, v8
	v_ashrrev_i32_e32 v5, 31, v1
	v_lshl_add_u64 v[142:143], v[6:7], 0, v[8:9]
	v_mul_hi_u32 v6, s40, v1
	v_mul_lo_u32 v7, s40, v5
	v_add_u32_e32 v6, v6, v7
	v_mul_lo_u32 v7, s41, v1
	v_add_u32_e32 v133, v6, v7
	v_mul_lo_u32 v132, s40, v1
	v_mul_lo_u32 v134, v2, s53
	v_lshl_add_u64 v[6:7], s[18:19], 0, v[132:133]
	v_ashrrev_i32_e32 v135, 31, v134
	v_lshl_add_u64 v[128:129], v[6:7], 0, v[134:135]
	v_sub_u32_e32 v6, 0, v1
	v_max_i32_e32 v6, v1, v6
	v_mul_hi_u32 v7, v6, s89
	v_mul_lo_u32 v7, v7, s84
	v_sub_u32_e32 v6, v6, v7
	v_subrev_u32_e32 v7, s84, v6
	v_cmp_le_u32_e32 vcc, s84, v6
	v_mul_lo_u32 v138, s46, v1
	v_mul_lo_u32 v140, v2, s43
	v_cndmask_b32_e32 v6, v6, v7, vcc
	v_subrev_u32_e32 v7, s84, v6
	v_cmp_le_u32_e32 vcc, s84, v6
	v_ashrrev_i32_e32 v141, 31, v140
	v_lshlrev_b32_e32 v215, 2, v3
	v_cndmask_b32_e32 v6, v6, v7, vcc
	v_xor_b32_e32 v6, v6, v5
	v_sub_u32_e32 v6, v6, v5
	v_ashrrev_i32_e32 v7, 31, v6
	v_mul_lo_u32 v7, s50, v7
	v_mul_hi_u32 v8, s50, v6
	v_add_u32_e32 v7, v8, v7
	v_mul_lo_u32 v8, s51, v6
	v_mul_lo_u32 v136, s50, v6
	;; [unrolled: 1-line block ×3, first 2 shown]
	v_add_u32_e32 v6, v4, v6
	v_lshlrev_b32_e32 v44, 7, v6
	v_add_u32_e32 v137, v7, v8
	v_lshlrev_b64 v[6:7], 3, v[44:45]
	v_lshl_add_u64 v[122:123], s[28:29], 0, v[6:7]
	v_mul_hi_u32 v6, s46, v1
	v_mul_lo_u32 v5, s46, v5
	v_add_u32_e32 v5, v6, v5
	v_mul_lo_u32 v6, s47, v1
	v_add_u32_e32 v139, v5, v6
	v_ashrrev_i32_e32 v5, 31, v4
	v_lshlrev_b64 v[4:5], 2, v[4:5]
	v_lshl_add_u64 v[6:7], s[20:21], 0, v[138:139]
	v_lshl_add_u64 v[4:5], s[24:25], 0, v[4:5]
	;; [unrolled: 1-line block ×4, first 2 shown]
	v_cndmask_b32_e64 v125, v5, 0, s[58:59]
	v_cndmask_b32_e64 v124, v4, 0, s[58:59]
	s_cmp_lg_u32 s70, 0
	v_add_u32_e32 v147, v178, v215
	v_or_b32_e32 v148, v168, v43
	s_cbranch_scc0 .LBB30_52
; %bb.15:                               ;   in Loop: Header=BB30_12 Depth=1
	v_cmp_le_i32_e64 s[8:9], s36, v147
	v_cmp_le_i32_e64 s[12:13], s74, v148
	v_cmp_gt_i32_e32 vcc, s74, v148
	s_or_b64 s[8:9], s[8:9], s[12:13]
	s_and_saveexec_b64 s[12:13], s[8:9]
	s_xor_b64 s[8:9], exec, s[12:13]
; %bb.16:                               ;   in Loop: Header=BB30_12 Depth=1
	v_add_u32_e32 v1, v229, v254
	ds_write2st64_b32 v1, v45, v45 offset1:1
; %bb.17:                               ;   in Loop: Header=BB30_12 Depth=1
	s_andn2_saveexec_b64 s[8:9], s[8:9]
	s_cbranch_execz .LBB30_19
; %bb.18:                               ;   in Loop: Header=BB30_12 Depth=1
	v_mad_u64_u32 v[2:3], s[12:13], v147, s55, v[80:81]
	v_ashrrev_i32_e32 v3, 31, v2
	v_lshl_add_u64 v[2:3], v[2:3], 3, v[142:143]
	global_load_dwordx2 v[4:5], v[2:3], off
	s_nop 0
	global_load_dwordx2 v[2:3], v[2:3], off offset:512
	s_waitcnt vmcnt(1)
	v_cvt_pk_f16_f32 v1, v4, v5
	s_waitcnt vmcnt(0)
	v_cvt_pk_f16_f32 v2, v2, v3
	v_pk_mul_f16 v1, v1, v246
	v_pk_mul_f16 v2, v2, v246
	ds_write2st64_b32 v255, v1, v2 offset1:1
.LBB30_19:                              ;   in Loop: Header=BB30_12 Depth=1
	s_or_b64 exec, exec, s[8:9]
	v_add_u32_e32 v1, v226, v215
	v_cmp_le_i32_e64 s[8:9], s36, v1
	s_xor_b64 s[12:13], vcc, -1
	s_or_b64 s[8:9], s[8:9], s[12:13]
	s_and_saveexec_b64 s[72:73], s[8:9]
	s_xor_b64 s[8:9], exec, s[72:73]
; %bb.20:                               ;   in Loop: Header=BB30_12 Depth=1
	v_add_u32_e32 v1, v229, v254
	v_add_u32_e32 v1, 64, v1
	ds_write2st64_b32 v1, v45, v45 offset0:8 offset1:9
                                        ; implicit-def: $vgpr1
; %bb.21:                               ;   in Loop: Header=BB30_12 Depth=1
	s_andn2_saveexec_b64 s[8:9], s[8:9]
	s_cbranch_execz .LBB30_23
; %bb.22:                               ;   in Loop: Header=BB30_12 Depth=1
	v_mad_u64_u32 v[2:3], s[72:73], v1, s55, v[80:81]
	v_ashrrev_i32_e32 v3, 31, v2
	v_lshl_add_u64 v[2:3], v[2:3], 3, v[142:143]
	global_load_dwordx2 v[4:5], v[2:3], off
	s_nop 0
	global_load_dwordx2 v[2:3], v[2:3], off offset:512
	s_waitcnt vmcnt(1)
	v_cvt_pk_f16_f32 v1, v4, v5
	s_waitcnt vmcnt(0)
	v_cvt_pk_f16_f32 v2, v2, v3
	v_pk_mul_f16 v1, v1, v246
	v_pk_mul_f16 v2, v2, v246
	ds_write2st64_b32 v227, v1, v2 offset1:1
.LBB30_23:                              ;   in Loop: Header=BB30_12 Depth=1
	s_or_b64 exec, exec, s[8:9]
	v_add_u32_e32 v1, v223, v215
	v_cmp_le_i32_e32 vcc, s36, v1
	s_or_b64 s[8:9], vcc, s[12:13]
	s_and_saveexec_b64 s[72:73], s[8:9]
	s_xor_b64 s[8:9], exec, s[72:73]
; %bb.24:                               ;   in Loop: Header=BB30_12 Depth=1
	v_add_u32_e32 v1, v229, v254
	v_add_u32_e32 v1, 0x80, v1
	ds_write2st64_b32 v1, v45, v45 offset0:16 offset1:17
                                        ; implicit-def: $vgpr1
; %bb.25:                               ;   in Loop: Header=BB30_12 Depth=1
	s_andn2_saveexec_b64 s[8:9], s[8:9]
	s_cbranch_execz .LBB30_27
; %bb.26:                               ;   in Loop: Header=BB30_12 Depth=1
	v_mad_u64_u32 v[2:3], s[72:73], v1, s55, v[80:81]
	v_ashrrev_i32_e32 v3, 31, v2
	v_lshl_add_u64 v[2:3], v[2:3], 3, v[142:143]
	global_load_dwordx2 v[4:5], v[2:3], off
	s_nop 0
	global_load_dwordx2 v[2:3], v[2:3], off offset:512
	s_waitcnt vmcnt(1)
	v_cvt_pk_f16_f32 v1, v4, v5
	s_waitcnt vmcnt(0)
	v_cvt_pk_f16_f32 v2, v2, v3
	v_pk_mul_f16 v1, v1, v246
	v_pk_mul_f16 v2, v2, v246
	ds_write2st64_b32 v224, v1, v2 offset1:1
.LBB30_27:                              ;   in Loop: Header=BB30_12 Depth=1
	s_or_b64 exec, exec, s[8:9]
	v_add_u32_e32 v1, v220, v215
	v_cmp_le_i32_e32 vcc, s36, v1
	s_or_b64 s[8:9], vcc, s[12:13]
	s_and_saveexec_b64 s[12:13], s[8:9]
	s_xor_b64 s[8:9], exec, s[12:13]
; %bb.28:                               ;   in Loop: Header=BB30_12 Depth=1
	v_add_u32_e32 v1, v229, v254
	v_add_u32_e32 v1, 0xc0, v1
	ds_write2st64_b32 v1, v45, v45 offset0:24 offset1:25
                                        ; implicit-def: $vgpr1
; %bb.29:                               ;   in Loop: Header=BB30_12 Depth=1
	s_andn2_saveexec_b64 s[8:9], s[8:9]
	s_cbranch_execz .LBB30_31
; %bb.30:                               ;   in Loop: Header=BB30_12 Depth=1
	v_mad_u64_u32 v[2:3], s[12:13], v1, s55, v[80:81]
	v_ashrrev_i32_e32 v3, 31, v2
	v_lshl_add_u64 v[2:3], v[2:3], 3, v[142:143]
	global_load_dwordx2 v[4:5], v[2:3], off
	s_nop 0
	global_load_dwordx2 v[2:3], v[2:3], off offset:512
	s_waitcnt vmcnt(1)
	v_cvt_pk_f16_f32 v1, v4, v5
	s_waitcnt vmcnt(0)
	v_cvt_pk_f16_f32 v2, v2, v3
	v_pk_mul_f16 v1, v1, v246
	v_pk_mul_f16 v2, v2, v246
	ds_write2st64_b32 v245, v1, v2 offset1:1
.LBB30_31:                              ;   in Loop: Header=BB30_12 Depth=1
	s_or_b64 exec, exec, s[8:9]
	s_waitcnt lgkmcnt(0)
	s_barrier
	ds_read2_b64 v[30:33], v171 offset1:4
	ds_read2_b64 v[26:29], v171 offset0:8 offset1:12
	ds_read2_b64 v[22:25], v171 offset0:16 offset1:20
	;; [unrolled: 1-line block ×7, first 2 shown]
	v_add_u32_e32 v149, -1, v146
	v_cmp_ge_i32_e32 vcc, s70, v149
	s_waitcnt lgkmcnt(0)
	s_barrier
	s_cbranch_vccnz .LBB30_53
; %bb.32:                               ;   in Loop: Header=BB30_12 Depth=1
	v_add_u32_e32 v1, v215, v172
	v_mul_hi_u32 v34, s34, v1
	v_add_u32_e32 v34, v1, v34
	v_lshrrev_b32_e32 v34, s35, v34
	v_mul_lo_u32 v34, v34, s36
	v_sub_u32_e32 v1, v1, v34
	v_mad_i64_i32 v[34:35], s[8:9], v1, s44, 0
	v_lshl_add_u64 v[34:35], v[34:35], 1, v[130:131]
	v_lshlrev_b32_e32 v44, 1, v46
	v_and_b32_e32 v1, 64, v81
	v_lshl_add_u64 v[144:145], v[34:35], 0, v[44:45]
	v_add_u32_e32 v1, 64, v1
	v_xor_b32_e32 v34, 32, v81
	v_cmp_lt_i32_e32 vcc, v34, v1
	s_lshl_b32 s8, s70, 6
	v_mov_b32_e32 v153, 0
	v_cndmask_b32_e32 v34, v81, v34, vcc
	v_lshlrev_b32_e32 v150, 2, v34
	v_xor_b32_e32 v34, 16, v81
	v_cmp_lt_i32_e32 vcc, v34, v1
	v_mov_b32_e32 v87, 0xfeffffff
	v_mov_b32_e32 v86, 0
	v_cndmask_b32_e32 v1, v81, v34, vcc
	v_lshlrev_b32_e32 v151, 2, v1
	v_mov_b32_e32 v193, 0
	v_mov_b32_e32 v197, 0
	;; [unrolled: 1-line block ×31, first 2 shown]
	s_ashr_i32 s9, s8, 31
	s_and_saveexec_b64 s[12:13], s[4:5]
	s_cbranch_execz .LBB30_34
.LBB30_33:                              ;   in Loop: Header=BB30_12 Depth=1
	v_lshl_add_u64 v[34:35], s[8:9], 1, v[144:145]
	global_load_dword v34, v[34:35], off
	s_waitcnt vmcnt(0)
	ds_write_b32 v182, v34 offset:33792
.LBB30_34:                              ;   Parent Loop BB30_12 Depth=1
                                        ; =>  This Inner Loop Header: Depth=2
	s_or_b64 exec, exec, s[12:13]
	s_mul_hi_i32 s13, s8, s38
	s_mul_i32 s12, s8, s38
	s_lshl_b64 s[12:13], s[12:13], 2
	v_lshl_add_u64 v[34:35], v[128:129], 0, s[12:13]
	v_lshl_add_u64 v[36:37], v[48:49], 2, v[34:35]
	v_lshlrev_b32_e32 v44, 2, v42
	v_lshl_add_u64 v[36:37], v[36:37], 0, v[44:45]
	v_lshl_add_u64 v[88:89], v[50:51], 2, v[34:35]
	;; [unrolled: 1-line block ×9, first 2 shown]
	global_load_dwordx4 v[34:37], v[36:37], off
	v_lshl_add_u64 v[88:89], v[88:89], 0, v[44:45]
	v_lshl_add_u64 v[90:91], v[90:91], 0, v[44:45]
	;; [unrolled: 1-line block ×6, first 2 shown]
	s_waitcnt vmcnt(0)
	ds_write_b128 v173, v[34:37]
	global_load_dwordx4 v[34:37], v[88:89], off
                                        ; implicit-def: $vgpr89
	s_waitcnt vmcnt(0)
	ds_write_b128 v247, v[34:37]
	global_load_dwordx4 v[34:37], v[90:91], off
	s_waitcnt vmcnt(0)
	ds_write_b128 v248, v[34:37]
	global_load_dwordx4 v[34:37], v[92:93], off
	;; [unrolled: 3-line block ×6, first 2 shown]
	s_waitcnt vmcnt(0)
	ds_write_b128 v253, v[34:37]
	s_waitcnt lgkmcnt(0)
	s_barrier
	ds_read2_b64 v[34:37], v174 offset1:4
	s_waitcnt lgkmcnt(0)
	v_mfma_f32_16x16x16_f16 a[0:3], v[34:35], v[30:31], 0
	v_mfma_f32_16x16x16_f16 a[0:3], v[36:37], v[32:33], a[0:3]
	ds_read2_b64 v[34:37], v174 offset0:8 offset1:12
	s_waitcnt lgkmcnt(0)
	v_mfma_f32_16x16x16_f16 a[0:3], v[34:35], v[26:27], a[0:3]
	v_mfma_f32_16x16x16_f16 a[0:3], v[36:37], v[28:29], a[0:3]
	ds_read2_b64 v[34:37], v174 offset0:16 offset1:20
	;; [unrolled: 4-line block ×7, first 2 shown]
	s_waitcnt lgkmcnt(0)
	s_barrier
	v_mfma_f32_16x16x16_f16 a[0:3], v[34:35], v[2:3], a[0:3]
	v_mfma_f32_16x16x16_f16 a[0:3], v[36:37], v[4:5], a[0:3]
	s_nop 7
	v_accvgpr_read_b32 v88, a0
	v_cmp_nlt_f32_e64 s[12:13], |v88|, s45
	s_and_saveexec_b64 s[72:73], s[12:13]
	s_xor_b64 s[12:13], exec, s[72:73]
	s_cbranch_execz .LBB30_36
; %bb.35:                               ;   in Loop: Header=BB30_34 Depth=2
	v_add_f32_e64 v34, |v88|, |v88|
	v_mul_f32_e32 v35, 0x3fb8aa3b, v34
	v_rndne_f32_e32 v36, v35
	v_sub_f32_e32 v37, v35, v36
	v_fma_f32 v35, v34, s63, -v35
	v_fmac_f32_e32 v35, 0x32a5705f, v34
	v_add_f32_e32 v35, v37, v35
	v_cvt_i32_f32_e32 v36, v36
	v_exp_f32_e32 v35, v35
	v_cmp_ngt_f32_e32 vcc, s90, v34
	v_ldexp_f32 v35, v35, v36
	s_nop 0
	v_cndmask_b32_e32 v35, 0, v35, vcc
	v_cmp_nlt_f32_e32 vcc, s91, v34
	s_nop 1
	v_cndmask_b32_e32 v34, v243, v35, vcc
	v_add_f32_e32 v34, 1.0, v34
	v_rcp_f32_e32 v34, v34
	s_nop 0
	v_fma_f32 v89, v34, -2.0, 1.0
.LBB30_36:                              ;   in Loop: Header=BB30_34 Depth=2
	s_andn2_saveexec_b64 s[12:13], s[12:13]
; %bb.37:                               ;   in Loop: Header=BB30_34 Depth=2
	v_mul_f32_e32 v34, v88, v88
	v_fmamk_f32 v35, v34, 0xbbbac73d, v218
	v_fmaak_f32 v35, v34, v35, 0xbd5c1c4e
	v_fmaak_f32 v35, v34, v35, 0x3e088382
	;; [unrolled: 1-line block ×3, first 2 shown]
	v_mul_f32_e64 v35, |v88|, v35
	v_fma_f32 v89, v34, v35, |v88|
; %bb.38:                               ;   in Loop: Header=BB30_34 Depth=2
	s_or_b64 exec, exec, s[12:13]
	v_accvgpr_read_b32 v37, a3
	v_accvgpr_read_b32 v35, a1
	v_accvgpr_read_b32 v36, a2
	v_accvgpr_read_b32 v34, a0
	v_cmp_nlt_f32_e64 s[12:13], |v35|, s45
                                        ; implicit-def: $vgpr34
	s_and_saveexec_b64 s[72:73], s[12:13]
	s_xor_b64 s[12:13], exec, s[72:73]
	s_cbranch_execz .LBB30_40
; %bb.39:                               ;   in Loop: Header=BB30_34 Depth=2
	v_add_f32_e64 v34, |v35|, |v35|
	v_mul_f32_e32 v90, 0x3fb8aa3b, v34
	v_rndne_f32_e32 v91, v90
	v_sub_f32_e32 v92, v90, v91
	v_fma_f32 v90, v34, s63, -v90
	v_fmac_f32_e32 v90, 0x32a5705f, v34
	v_add_f32_e32 v90, v92, v90
	v_cvt_i32_f32_e32 v91, v91
	v_exp_f32_e32 v90, v90
	v_cmp_ngt_f32_e32 vcc, s90, v34
	v_ldexp_f32 v90, v90, v91
	s_nop 0
	v_cndmask_b32_e32 v90, 0, v90, vcc
	v_cmp_nlt_f32_e32 vcc, s91, v34
	s_nop 1
	v_cndmask_b32_e32 v34, v243, v90, vcc
	v_add_f32_e32 v34, 1.0, v34
	v_rcp_f32_e32 v34, v34
	s_nop 0
	v_fma_f32 v34, v34, -2.0, 1.0
.LBB30_40:                              ;   in Loop: Header=BB30_34 Depth=2
	s_andn2_saveexec_b64 s[12:13], s[12:13]
; %bb.41:                               ;   in Loop: Header=BB30_34 Depth=2
	v_mul_f32_e32 v34, v35, v35
	v_fmamk_f32 v90, v34, 0xbbbac73d, v218
	v_fmaak_f32 v90, v34, v90, 0xbd5c1c4e
	v_fmaak_f32 v90, v34, v90, 0x3e088382
	;; [unrolled: 1-line block ×3, first 2 shown]
	v_mul_f32_e64 v90, |v35|, v90
	v_fma_f32 v34, v34, v90, |v35|
; %bb.42:                               ;   in Loop: Header=BB30_34 Depth=2
	s_or_b64 exec, exec, s[12:13]
	v_cmp_nlt_f32_e64 s[12:13], |v36|, s45
                                        ; implicit-def: $vgpr90
	s_and_saveexec_b64 s[72:73], s[12:13]
	s_xor_b64 s[12:13], exec, s[72:73]
	s_cbranch_execz .LBB30_44
; %bb.43:                               ;   in Loop: Header=BB30_34 Depth=2
	v_add_f32_e64 v90, |v36|, |v36|
	v_mul_f32_e32 v91, 0x3fb8aa3b, v90
	v_rndne_f32_e32 v92, v91
	v_sub_f32_e32 v93, v91, v92
	v_fma_f32 v91, v90, s63, -v91
	v_fmac_f32_e32 v91, 0x32a5705f, v90
	v_add_f32_e32 v91, v93, v91
	v_cvt_i32_f32_e32 v92, v92
	v_exp_f32_e32 v91, v91
	v_cmp_ngt_f32_e32 vcc, s90, v90
	v_ldexp_f32 v91, v91, v92
	s_nop 0
	v_cndmask_b32_e32 v91, 0, v91, vcc
	v_cmp_nlt_f32_e32 vcc, s91, v90
	s_nop 1
	v_cndmask_b32_e32 v90, v243, v91, vcc
	v_add_f32_e32 v90, 1.0, v90
	v_rcp_f32_e32 v90, v90
	s_nop 0
	v_fma_f32 v90, v90, -2.0, 1.0
.LBB30_44:                              ;   in Loop: Header=BB30_34 Depth=2
	s_andn2_saveexec_b64 s[12:13], s[12:13]
; %bb.45:                               ;   in Loop: Header=BB30_34 Depth=2
	v_mul_f32_e32 v90, v36, v36
	v_fmamk_f32 v91, v90, 0xbbbac73d, v218
	v_fmaak_f32 v91, v90, v91, 0xbd5c1c4e
	v_fmaak_f32 v91, v90, v91, 0x3e088382
	;; [unrolled: 1-line block ×3, first 2 shown]
	v_mul_f32_e64 v91, |v36|, v91
	v_fma_f32 v90, v90, v91, |v36|
; %bb.46:                               ;   in Loop: Header=BB30_34 Depth=2
	s_or_b64 exec, exec, s[12:13]
	v_cmp_nlt_f32_e64 s[12:13], |v37|, s45
                                        ; implicit-def: $vgpr91
	s_and_saveexec_b64 s[72:73], s[12:13]
	s_xor_b64 s[12:13], exec, s[72:73]
	s_cbranch_execz .LBB30_48
; %bb.47:                               ;   in Loop: Header=BB30_34 Depth=2
	v_add_f32_e64 v91, |v37|, |v37|
	v_mul_f32_e32 v92, 0x3fb8aa3b, v91
	v_rndne_f32_e32 v93, v92
	v_sub_f32_e32 v94, v92, v93
	v_fma_f32 v92, v91, s63, -v92
	v_fmac_f32_e32 v92, 0x32a5705f, v91
	v_add_f32_e32 v92, v94, v92
	v_cvt_i32_f32_e32 v93, v93
	v_exp_f32_e32 v92, v92
	v_cmp_ngt_f32_e32 vcc, s90, v91
	v_ldexp_f32 v92, v92, v93
	s_nop 0
	v_cndmask_b32_e32 v92, 0, v92, vcc
	v_cmp_nlt_f32_e32 vcc, s91, v91
	s_nop 1
	v_cndmask_b32_e32 v91, v243, v92, vcc
	v_add_f32_e32 v91, 1.0, v91
	v_rcp_f32_e32 v91, v91
	s_nop 0
	v_fma_f32 v91, v91, -2.0, 1.0
.LBB30_48:                              ;   in Loop: Header=BB30_34 Depth=2
	s_andn2_saveexec_b64 s[12:13], s[12:13]
; %bb.49:                               ;   in Loop: Header=BB30_34 Depth=2
	v_mul_f32_e32 v91, v37, v37
	v_fmamk_f32 v92, v91, 0xbbbac73d, v218
	v_fmaak_f32 v92, v91, v92, 0xbd5c1c4e
	v_fmaak_f32 v92, v91, v92, 0x3e088382
	;; [unrolled: 1-line block ×3, first 2 shown]
	v_mul_f32_e64 v92, |v37|, v92
	v_fma_f32 v91, v91, v92, |v37|
; %bb.50:                               ;   in Loop: Header=BB30_34 Depth=2
	s_or_b64 exec, exec, s[12:13]
	v_bfi_b32 v88, s92, v89, v88
	v_bfi_b32 v89, s92, v34, v35
	v_add_u32_e32 v34, 0x8400, v175
	ds_read2_b32 v[34:35], v34 offset1:1
	v_bfi_b32 v36, s92, v90, v36
	v_bfi_b32 v37, s92, v91, v37
	s_mul_hi_i32 s13, s8, s14
	s_mul_i32 s12, s8, s14
	s_waitcnt lgkmcnt(0)
	v_fma_mix_f32 v88, s3, v88, v34 op_sel_hi:[0,0,1]
	v_fma_mix_f32 v89, s3, v89, v34 op_sel:[0,0,1] op_sel_hi:[0,0,1]
	v_fma_mix_f32 v90, s3, v36, v35 op_sel_hi:[0,0,1]
	v_fma_mix_f32 v37, s3, v37, v35 op_sel:[0,0,1] op_sel_hi:[0,0,1]
	v_add_f32_e32 v34, 0x40051340, v88
	v_add_f32_e32 v35, 0x40051340, v89
	v_max3_f32 v34, v87, v34, v35
	v_add_f32_e32 v35, 0x40051340, v90
	v_add_f32_e32 v36, 0x40051340, v37
	v_max3_f32 v34, v34, v35, v36
	ds_bpermute_b32 v35, v150, v34
	s_lshl_b64 s[12:13], s[12:13], 2
	s_add_i32 s70, s70, 1
	s_add_i32 s8, s8, 64
	s_waitcnt lgkmcnt(0)
	v_max_f32_e32 v35, v35, v35
	v_max_f32_e32 v34, v34, v35
	ds_bpermute_b32 v35, v151, v34
	s_waitcnt lgkmcnt(0)
	v_max_f32_e32 v35, v35, v35
	v_max_f32_e32 v36, v34, v35
	v_sub_f32_e32 v34, v88, v36
	v_mul_f32_e32 v35, 0x3fb8aa3b, v34
	v_fma_f32 v88, v34, s63, -v35
	v_rndne_f32_e32 v91, v35
	v_fmac_f32_e32 v88, 0x32a5705f, v34
	v_sub_f32_e32 v35, v35, v91
	v_add_f32_e32 v35, v35, v88
	v_exp_f32_e32 v35, v35
	v_cvt_i32_f32_e32 v88, v91
	v_cmp_ngt_f32_e32 vcc, s90, v34
	v_sub_f32_e32 v37, v37, v36
	v_sub_f32_e32 v87, v87, v36
	v_ldexp_f32 v35, v35, v88
	v_cndmask_b32_e32 v35, 0, v35, vcc
	v_cmp_nlt_f32_e32 vcc, s91, v34
	s_nop 1
	v_cndmask_b32_e32 v34, v243, v35, vcc
	v_sub_f32_e32 v35, v89, v36
	v_mul_f32_e32 v88, 0x3fb8aa3b, v35
	v_fma_f32 v89, v35, s63, -v88
	v_rndne_f32_e32 v91, v88
	v_fmac_f32_e32 v89, 0x32a5705f, v35
	v_sub_f32_e32 v88, v88, v91
	v_add_f32_e32 v88, v88, v89
	v_exp_f32_e32 v88, v88
	v_cvt_i32_f32_e32 v89, v91
	v_cmp_ngt_f32_e32 vcc, s90, v35
	v_ldexp_f32 v88, v88, v89
	s_nop 0
	v_cndmask_b32_e32 v88, 0, v88, vcc
	v_cmp_nlt_f32_e32 vcc, s91, v35
	v_sub_f32_e32 v35, v90, v36
	v_mul_f32_e32 v89, 0x3fb8aa3b, v35
	v_fma_f32 v90, v35, s63, -v89
	v_rndne_f32_e32 v91, v89
	v_fmac_f32_e32 v90, 0x32a5705f, v35
	v_sub_f32_e32 v89, v89, v91
	v_add_f32_e32 v89, v89, v90
	v_exp_f32_e32 v89, v89
	v_cvt_i32_f32_e32 v90, v91
	v_cndmask_b32_e32 v161, v243, v88, vcc
	v_cmp_ngt_f32_e32 vcc, s90, v35
	v_add_f32_e32 v88, v34, v161
	v_ldexp_f32 v89, v89, v90
	v_cndmask_b32_e32 v89, 0, v89, vcc
	v_cmp_nlt_f32_e32 vcc, s91, v35
	v_cvt_pk_f16_f32 v34, v34, v161
	s_nop 0
	v_cndmask_b32_e32 v35, v243, v89, vcc
	v_mul_f32_e32 v89, 0x3fb8aa3b, v37
	v_fma_f32 v90, v37, s63, -v89
	v_rndne_f32_e32 v91, v89
	v_fmac_f32_e32 v90, 0x32a5705f, v37
	v_sub_f32_e32 v89, v89, v91
	v_add_f32_e32 v89, v89, v90
	v_exp_f32_e32 v89, v89
	v_cvt_i32_f32_e32 v90, v91
	v_cmp_ngt_f32_e32 vcc, s90, v37
	v_add_f32_e32 v88, v35, v88
	v_ldexp_f32 v89, v89, v90
	v_cndmask_b32_e32 v89, 0, v89, vcc
	v_cmp_nlt_f32_e32 vcc, s91, v37
	s_nop 1
	v_cndmask_b32_e32 v94, v243, v89, vcc
	v_add_f32_e32 v37, v94, v88
	v_mul_f32_e32 v88, 0x3fb8aa3b, v87
	v_fma_f32 v89, v87, s63, -v88
	v_rndne_f32_e32 v90, v88
	v_fmac_f32_e32 v89, 0x32a5705f, v87
	v_sub_f32_e32 v88, v88, v90
	v_add_f32_e32 v88, v88, v89
	v_exp_f32_e32 v88, v88
	v_cvt_i32_f32_e32 v89, v90
	v_cmp_ngt_f32_e32 vcc, s90, v87
	v_cvt_pk_f16_f32 v35, v35, v94
	v_ldexp_f32 v88, v88, v89
	v_cndmask_b32_e32 v88, 0, v88, vcc
	v_cmp_nlt_f32_e32 vcc, s91, v87
	s_nop 1
	v_cndmask_b32_e32 v88, v243, v88, vcc
	v_cmp_le_f32_e32 vcc, s93, v87
	s_nop 1
	v_cndmask_b32_e32 v87, 0, v88, vcc
	v_fmac_f32_e32 v37, v86, v87
	v_cvt_f16_f32_e32 v86, v87
	v_cmp_lt_i32_e32 vcc, s70, v149
	s_and_b64 vcc, exec, vcc
	v_mul_u32_u24_e32 v96, 0x10001, v86
	v_pk_mul_f16 v162, v201, v96
	v_pk_mul_f16 v95, v160, v96
	;; [unrolled: 1-line block ×32, first 2 shown]
	v_lshl_add_u64 v[96:97], v[126:127], 0, s[12:13]
	v_lshl_add_u64 v[98:99], v[64:65], 2, v[96:97]
	;; [unrolled: 1-line block ×3, first 2 shown]
	global_load_dwordx4 v[234:237], v[98:99], off
	v_lshl_add_u64 v[100:101], v[66:67], 2, v[96:97]
	v_lshl_add_u64 v[100:101], v[100:101], 0, v[44:45]
	;; [unrolled: 1-line block ×14, first 2 shown]
	v_cvt_f32_f16_e32 v98, v163
	v_cvt_f32_f16_sdwa v99, v163 dst_sel:DWORD dst_unused:UNUSED_PAD src0_sel:WORD_1
	s_waitcnt vmcnt(0)
	ds_write_b128 v173, v[234:237]
	global_load_dwordx4 v[234:237], v[100:101], off
	v_cvt_f32_f16_e32 v100, v158
	v_cvt_f32_f16_sdwa v101, v158 dst_sel:DWORD dst_unused:UNUSED_PAD src0_sel:WORD_1
	s_waitcnt vmcnt(0)
	ds_write_b128 v247, v[234:237]
	global_load_dwordx4 v[234:237], v[102:103], off
	s_waitcnt vmcnt(0)
	ds_write_b128 v248, v[234:237]
	global_load_dwordx4 v[234:237], v[104:105], off
	v_cvt_f32_f16_e32 v104, v156
	v_cvt_f32_f16_sdwa v105, v156 dst_sel:DWORD dst_unused:UNUSED_PAD src0_sel:WORD_1
	s_waitcnt vmcnt(0)
	ds_write_b128 v249, v[234:237]
	global_load_dwordx4 v[234:237], v[106:107], off
	s_waitcnt vmcnt(0)
	ds_write_b128 v250, v[234:237]
	global_load_dwordx4 v[234:237], v[166:167], off
	;; [unrolled: 3-line block ×4, first 2 shown]
	s_waitcnt vmcnt(0)
	ds_write_b128 v253, v[234:237]
	s_waitcnt lgkmcnt(0)
	s_barrier
	ds_read_u16 v1, v176 offset:528
	ds_read_u16 v39, v176 offset:1056
	ds_read_u16 v44, v177
	ds_read_u16 v47, v177 offset:32
	s_waitcnt lgkmcnt(1)
	v_perm_b32 v97, v44, v39, s94
	ds_read_u16 v39, v176
	ds_read_u16 v94, v176 offset:32
	v_cvt_f32_f16_e32 v44, v95
	v_cvt_f32_f16_sdwa v95, v95 dst_sel:DWORD dst_unused:UNUSED_PAD src0_sel:WORD_1
	s_waitcnt lgkmcnt(1)
	v_perm_b32 v96, v1, v39, s94
	v_cvt_f32_f16_e32 v1, v162
	v_cvt_f32_f16_sdwa v39, v162 dst_sel:DWORD dst_unused:UNUSED_PAD src0_sel:WORD_1
	v_accvgpr_write_b32 a2, v44
	v_accvgpr_write_b32 a3, v95
	;; [unrolled: 1-line block ×4, first 2 shown]
	ds_read_u16 v1, v176 offset:560
	ds_read_u16 v39, v176 offset:1088
	v_mfma_f32_16x16x16_f16 a[0:3], v[96:97], v[34:35], a[0:3]
	v_cvt_f32_f16_sdwa v96, v199 dst_sel:DWORD dst_unused:UNUSED_PAD src0_sel:WORD_1
	s_waitcnt lgkmcnt(1)
	v_perm_b32 v94, v1, v94, s94
	s_waitcnt lgkmcnt(0)
	v_perm_b32 v95, v47, v39, s94
	v_cvt_f32_f16_e32 v1, v93
	v_cvt_f32_f16_sdwa v39, v93 dst_sel:DWORD dst_unused:UNUSED_PAD src0_sel:WORD_1
	v_cvt_f32_f16_e32 v47, v92
	v_cvt_f32_f16_sdwa v92, v92 dst_sel:DWORD dst_unused:UNUSED_PAD src0_sel:WORD_1
	v_accvgpr_read_b32 v44, a0
	v_accvgpr_read_b32 v160, a1
	;; [unrolled: 1-line block ×4, first 2 shown]
	v_accvgpr_write_b32 a0, v1
	v_accvgpr_write_b32 a1, v39
	;; [unrolled: 1-line block ×4, first 2 shown]
	ds_read_u16 v1, v176 offset:64
	ds_read_u16 v39, v176 offset:592
	;; [unrolled: 1-line block ×4, first 2 shown]
	v_mfma_f32_16x16x16_f16 a[0:3], v[94:95], v[34:35], a[0:3]
	v_cvt_f32_f16_e32 v95, v199
	s_waitcnt lgkmcnt(0)
	v_perm_b32 v93, v92, v47, s94
	v_perm_b32 v92, v39, v1, s94
	v_cvt_f32_f16_e32 v1, v91
	v_cvt_f32_f16_sdwa v39, v91 dst_sel:DWORD dst_unused:UNUSED_PAD src0_sel:WORD_1
	v_cvt_f32_f16_e32 v47, v90
	v_cvt_f32_f16_sdwa v90, v90 dst_sel:DWORD dst_unused:UNUSED_PAD src0_sel:WORD_1
	v_accvgpr_read_b32 v165, a0
	v_accvgpr_read_b32 v198, a1
	;; [unrolled: 1-line block ×4, first 2 shown]
	v_accvgpr_write_b32 a0, v1
	v_accvgpr_write_b32 a1, v39
	;; [unrolled: 1-line block ×4, first 2 shown]
	ds_read_u16 v1, v176 offset:96
	ds_read_u16 v39, v176 offset:624
	;; [unrolled: 1-line block ×4, first 2 shown]
	v_mfma_f32_16x16x16_f16 a[0:3], v[92:93], v[34:35], a[0:3]
	v_cvt_f32_f16_sdwa v92, v210 dst_sel:DWORD dst_unused:UNUSED_PAD src0_sel:WORD_1
	v_cvt_pk_f16_f32 v198, v165, v198
	v_cvt_pk_f16_f32 v165, v201, v202
	s_waitcnt lgkmcnt(0)
	v_perm_b32 v91, v90, v47, s94
	v_perm_b32 v90, v39, v1, s94
	v_cvt_f32_f16_e32 v1, v89
	v_cvt_f32_f16_sdwa v39, v89 dst_sel:DWORD dst_unused:UNUSED_PAD src0_sel:WORD_1
	v_cvt_f32_f16_e32 v47, v88
	v_cvt_f32_f16_sdwa v88, v88 dst_sel:DWORD dst_unused:UNUSED_PAD src0_sel:WORD_1
	v_accvgpr_read_b32 v205, a0
	v_accvgpr_read_b32 v207, a1
	v_accvgpr_read_b32 v209, a2
	v_accvgpr_read_b32 v212, a3
	v_accvgpr_write_b32 a0, v1
	v_accvgpr_write_b32 a1, v39
	;; [unrolled: 1-line block ×4, first 2 shown]
	ds_read_u16 v1, v176 offset:128
	ds_read_u16 v39, v176 offset:656
	;; [unrolled: 1-line block ×4, first 2 shown]
	v_mfma_f32_16x16x16_f16 a[0:3], v[90:91], v[34:35], a[0:3]
	v_cvt_f32_f16_sdwa v90, v192 dst_sel:DWORD dst_unused:UNUSED_PAD src0_sel:WORD_1
	v_cvt_pk_f16_f32 v201, v44, v160
	v_cvt_pk_f16_f32 v160, v161, v162
	s_waitcnt lgkmcnt(0)
	v_perm_b32 v89, v88, v47, s94
	v_perm_b32 v88, v39, v1, s94
	v_cvt_f32_f16_e32 v1, v217
	v_cvt_f32_f16_sdwa v39, v217 dst_sel:DWORD dst_unused:UNUSED_PAD src0_sel:WORD_1
	v_cvt_f32_f16_e32 v47, v192
	v_accvgpr_read_b32 v213, a0
	v_accvgpr_read_b32 v214, a1
	;; [unrolled: 1-line block ×4, first 2 shown]
	v_accvgpr_write_b32 a0, v1
	v_accvgpr_write_b32 a1, v39
	;; [unrolled: 1-line block ×4, first 2 shown]
	v_cvt_f32_f16_sdwa v90, v170 dst_sel:DWORD dst_unused:UNUSED_PAD src0_sel:WORD_1
	s_nop 0
	v_mfma_f32_16x16x16_f16 a[0:3], v[88:89], v[34:35], a[0:3]
	ds_read_u16 v1, v176 offset:160
	ds_read_u16 v39, v176 offset:688
	;; [unrolled: 1-line block ×4, first 2 shown]
	s_waitcnt lgkmcnt(0)
	v_perm_b32 v89, v88, v47, s94
	v_perm_b32 v88, v39, v1, s94
	v_cvt_f32_f16_e32 v1, v191
	v_cvt_f32_f16_sdwa v39, v191 dst_sel:DWORD dst_unused:UNUSED_PAD src0_sel:WORD_1
	v_cvt_f32_f16_e32 v47, v170
	v_accvgpr_read_b32 v217, a0
	v_accvgpr_read_b32 v219, a1
	;; [unrolled: 1-line block ×4, first 2 shown]
	v_accvgpr_write_b32 a0, v1
	v_accvgpr_write_b32 a1, v39
	;; [unrolled: 1-line block ×4, first 2 shown]
	v_cvt_f32_f16_sdwa v90, v200 dst_sel:DWORD dst_unused:UNUSED_PAD src0_sel:WORD_1
	v_cvt_pk_f16_f32 v199, v222, v225
	v_mfma_f32_16x16x16_f16 a[0:3], v[88:89], v[34:35], a[0:3]
	ds_read_u16 v1, v176 offset:192
	ds_read_u16 v39, v176 offset:720
	;; [unrolled: 1-line block ×4, first 2 shown]
	s_waitcnt lgkmcnt(0)
	v_perm_b32 v89, v88, v47, s94
	v_perm_b32 v88, v39, v1, s94
	v_cvt_f32_f16_e32 v1, v87
	v_cvt_f32_f16_sdwa v39, v87 dst_sel:DWORD dst_unused:UNUSED_PAD src0_sel:WORD_1
	v_cvt_f32_f16_e32 v47, v86
	v_cvt_f32_f16_sdwa v86, v86 dst_sel:DWORD dst_unused:UNUSED_PAD src0_sel:WORD_1
	v_accvgpr_read_b32 v190, a0
	v_accvgpr_read_b32 v228, a1
	;; [unrolled: 1-line block ×4, first 2 shown]
	v_accvgpr_write_b32 a0, v1
	v_accvgpr_write_b32 a1, v39
	;; [unrolled: 1-line block ×4, first 2 shown]
	s_nop 1
	v_mfma_f32_16x16x16_f16 a[0:3], v[88:89], v[34:35], a[0:3]
	ds_read_u16 v1, v176 offset:224
	ds_read_u16 v39, v176 offset:752
	;; [unrolled: 1-line block ×4, first 2 shown]
	s_waitcnt lgkmcnt(0)
	v_perm_b32 v89, v88, v47, s94
	v_perm_b32 v88, v39, v1, s94
	v_cvt_f32_f16_e32 v1, v203
	v_cvt_f32_f16_sdwa v39, v203 dst_sel:DWORD dst_unused:UNUSED_PAD src0_sel:WORD_1
	v_cvt_f32_f16_e32 v47, v200
	v_accvgpr_read_b32 v86, a0
	v_accvgpr_read_b32 v87, a1
	;; [unrolled: 1-line block ×4, first 2 shown]
	v_accvgpr_write_b32 a0, v1
	v_accvgpr_write_b32 a1, v39
	v_accvgpr_write_b32 a2, v47
	v_accvgpr_write_b32 a3, v90
	v_cvt_f32_f16_sdwa v90, v196 dst_sel:DWORD dst_unused:UNUSED_PAD src0_sel:WORD_1
	v_cvt_pk_f16_f32 v194, v170, v194
	v_mfma_f32_16x16x16_f16 a[0:3], v[88:89], v[34:35], a[0:3]
	ds_read_u16 v1, v176 offset:256
	ds_read_u16 v39, v176 offset:784
	;; [unrolled: 1-line block ×4, first 2 shown]
	s_waitcnt lgkmcnt(0)
	v_perm_b32 v89, v88, v47, s94
	v_perm_b32 v88, v39, v1, s94
	v_cvt_f32_f16_e32 v1, v208
	v_cvt_f32_f16_sdwa v39, v208 dst_sel:DWORD dst_unused:UNUSED_PAD src0_sel:WORD_1
	v_cvt_f32_f16_e32 v47, v196
	v_accvgpr_read_b32 v191, a0
	v_accvgpr_read_b32 v192, a1
	;; [unrolled: 1-line block ×4, first 2 shown]
	v_accvgpr_write_b32 a0, v1
	v_accvgpr_write_b32 a1, v39
	;; [unrolled: 1-line block ×4, first 2 shown]
	ds_read_u16 v1, v176 offset:288
	ds_read_u16 v39, v176 offset:816
	;; [unrolled: 1-line block ×4, first 2 shown]
	v_mfma_f32_16x16x16_f16 a[0:3], v[88:89], v[34:35], a[0:3]
	v_cvt_pk_f16_f32 v158, v195, v200
	v_cvt_pk_f16_f32 v195, v86, v87
	;; [unrolled: 1-line block ×3, first 2 shown]
	s_waitcnt lgkmcnt(0)
	v_perm_b32 v91, v90, v47, s94
	v_perm_b32 v90, v39, v1, s94
	v_cvt_f32_f16_e32 v1, v211
	v_cvt_f32_f16_sdwa v39, v211 dst_sel:DWORD dst_unused:UNUSED_PAD src0_sel:WORD_1
	v_cvt_f32_f16_e32 v47, v210
	v_accvgpr_read_b32 v88, a0
	v_accvgpr_read_b32 v203, a3
	v_accvgpr_write_b32 a0, v1
	v_accvgpr_write_b32 a3, v92
	ds_read_u16 v1, v176 offset:320
	ds_read_u16 v92, v176 offset:848
	;; [unrolled: 1-line block ×4, first 2 shown]
	v_accvgpr_read_b32 v89, a1
	v_accvgpr_read_b32 v196, a2
	v_accvgpr_write_b32 a1, v39
	v_accvgpr_write_b32 a2, v47
	s_waitcnt lgkmcnt(0)
	v_perm_b32 v93, v94, v93, s94
	v_cvt_f32_f16_sdwa v94, v204 dst_sel:DWORD dst_unused:UNUSED_PAD src0_sel:WORD_1
	v_mfma_f32_16x16x16_f16 a[0:3], v[90:91], v[34:35], a[0:3]
	v_perm_b32 v92, v92, v1, s94
	v_cvt_f32_f16_e32 v1, v204
	v_cvt_pk_f16_f32 v204, v213, v214
	s_nop 4
	v_accvgpr_read_b32 v47, a1
	v_accvgpr_read_b32 v90, a2
	;; [unrolled: 1-line block ×3, first 2 shown]
	v_accvgpr_write_b32 a1, v94
	v_accvgpr_write_b32 a2, v95
	;; [unrolled: 1-line block ×3, first 2 shown]
	ds_read_u16 v94, v176 offset:352
	ds_read_u16 v96, v176 offset:880
	;; [unrolled: 1-line block ×4, first 2 shown]
	v_accvgpr_read_b32 v39, a0
	v_accvgpr_write_b32 a0, v1
	s_waitcnt lgkmcnt(2)
	v_perm_b32 v94, v96, v94, s94
	v_cvt_f32_f16_e32 v96, v164
	v_mfma_f32_16x16x16_f16 a[0:3], v[92:93], v[34:35], a[0:3]
	s_waitcnt lgkmcnt(0)
	v_perm_b32 v95, v97, v95, s94
	v_cvt_f32_f16_sdwa v97, v164 dst_sel:DWORD dst_unused:UNUSED_PAD src0_sel:WORD_1
	v_cvt_pk_f16_f32 v47, v39, v47
	v_cvt_pk_f16_f32 v39, v90, v91
	s_nop 2
	v_accvgpr_read_b32 v1, a0
	v_accvgpr_read_b32 v92, a1
	;; [unrolled: 1-line block ×4, first 2 shown]
	v_accvgpr_write_b32 a0, v96
	v_accvgpr_write_b32 a1, v97
	v_accvgpr_write_b32 a2, v98
	v_accvgpr_write_b32 a3, v99
	ds_read_u16 v96, v176 offset:384
	ds_read_u16 v98, v176 offset:912
	;; [unrolled: 1-line block ×4, first 2 shown]
	v_mfma_f32_16x16x16_f16 a[0:3], v[94:95], v[34:35], a[0:3]
	v_cvt_pk_f16_f32 v1, v1, v92
	s_waitcnt lgkmcnt(2)
	v_perm_b32 v96, v98, v96, s94
	v_cvt_f32_f16_e32 v98, v159
	s_waitcnt lgkmcnt(0)
	v_perm_b32 v97, v99, v97, s94
	v_cvt_f32_f16_sdwa v99, v159 dst_sel:DWORD dst_unused:UNUSED_PAD src0_sel:WORD_1
	v_cvt_pk_f16_f32 v169, v93, v169
	v_accvgpr_read_b32 v94, a0
	v_accvgpr_read_b32 v95, a1
	;; [unrolled: 1-line block ×4, first 2 shown]
	v_accvgpr_write_b32 a0, v98
	v_accvgpr_write_b32 a1, v99
	;; [unrolled: 1-line block ×4, first 2 shown]
	v_cvt_pk_f16_f32 v164, v94, v95
	v_cvt_pk_f16_f32 v167, v163, v167
	v_mfma_f32_16x16x16_f16 a[0:3], v[96:97], v[34:35], a[0:3]
	ds_read_u16 v96, v176 offset:416
	ds_read_u16 v102, v176 offset:944
	;; [unrolled: 1-line block ×4, first 2 shown]
	v_cvt_pk_f16_f32 v163, v191, v192
	s_waitcnt lgkmcnt(2)
	v_perm_b32 v96, v102, v96, s94
	v_cvt_f32_f16_e32 v102, v157
	s_waitcnt lgkmcnt(0)
	v_perm_b32 v97, v103, v97, s94
	v_cvt_f32_f16_sdwa v103, v157 dst_sel:DWORD dst_unused:UNUSED_PAD src0_sel:WORD_1
	v_accvgpr_read_b32 v98, a0
	v_accvgpr_read_b32 v99, a1
	;; [unrolled: 1-line block ×4, first 2 shown]
	v_accvgpr_write_b32 a0, v102
	v_accvgpr_write_b32 a1, v103
	;; [unrolled: 1-line block ×4, first 2 shown]
	v_cvt_pk_f16_f32 v159, v98, v99
	v_cvt_pk_f16_f32 v166, v100, v101
	v_mfma_f32_16x16x16_f16 a[0:3], v[96:97], v[34:35], a[0:3]
	ds_read_u16 v96, v176 offset:448
	ds_read_u16 v106, v176 offset:976
	ds_read_u16 v97, v176 offset:1504
	ds_read_u16 v107, v177 offset:448
	s_waitcnt lgkmcnt(2)
	v_perm_b32 v96, v106, v96, s94
	v_cvt_f32_f16_e32 v106, v155
	s_waitcnt lgkmcnt(0)
	v_perm_b32 v97, v107, v97, s94
	v_cvt_f32_f16_sdwa v107, v155 dst_sel:DWORD dst_unused:UNUSED_PAD src0_sel:WORD_1
	v_cvt_f32_f16_e32 v155, v154
	v_cvt_f32_f16_sdwa v154, v154 dst_sel:DWORD dst_unused:UNUSED_PAD src0_sel:WORD_1
	v_accvgpr_read_b32 v102, a0
	v_accvgpr_read_b32 v103, a1
	;; [unrolled: 1-line block ×4, first 2 shown]
	v_accvgpr_write_b32 a0, v106
	v_accvgpr_write_b32 a1, v107
	;; [unrolled: 1-line block ×4, first 2 shown]
	s_nop 1
	v_mfma_f32_16x16x16_f16 a[0:3], v[96:97], v[34:35], a[0:3]
	ds_read_u16 v96, v176 offset:480
	ds_read_u16 v156, v176 offset:1008
	;; [unrolled: 1-line block ×4, first 2 shown]
	s_waitcnt lgkmcnt(0)
	s_barrier
	v_perm_b32 v96, v156, v96, s94
	v_cvt_f32_f16_e32 v156, v153
	v_perm_b32 v97, v157, v97, s94
	v_cvt_f32_f16_sdwa v153, v153 dst_sel:DWORD dst_unused:UNUSED_PAD src0_sel:WORD_1
	v_cvt_f32_f16_e32 v157, v152
	v_cvt_f32_f16_sdwa v152, v152 dst_sel:DWORD dst_unused:UNUSED_PAD src0_sel:WORD_1
	v_accvgpr_read_b32 v106, a0
	v_accvgpr_read_b32 v107, a1
	;; [unrolled: 1-line block ×4, first 2 shown]
	v_accvgpr_write_b32 a0, v156
	v_accvgpr_write_b32 a1, v153
	;; [unrolled: 1-line block ×4, first 2 shown]
	v_cvt_pk_f16_f32 v197, v106, v107
	v_cvt_pk_f16_f32 v154, v154, v155
	v_mfma_f32_16x16x16_f16 a[0:3], v[96:97], v[34:35], a[0:3]
	v_cvt_pk_f16_f32 v157, v102, v103
	v_cvt_pk_f16_f32 v156, v104, v105
	;; [unrolled: 1-line block ×8, first 2 shown]
	v_accvgpr_read_b32 v34, a0
	v_accvgpr_read_b32 v35, a1
	;; [unrolled: 1-line block ×4, first 2 shown]
	v_cvt_pk_f16_f32 v153, v34, v35
	v_cvt_pk_f16_f32 v193, v96, v97
	;; [unrolled: 1-line block ×3, first 2 shown]
	s_cbranch_vccz .LBB30_54
; %bb.51:                               ;   in Loop: Header=BB30_34 Depth=2
	v_mov_b32_e32 v86, v37
	v_mov_b32_e32 v87, v36
	s_ashr_i32 s9, s8, 31
	s_and_saveexec_b64 s[12:13], s[4:5]
	s_cbranch_execnz .LBB30_33
	s_branch .LBB30_34
.LBB30_52:                              ;   in Loop: Header=BB30_12 Depth=1
	s_cbranch_execz .LBB30_11
	s_branch .LBB30_161
.LBB30_53:                              ;   in Loop: Header=BB30_12 Depth=1
	v_mov_b32_e32 v36, 0xfeffffff
	v_mov_b32_e32 v37, 0
	;; [unrolled: 1-line block ×34, first 2 shown]
.LBB30_54:                              ;   in Loop: Header=BB30_12 Depth=1
	s_lshl_b32 s8, s70, 6
	s_ashr_i32 s9, s8, 31
	s_and_saveexec_b64 s[12:13], s[4:5]
	s_cbranch_execz .LBB30_56
; %bb.55:                               ;   in Loop: Header=BB30_12 Depth=1
	v_or_b32_e32 v44, v215, v172
	v_mul_hi_u32 v86, s34, v44
	v_add_u32_e32 v86, v44, v86
	v_lshrrev_b32_e32 v86, s35, v86
	v_mul_lo_u32 v86, v86, s36
	s_lshl_b64 s[70:71], s[8:9], 1
	v_sub_u32_e32 v44, v44, v86
	v_lshl_add_u64 v[34:35], v[130:131], 0, s[70:71]
	v_mad_i64_i32 v[86:87], s[70:71], v44, s44, 0
	v_lshl_add_u64 v[34:35], v[86:87], 1, v[34:35]
	v_lshlrev_b32_e32 v44, 1, v46
	v_lshl_add_u64 v[34:35], v[34:35], 0, v[44:45]
	global_load_dword v34, v[34:35], off
	s_waitcnt vmcnt(0)
	ds_write_b32 v182, v34 offset:33792
.LBB30_56:                              ;   in Loop: Header=BB30_12 Depth=1
	s_or_b64 exec, exec, s[12:13]
	s_mul_hi_i32 s13, s8, s38
	s_mul_i32 s12, s8, s38
	s_lshl_b64 s[12:13], s[12:13], 2
	v_lshl_add_u64 v[34:35], v[128:129], 0, s[12:13]
	v_lshlrev_b32_e32 v44, 2, v42
	v_lshl_add_u64 v[88:89], v[50:51], 2, v[34:35]
	v_lshl_add_u64 v[90:91], v[88:89], 0, v[44:45]
	;; [unrolled: 1-line block ×14, first 2 shown]
	global_load_dwordx4 v[86:89], v[86:87], off
	v_lshl_add_u64 v[34:35], v[62:63], 2, v[34:35]
	v_lshl_add_u64 v[34:35], v[34:35], 0, v[44:45]
	s_waitcnt vmcnt(0)
	ds_write_b128 v173, v[86:89]
	global_load_dwordx4 v[86:89], v[90:91], off
	s_waitcnt vmcnt(0)
	ds_write_b128 v247, v[86:89]
	global_load_dwordx4 v[86:89], v[92:93], off
	;; [unrolled: 3-line block ×7, first 2 shown]
	s_waitcnt vmcnt(0)
	ds_write_b128 v253, v[86:89]
	s_waitcnt lgkmcnt(0)
	s_barrier
	ds_read2_b64 v[86:89], v174 offset1:4
	s_waitcnt lgkmcnt(0)
	v_mfma_f32_16x16x16_f16 a[0:3], v[86:87], v[30:31], 0
	v_mfma_f32_16x16x16_f16 a[0:3], v[88:89], v[32:33], a[0:3]
	ds_read2_b64 v[30:33], v174 offset0:8 offset1:12
	s_waitcnt lgkmcnt(0)
	v_mfma_f32_16x16x16_f16 a[0:3], v[30:31], v[26:27], a[0:3]
	v_mfma_f32_16x16x16_f16 a[0:3], v[32:33], v[28:29], a[0:3]
	ds_read2_b64 v[26:29], v174 offset0:16 offset1:20
	;; [unrolled: 4-line block ×7, first 2 shown]
	s_waitcnt lgkmcnt(0)
	s_barrier
	v_mfma_f32_16x16x16_f16 a[0:3], v[6:7], v[2:3], a[0:3]
                                        ; implicit-def: $vgpr7
	v_mfma_f32_16x16x16_f16 a[0:3], v[8:9], v[4:5], a[0:3]
	s_nop 7
	v_accvgpr_read_b32 v6, a0
	v_cmp_nlt_f32_e64 s[12:13], |v6|, s45
	s_and_saveexec_b64 s[70:71], s[12:13]
	s_xor_b64 s[12:13], exec, s[70:71]
	s_cbranch_execz .LBB30_58
; %bb.57:                               ;   in Loop: Header=BB30_12 Depth=1
	v_add_f32_e64 v2, |v6|, |v6|
	v_mul_f32_e32 v3, 0x3fb8aa3b, v2
	v_rndne_f32_e32 v4, v3
	v_sub_f32_e32 v5, v3, v4
	v_fma_f32 v3, v2, s63, -v3
	v_fmac_f32_e32 v3, 0x32a5705f, v2
	v_add_f32_e32 v3, v5, v3
	v_cvt_i32_f32_e32 v4, v4
	v_exp_f32_e32 v3, v3
	v_cmp_ngt_f32_e32 vcc, s90, v2
	v_ldexp_f32 v3, v3, v4
	s_nop 0
	v_cndmask_b32_e32 v3, 0, v3, vcc
	v_cmp_nlt_f32_e32 vcc, s91, v2
	s_nop 1
	v_cndmask_b32_e32 v2, v243, v3, vcc
	v_add_f32_e32 v2, 1.0, v2
	v_rcp_f32_e32 v2, v2
	s_nop 0
	v_fma_f32 v7, v2, -2.0, 1.0
.LBB30_58:                              ;   in Loop: Header=BB30_12 Depth=1
	s_andn2_saveexec_b64 s[12:13], s[12:13]
; %bb.59:                               ;   in Loop: Header=BB30_12 Depth=1
	v_mul_f32_e32 v2, v6, v6
	v_fmamk_f32 v3, v2, 0xbbbac73d, v218
	v_fmaak_f32 v3, v2, v3, 0xbd5c1c4e
	v_fmaak_f32 v3, v2, v3, 0x3e088382
	;; [unrolled: 1-line block ×3, first 2 shown]
	v_mul_f32_e64 v3, |v6|, v3
	v_fma_f32 v7, v2, v3, |v6|
; %bb.60:                               ;   in Loop: Header=BB30_12 Depth=1
	s_or_b64 exec, exec, s[12:13]
	v_accvgpr_read_b32 v5, a3
	v_accvgpr_read_b32 v3, a1
	;; [unrolled: 1-line block ×4, first 2 shown]
	v_cmp_nlt_f32_e64 s[12:13], |v3|, s45
                                        ; implicit-def: $vgpr2
	s_and_saveexec_b64 s[70:71], s[12:13]
	s_xor_b64 s[12:13], exec, s[70:71]
	s_cbranch_execz .LBB30_62
; %bb.61:                               ;   in Loop: Header=BB30_12 Depth=1
	v_add_f32_e64 v2, |v3|, |v3|
	v_mul_f32_e32 v8, 0x3fb8aa3b, v2
	v_rndne_f32_e32 v9, v8
	v_sub_f32_e32 v10, v8, v9
	v_fma_f32 v8, v2, s63, -v8
	v_fmac_f32_e32 v8, 0x32a5705f, v2
	v_add_f32_e32 v8, v10, v8
	v_cvt_i32_f32_e32 v9, v9
	v_exp_f32_e32 v8, v8
	v_cmp_ngt_f32_e32 vcc, s90, v2
	v_ldexp_f32 v8, v8, v9
	s_nop 0
	v_cndmask_b32_e32 v8, 0, v8, vcc
	v_cmp_nlt_f32_e32 vcc, s91, v2
	s_nop 1
	v_cndmask_b32_e32 v2, v243, v8, vcc
	v_add_f32_e32 v2, 1.0, v2
	v_rcp_f32_e32 v2, v2
	s_nop 0
	v_fma_f32 v2, v2, -2.0, 1.0
.LBB30_62:                              ;   in Loop: Header=BB30_12 Depth=1
	s_andn2_saveexec_b64 s[12:13], s[12:13]
; %bb.63:                               ;   in Loop: Header=BB30_12 Depth=1
	v_mul_f32_e32 v2, v3, v3
	v_fmamk_f32 v8, v2, 0xbbbac73d, v218
	v_fmaak_f32 v8, v2, v8, 0xbd5c1c4e
	v_fmaak_f32 v8, v2, v8, 0x3e088382
	;; [unrolled: 1-line block ×3, first 2 shown]
	v_mul_f32_e64 v8, |v3|, v8
	v_fma_f32 v2, v2, v8, |v3|
; %bb.64:                               ;   in Loop: Header=BB30_12 Depth=1
	s_or_b64 exec, exec, s[12:13]
	v_cmp_nlt_f32_e64 s[12:13], |v4|, s45
                                        ; implicit-def: $vgpr8
	s_and_saveexec_b64 s[70:71], s[12:13]
	s_xor_b64 s[12:13], exec, s[70:71]
	s_cbranch_execz .LBB30_66
; %bb.65:                               ;   in Loop: Header=BB30_12 Depth=1
	v_add_f32_e64 v8, |v4|, |v4|
	v_mul_f32_e32 v9, 0x3fb8aa3b, v8
	v_rndne_f32_e32 v10, v9
	v_sub_f32_e32 v11, v9, v10
	v_fma_f32 v9, v8, s63, -v9
	v_fmac_f32_e32 v9, 0x32a5705f, v8
	v_add_f32_e32 v9, v11, v9
	v_cvt_i32_f32_e32 v10, v10
	v_exp_f32_e32 v9, v9
	v_cmp_ngt_f32_e32 vcc, s90, v8
	v_ldexp_f32 v9, v9, v10
	s_nop 0
	v_cndmask_b32_e32 v9, 0, v9, vcc
	v_cmp_nlt_f32_e32 vcc, s91, v8
	s_nop 1
	v_cndmask_b32_e32 v8, v243, v9, vcc
	v_add_f32_e32 v8, 1.0, v8
	v_rcp_f32_e32 v8, v8
	s_nop 0
	v_fma_f32 v8, v8, -2.0, 1.0
.LBB30_66:                              ;   in Loop: Header=BB30_12 Depth=1
	s_andn2_saveexec_b64 s[12:13], s[12:13]
; %bb.67:                               ;   in Loop: Header=BB30_12 Depth=1
	v_mul_f32_e32 v8, v4, v4
	v_fmamk_f32 v9, v8, 0xbbbac73d, v218
	v_fmaak_f32 v9, v8, v9, 0xbd5c1c4e
	v_fmaak_f32 v9, v8, v9, 0x3e088382
	;; [unrolled: 1-line block ×3, first 2 shown]
	v_mul_f32_e64 v9, |v4|, v9
	v_fma_f32 v8, v8, v9, |v4|
; %bb.68:                               ;   in Loop: Header=BB30_12 Depth=1
	s_or_b64 exec, exec, s[12:13]
	v_cmp_nlt_f32_e64 s[12:13], |v5|, s45
                                        ; implicit-def: $vgpr9
	s_and_saveexec_b64 s[70:71], s[12:13]
	s_xor_b64 s[12:13], exec, s[70:71]
	s_cbranch_execz .LBB30_70
; %bb.69:                               ;   in Loop: Header=BB30_12 Depth=1
	v_add_f32_e64 v9, |v5|, |v5|
	v_mul_f32_e32 v10, 0x3fb8aa3b, v9
	v_rndne_f32_e32 v11, v10
	v_sub_f32_e32 v12, v10, v11
	v_fma_f32 v10, v9, s63, -v10
	v_fmac_f32_e32 v10, 0x32a5705f, v9
	v_add_f32_e32 v10, v12, v10
	v_cvt_i32_f32_e32 v11, v11
	v_exp_f32_e32 v10, v10
	v_cmp_ngt_f32_e32 vcc, s90, v9
	v_ldexp_f32 v10, v10, v11
	s_nop 0
	v_cndmask_b32_e32 v10, 0, v10, vcc
	v_cmp_nlt_f32_e32 vcc, s91, v9
	s_nop 1
	v_cndmask_b32_e32 v9, v243, v10, vcc
	v_add_f32_e32 v9, 1.0, v9
	v_rcp_f32_e32 v9, v9
	s_nop 0
	v_fma_f32 v9, v9, -2.0, 1.0
.LBB30_70:                              ;   in Loop: Header=BB30_12 Depth=1
	s_andn2_saveexec_b64 s[12:13], s[12:13]
; %bb.71:                               ;   in Loop: Header=BB30_12 Depth=1
	v_mul_f32_e32 v9, v5, v5
	v_fmamk_f32 v10, v9, 0xbbbac73d, v218
	v_fmaak_f32 v10, v9, v10, 0xbd5c1c4e
	v_fmaak_f32 v10, v9, v10, 0x3e088382
	;; [unrolled: 1-line block ×3, first 2 shown]
	v_mul_f32_e64 v10, |v5|, v10
	v_fma_f32 v9, v9, v10, |v5|
; %bb.72:                               ;   in Loop: Header=BB30_12 Depth=1
	s_or_b64 exec, exec, s[12:13]
	s_mul_hi_i32 s9, s8, s14
	s_mul_i32 s8, s8, s14
	s_lshl_b64 s[8:9], s[8:9], 2
	v_lshl_add_u64 v[26:27], v[126:127], 0, s[8:9]
	v_lshl_add_u64 v[88:89], v[66:67], 2, v[26:27]
	v_lshl_add_u64 v[92:93], v[88:89], 0, v[44:45]
	v_lshl_add_u64 v[88:89], v[68:69], 2, v[26:27]
	v_lshl_add_u64 v[94:95], v[88:89], 0, v[44:45]
	v_lshl_add_u64 v[88:89], v[70:71], 2, v[26:27]
	v_lshl_add_u64 v[96:97], v[88:89], 0, v[44:45]
	v_lshl_add_u64 v[88:89], v[72:73], 2, v[26:27]
	v_lshl_add_u64 v[32:33], v[64:65], 2, v[26:27]
	v_lshl_add_u64 v[98:99], v[88:89], 0, v[44:45]
	v_lshl_add_u64 v[88:89], v[74:75], 2, v[26:27]
	v_lshl_add_u64 v[32:33], v[32:33], 0, v[44:45]
	v_lshl_add_u64 v[100:101], v[88:89], 0, v[44:45]
	v_lshl_add_u64 v[88:89], v[76:77], 2, v[26:27]
	v_lshl_add_u64 v[102:103], v[88:89], 0, v[44:45]
	global_load_dwordx4 v[88:91], v[32:33], off
	v_bfi_b32 v6, s92, v7, v6
	v_bfi_b32 v7, s92, v2, v3
	v_add_u32_e32 v2, 0x8400, v175
	ds_read2_b32 v[2:3], v2 offset1:1
	v_bfi_b32 v4, s92, v8, v4
	v_bfi_b32 v5, s92, v9, v5
	v_lshl_add_u64 v[26:27], v[78:79], 2, v[26:27]
	v_lshl_add_u64 v[26:27], v[26:27], 0, v[44:45]
	s_waitcnt lgkmcnt(0)
	v_fma_mix_f32 v8, s3, v6, v2 op_sel_hi:[0,0,1]
	v_fma_mix_f32 v9, s3, v7, v2 op_sel:[0,0,1] op_sel_hi:[0,0,1]
	v_fma_mix_f32 v10, s3, v4, v3 op_sel_hi:[0,0,1]
	v_fma_mix_f32 v3, s3, v5, v3 op_sel:[0,0,1] op_sel_hi:[0,0,1]
	v_add_f32_e32 v2, 0x40051340, v8
	v_add_f32_e32 v4, 0x40051340, v9
	v_max3_f32 v2, v36, v2, v4
	v_add_f32_e32 v4, 0x40051340, v10
	v_add_f32_e32 v5, 0x40051340, v3
	v_max3_f32 v2, v2, v4, v5
	v_and_b32_e32 v4, 64, v81
	v_add_u32_e32 v4, 64, v4
	v_xor_b32_e32 v5, 32, v81
	v_cmp_lt_i32_e32 vcc, v5, v4
	s_waitcnt vmcnt(0)
	ds_write_b128 v173, v[88:91]
	global_load_dwordx4 v[88:91], v[92:93], off
	v_cndmask_b32_e32 v5, v81, v5, vcc
	v_lshlrev_b32_e32 v6, 2, v5
	ds_bpermute_b32 v5, v6, v2
	s_waitcnt lgkmcnt(0)
	v_max_f32_e32 v5, v5, v5
	v_max_f32_e32 v2, v2, v5
	v_xor_b32_e32 v5, 16, v81
	v_cmp_lt_i32_e32 vcc, v5, v4
	s_waitcnt vmcnt(0)
	ds_write_b128 v247, v[88:91]
	global_load_dwordx4 v[88:91], v[94:95], off
	v_cndmask_b32_e32 v4, v81, v5, vcc
	v_lshlrev_b32_e32 v7, 2, v4
	ds_bpermute_b32 v4, v7, v2
	s_waitcnt lgkmcnt(0)
	v_max_f32_e32 v4, v4, v4
	v_max_f32_e32 v2, v2, v4
	v_sub_f32_e32 v4, v8, v2
	v_mul_f32_e32 v5, 0x3fb8aa3b, v4
	v_fma_f32 v8, v4, s63, -v5
	v_rndne_f32_e32 v11, v5
	v_fmac_f32_e32 v8, 0x32a5705f, v4
	v_sub_f32_e32 v5, v5, v11
	v_add_f32_e32 v5, v5, v8
	v_exp_f32_e32 v5, v5
	v_cvt_i32_f32_e32 v8, v11
	v_cmp_ngt_f32_e32 vcc, s90, v4
	v_sub_f32_e32 v3, v3, v2
	v_ldexp_f32 v5, v5, v8
	v_cndmask_b32_e32 v5, 0, v5, vcc
	v_cmp_nlt_f32_e32 vcc, s91, v4
	s_waitcnt vmcnt(0)
	ds_write_b128 v248, v[88:91]
	global_load_dwordx4 v[88:91], v[96:97], off
	v_cndmask_b32_e32 v4, v243, v5, vcc
	v_sub_f32_e32 v5, v9, v2
	v_mul_f32_e32 v8, 0x3fb8aa3b, v5
	v_fma_f32 v9, v5, s63, -v8
	v_rndne_f32_e32 v11, v8
	v_fmac_f32_e32 v9, 0x32a5705f, v5
	v_sub_f32_e32 v8, v8, v11
	v_add_f32_e32 v8, v8, v9
	v_exp_f32_e32 v8, v8
	v_cvt_i32_f32_e32 v9, v11
	v_cmp_ngt_f32_e32 vcc, s90, v5
	v_ldexp_f32 v8, v8, v9
	s_nop 0
	v_cndmask_b32_e32 v8, 0, v8, vcc
	v_cmp_nlt_f32_e32 vcc, s91, v5
	v_sub_f32_e32 v5, v10, v2
	v_mul_f32_e32 v10, 0x3fb8aa3b, v5
	v_fma_f32 v11, v5, s63, -v10
	v_rndne_f32_e32 v12, v10
	v_fmac_f32_e32 v11, 0x32a5705f, v5
	v_sub_f32_e32 v10, v10, v12
	v_add_f32_e32 v10, v10, v11
	v_exp_f32_e32 v10, v10
	v_cvt_i32_f32_e32 v11, v12
	v_cndmask_b32_e32 v8, v243, v8, vcc
	v_cmp_ngt_f32_e32 vcc, s90, v5
	v_add_f32_e32 v9, v4, v8
	v_ldexp_f32 v10, v10, v11
	v_cndmask_b32_e32 v10, 0, v10, vcc
	v_cmp_nlt_f32_e32 vcc, s91, v5
	v_cvt_pk_f16_f32 v4, v4, v8
	s_waitcnt vmcnt(0)
	ds_write_b128 v249, v[88:91]
	global_load_dwordx4 v[88:91], v[98:99], off
	v_cndmask_b32_e32 v5, v243, v10, vcc
	v_mul_f32_e32 v10, 0x3fb8aa3b, v3
	v_fma_f32 v11, v3, s63, -v10
	v_rndne_f32_e32 v12, v10
	v_fmac_f32_e32 v11, 0x32a5705f, v3
	v_sub_f32_e32 v10, v10, v12
	v_add_f32_e32 v10, v10, v11
	v_exp_f32_e32 v10, v10
	v_cvt_i32_f32_e32 v11, v12
	v_cmp_ngt_f32_e32 vcc, s90, v3
	v_add_f32_e32 v9, v5, v9
	v_ldexp_f32 v10, v10, v11
	v_cndmask_b32_e32 v10, 0, v10, vcc
	v_cmp_nlt_f32_e32 vcc, s91, v3
	s_waitcnt vmcnt(0)
	ds_write_b128 v250, v[88:91]
	global_load_dwordx4 v[88:91], v[100:101], off
	v_cndmask_b32_e32 v19, v243, v10, vcc
	v_add_f32_e32 v3, v19, v9
	v_sub_f32_e32 v9, v36, v2
	v_mul_f32_e32 v10, 0x3fb8aa3b, v9
	v_fma_f32 v11, v9, s63, -v10
	v_rndne_f32_e32 v12, v10
	v_fmac_f32_e32 v11, 0x32a5705f, v9
	v_sub_f32_e32 v10, v10, v12
	v_add_f32_e32 v10, v10, v11
	v_exp_f32_e32 v10, v10
	v_cvt_i32_f32_e32 v11, v12
	v_cmp_ngt_f32_e32 vcc, s90, v9
	v_cvt_pk_f16_f32 v5, v5, v19
	v_ldexp_f32 v10, v10, v11
	v_cndmask_b32_e32 v10, 0, v10, vcc
	v_cmp_nlt_f32_e32 vcc, s91, v9
	s_waitcnt vmcnt(0)
	ds_write_b128 v251, v[88:91]
	global_load_dwordx4 v[88:91], v[102:103], off
	v_cndmask_b32_e32 v10, v243, v10, vcc
	v_cmp_le_f32_e32 vcc, s93, v9
	s_waitcnt vmcnt(0)
	ds_write_b128 v252, v[88:91]
	global_load_dwordx4 v[88:91], v[26:27], off
	v_cndmask_b32_e32 v9, 0, v10, vcc
	v_fmac_f32_e32 v3, v37, v9
	v_cvt_f16_f32_e32 v9, v9
	v_cmp_ne_u64_e32 vcc, 0, v[124:125]
	s_and_b64 s[12:13], s[0:1], vcc
	v_mul_u32_u24_e32 v12, 0x10001, v9
	v_pk_mul_f16 v145, v152, v12
	v_pk_mul_f16 v152, v1, v12
	;; [unrolled: 1-line block ×25, first 2 shown]
	v_cvt_f32_f16_sdwa v92, v155 dst_sel:DWORD dst_unused:UNUSED_PAD src0_sel:WORD_1
	v_pk_mul_f16 v151, v169, v12
	v_pk_mul_f16 v35, v167, v12
	;; [unrolled: 1-line block ×7, first 2 shown]
	s_waitcnt vmcnt(0)
	ds_write_b128 v253, v[88:91]
	s_waitcnt lgkmcnt(0)
	s_barrier
	ds_read_u16 v1, v176 offset:528
	ds_read_u16 v8, v176 offset:1056
	ds_read_u16 v19, v177
	ds_read_u16 v28, v177 offset:32
	v_cvt_f32_f16_sdwa v90, v145 dst_sel:DWORD dst_unused:UNUSED_PAD src0_sel:WORD_1
	v_cvt_f32_f16_e32 v91, v155
	s_waitcnt lgkmcnt(1)
	v_perm_b32 v27, v19, v8, s94
	ds_read_u16 v8, v176
	ds_read_u16 v32, v176 offset:32
	v_cvt_f32_f16_e32 v19, v20
	v_cvt_f32_f16_sdwa v20, v20 dst_sel:DWORD dst_unused:UNUSED_PAD src0_sel:WORD_1
	s_waitcnt lgkmcnt(1)
	v_perm_b32 v26, v1, v8, s94
	v_cvt_f32_f16_e32 v1, v21
	v_cvt_f32_f16_sdwa v8, v21 dst_sel:DWORD dst_unused:UNUSED_PAD src0_sel:WORD_1
	v_accvgpr_write_b32 a2, v19
	v_accvgpr_write_b32 a3, v20
	;; [unrolled: 1-line block ×4, first 2 shown]
	s_nop 1
	v_mfma_f32_16x16x16_f16 a[0:3], v[26:27], v[4:5], a[0:3]
	s_nop 7
	v_accvgpr_read_b32 v1, a2
	v_accvgpr_read_b32 v8, a3
	v_cvt_f16_f32_e32 v1, v1
	v_cvt_f16_f32_e32 v8, v8
	v_accvgpr_read_b32 v19, a0
	v_accvgpr_read_b32 v20, a1
	v_cvt_f16_f32_e32 v21, v19
	v_perm_b32 v8, v8, v1, s94
	ds_read_u16 v1, v176 offset:560
	ds_read_u16 v26, v176 offset:1088
	v_cvt_f16_f32_e32 v22, v20
	s_waitcnt lgkmcnt(0)
	v_perm_b32 v27, v28, v26, s94
	v_perm_b32 v26, v1, v32, s94
	v_cvt_f32_f16_e32 v1, v25
	v_cvt_f32_f16_sdwa v25, v25 dst_sel:DWORD dst_unused:UNUSED_PAD src0_sel:WORD_1
	v_cvt_f32_f16_e32 v28, v9
	v_cvt_f32_f16_sdwa v9, v9 dst_sel:DWORD dst_unused:UNUSED_PAD src0_sel:WORD_1
	v_accvgpr_write_b32 a0, v1
	v_accvgpr_write_b32 a1, v25
	;; [unrolled: 1-line block ×4, first 2 shown]
	v_perm_b32 v21, v22, v21, s94
	s_nop 0
	v_mfma_f32_16x16x16_f16 a[0:3], v[26:27], v[4:5], a[0:3]
	s_nop 7
	v_accvgpr_read_b32 v1, a2
	v_accvgpr_read_b32 v9, a3
	v_cvt_f16_f32_e32 v1, v1
	v_cvt_f16_f32_e32 v9, v9
	v_accvgpr_read_b32 v25, a0
	v_accvgpr_read_b32 v26, a1
	v_cvt_f16_f32_e32 v27, v25
	v_perm_b32 v9, v9, v1, s94
	ds_read_u16 v1, v176 offset:64
	ds_read_u16 v32, v176 offset:592
	;; [unrolled: 1-line block ×4, first 2 shown]
	v_cvt_f16_f32_e32 v28, v26
	s_waitcnt lgkmcnt(2)
	v_perm_b32 v32, v32, v1, s94
	v_cvt_f32_f16_e32 v1, v31
	s_waitcnt lgkmcnt(0)
	v_perm_b32 v33, v34, v33, s94
	v_cvt_f32_f16_sdwa v31, v31 dst_sel:DWORD dst_unused:UNUSED_PAD src0_sel:WORD_1
	v_cvt_f32_f16_e32 v34, v10
	v_cvt_f32_f16_sdwa v10, v10 dst_sel:DWORD dst_unused:UNUSED_PAD src0_sel:WORD_1
	v_accvgpr_write_b32 a0, v1
	v_accvgpr_write_b32 a1, v31
	;; [unrolled: 1-line block ×4, first 2 shown]
	v_perm_b32 v27, v28, v27, s94
	s_nop 0
	v_mfma_f32_16x16x16_f16 a[0:3], v[32:33], v[4:5], a[0:3]
	s_nop 7
	v_accvgpr_read_b32 v1, a2
	v_accvgpr_read_b32 v10, a3
	v_cvt_f16_f32_e32 v1, v1
	v_cvt_f16_f32_e32 v10, v10
	v_accvgpr_read_b32 v31, a0
	v_accvgpr_read_b32 v32, a1
	v_cvt_f16_f32_e32 v33, v31
	v_perm_b32 v10, v10, v1, s94
	ds_read_u16 v1, v176 offset:96
	ds_read_u16 v39, v176 offset:624
	;; [unrolled: 1-line block ×4, first 2 shown]
	v_cvt_f16_f32_e32 v34, v32
	s_waitcnt lgkmcnt(2)
	v_perm_b32 v88, v39, v1, s94
	v_cvt_f32_f16_e32 v1, v144
	s_waitcnt lgkmcnt(0)
	v_perm_b32 v89, v47, v44, s94
	v_cvt_f32_f16_sdwa v39, v144 dst_sel:DWORD dst_unused:UNUSED_PAD src0_sel:WORD_1
	v_cvt_f32_f16_e32 v44, v11
	v_cvt_f32_f16_sdwa v11, v11 dst_sel:DWORD dst_unused:UNUSED_PAD src0_sel:WORD_1
	v_accvgpr_write_b32 a0, v1
	v_accvgpr_write_b32 a1, v39
	;; [unrolled: 1-line block ×4, first 2 shown]
	v_perm_b32 v33, v34, v33, s94
	s_nop 0
	v_mfma_f32_16x16x16_f16 a[0:3], v[88:89], v[4:5], a[0:3]
	s_nop 7
	v_accvgpr_read_b32 v1, a2
	v_accvgpr_read_b32 v11, a3
	v_cvt_f16_f32_e32 v1, v1
	v_cvt_f16_f32_e32 v11, v11
	v_accvgpr_read_b32 v44, a0
	v_accvgpr_read_b32 v144, a1
	v_cvt_f16_f32_e32 v149, v44
	v_perm_b32 v11, v11, v1, s94
	ds_read_u16 v1, v176 offset:128
	ds_read_u16 v39, v176 offset:656
	;; [unrolled: 1-line block ×4, first 2 shown]
	v_cvt_f16_f32_e32 v150, v144
	s_waitcnt lgkmcnt(0)
	v_perm_b32 v89, v88, v47, s94
	v_perm_b32 v88, v39, v1, s94
	v_cvt_f32_f16_e32 v1, v160
	v_cvt_f32_f16_sdwa v39, v160 dst_sel:DWORD dst_unused:UNUSED_PAD src0_sel:WORD_1
	v_cvt_f32_f16_e32 v47, v14
	v_cvt_f32_f16_sdwa v14, v14 dst_sel:DWORD dst_unused:UNUSED_PAD src0_sel:WORD_1
	v_accvgpr_write_b32 a0, v1
	v_accvgpr_write_b32 a1, v39
	v_accvgpr_write_b32 a2, v47
	v_accvgpr_write_b32 a3, v14
	v_perm_b32 v149, v150, v149, s94
	s_nop 0
	v_mfma_f32_16x16x16_f16 a[0:3], v[88:89], v[4:5], a[0:3]
	s_nop 7
	v_accvgpr_read_b32 v1, a2
	v_accvgpr_read_b32 v14, a3
	v_cvt_f16_f32_e32 v1, v1
	v_cvt_f16_f32_e32 v14, v14
	v_accvgpr_read_b32 v153, a0
	v_accvgpr_read_b32 v154, a1
	v_cvt_f16_f32_e32 v156, v153
	v_perm_b32 v14, v14, v1, s94
	ds_read_u16 v1, v176 offset:160
	ds_read_u16 v39, v176 offset:688
	;; [unrolled: 1-line block ×4, first 2 shown]
	v_cvt_f16_f32_e32 v157, v154
	s_waitcnt lgkmcnt(0)
	v_perm_b32 v89, v88, v47, s94
	v_perm_b32 v88, v39, v1, s94
	v_cvt_f32_f16_e32 v1, v87
	v_cvt_f32_f16_sdwa v39, v87 dst_sel:DWORD dst_unused:UNUSED_PAD src0_sel:WORD_1
	v_cvt_f32_f16_e32 v47, v15
	v_cvt_f32_f16_sdwa v15, v15 dst_sel:DWORD dst_unused:UNUSED_PAD src0_sel:WORD_1
	v_accvgpr_write_b32 a0, v1
	v_accvgpr_write_b32 a1, v39
	;; [unrolled: 1-line block ×4, first 2 shown]
	v_perm_b32 v156, v157, v156, s94
	s_nop 0
	v_mfma_f32_16x16x16_f16 a[0:3], v[88:89], v[4:5], a[0:3]
	s_nop 7
	v_accvgpr_read_b32 v1, a2
	v_accvgpr_read_b32 v15, a3
	v_cvt_f16_f32_e32 v1, v1
	v_cvt_f16_f32_e32 v15, v15
	v_accvgpr_read_b32 v159, a0
	v_accvgpr_read_b32 v160, a1
	v_cvt_f16_f32_e32 v161, v159
	v_perm_b32 v15, v15, v1, s94
	ds_read_u16 v1, v176 offset:192
	ds_read_u16 v39, v176 offset:720
	;; [unrolled: 1-line block ×4, first 2 shown]
	v_cvt_f16_f32_e32 v162, v160
	s_waitcnt lgkmcnt(2)
	v_perm_b32 v88, v39, v1, s94
	v_cvt_f32_f16_e32 v1, v86
	s_waitcnt lgkmcnt(0)
	v_perm_b32 v89, v87, v47, s94
	v_cvt_f32_f16_sdwa v39, v86 dst_sel:DWORD dst_unused:UNUSED_PAD src0_sel:WORD_1
	v_cvt_f32_f16_e32 v47, v16
	v_cvt_f32_f16_sdwa v16, v16 dst_sel:DWORD dst_unused:UNUSED_PAD src0_sel:WORD_1
	v_accvgpr_write_b32 a0, v1
	v_accvgpr_write_b32 a1, v39
	;; [unrolled: 1-line block ×4, first 2 shown]
	v_perm_b32 v161, v162, v161, s94
	s_nop 0
	v_mfma_f32_16x16x16_f16 a[0:3], v[88:89], v[4:5], a[0:3]
	v_cvt_f32_f16_e32 v89, v145
	s_nop 6
	v_accvgpr_read_b32 v1, a2
	v_accvgpr_read_b32 v16, a3
	v_cvt_f16_f32_e32 v1, v1
	v_cvt_f16_f32_e32 v16, v16
	v_accvgpr_read_b32 v164, a0
	v_accvgpr_read_b32 v165, a1
	v_cvt_f16_f32_e32 v199, v164
	v_perm_b32 v16, v16, v1, s94
	ds_read_u16 v1, v176 offset:224
	ds_read_u16 v39, v176 offset:752
	;; [unrolled: 1-line block ×4, first 2 shown]
	v_cvt_f16_f32_e32 v201, v165
	s_waitcnt lgkmcnt(0)
	v_perm_b32 v87, v86, v47, s94
	v_perm_b32 v86, v39, v1, s94
	v_cvt_f32_f16_e32 v1, v198
	v_cvt_f32_f16_sdwa v39, v198 dst_sel:DWORD dst_unused:UNUSED_PAD src0_sel:WORD_1
	v_cvt_f32_f16_e32 v47, v37
	v_cvt_f32_f16_sdwa v37, v37 dst_sel:DWORD dst_unused:UNUSED_PAD src0_sel:WORD_1
	v_accvgpr_write_b32 a0, v1
	v_accvgpr_write_b32 a1, v39
	;; [unrolled: 1-line block ×4, first 2 shown]
	s_nop 1
	v_mfma_f32_16x16x16_f16 a[0:3], v[86:87], v[4:5], a[0:3]
	s_nop 7
	v_accvgpr_read_b32 v1, a2
	v_accvgpr_read_b32 v37, a3
	v_cvt_f16_f32_e32 v1, v1
	v_cvt_f16_f32_e32 v37, v37
	v_accvgpr_read_b32 v39, a0
	v_accvgpr_read_b32 v47, a1
	v_accvgpr_write_b32 a2, v89
	v_perm_b32 v37, v37, v1, s94
	ds_read_u16 v1, v176 offset:256
	ds_read_u16 v86, v176 offset:784
	;; [unrolled: 1-line block ×4, first 2 shown]
	v_accvgpr_write_b32 a3, v90
	v_cvt_f16_f32_e32 v166, v39
	s_waitcnt lgkmcnt(2)
	v_perm_b32 v86, v86, v1, s94
	v_cvt_f32_f16_e32 v1, v163
	s_waitcnt lgkmcnt(0)
	v_perm_b32 v87, v88, v87, s94
	v_cvt_f32_f16_sdwa v88, v163 dst_sel:DWORD dst_unused:UNUSED_PAD src0_sel:WORD_1
	v_cvt_f16_f32_e32 v167, v47
	v_accvgpr_write_b32 a0, v1
	v_accvgpr_write_b32 a1, v88
	s_nop 1
	v_mfma_f32_16x16x16_f16 a[0:3], v[86:87], v[4:5], a[0:3]
	s_nop 7
	v_accvgpr_read_b32 v1, a2
	v_accvgpr_read_b32 v88, a3
	v_cvt_f16_f32_e32 v1, v1
	v_cvt_f16_f32_e32 v88, v88
	v_accvgpr_read_b32 v86, a0
	v_accvgpr_read_b32 v87, a1
	v_accvgpr_write_b32 a2, v91
	v_perm_b32 v145, v88, v1, s94
	ds_read_u16 v1, v176 offset:288
	ds_read_u16 v88, v176 offset:816
	;; [unrolled: 1-line block ×4, first 2 shown]
	v_accvgpr_write_b32 a3, v92
	v_cvt_f32_f16_e32 v91, v151
	s_waitcnt lgkmcnt(2)
	v_perm_b32 v88, v88, v1, s94
	v_cvt_f32_f16_e32 v1, v158
	s_waitcnt lgkmcnt(0)
	v_perm_b32 v89, v90, v89, s94
	v_cvt_f32_f16_sdwa v90, v158 dst_sel:DWORD dst_unused:UNUSED_PAD src0_sel:WORD_1
	v_cvt_f32_f16_sdwa v92, v151 dst_sel:DWORD dst_unused:UNUSED_PAD src0_sel:WORD_1
	v_accvgpr_write_b32 a0, v1
	v_cvt_f16_f32_e32 v163, v86
	v_accvgpr_write_b32 a1, v90
	v_cvt_f16_f32_e32 v169, v87
	s_nop 0
	v_mfma_f32_16x16x16_f16 a[0:3], v[88:89], v[4:5], a[0:3]
	s_nop 7
	v_accvgpr_read_b32 v1, a2
	v_accvgpr_read_b32 v88, a3
	v_cvt_f16_f32_e32 v1, v1
	v_cvt_f16_f32_e32 v88, v88
	v_accvgpr_read_b32 v158, a0
	v_accvgpr_read_b32 v170, a1
	v_accvgpr_write_b32 a2, v91
	v_perm_b32 v155, v88, v1, s94
	ds_read_u16 v1, v176 offset:320
	ds_read_u16 v88, v176 offset:848
	ds_read_u16 v89, v176 offset:1376
	ds_read_u16 v90, v177 offset:320
	v_accvgpr_write_b32 a3, v92
	v_cvt_f16_f32_e32 v190, v158
	s_waitcnt lgkmcnt(2)
	v_perm_b32 v88, v88, v1, s94
	v_cvt_f32_f16_e32 v1, v152
	s_waitcnt lgkmcnt(0)
	v_perm_b32 v89, v90, v89, s94
	v_cvt_f32_f16_sdwa v90, v152 dst_sel:DWORD dst_unused:UNUSED_PAD src0_sel:WORD_1
	v_cvt_f16_f32_e32 v191, v170
	v_accvgpr_write_b32 a0, v1
	v_accvgpr_write_b32 a1, v90
	s_nop 1
	v_mfma_f32_16x16x16_f16 a[0:3], v[88:89], v[4:5], a[0:3]
	s_nop 7
	v_accvgpr_read_b32 v1, a2
	v_accvgpr_read_b32 v88, a3
	v_cvt_f16_f32_e32 v1, v1
	v_cvt_f16_f32_e32 v88, v88
	v_accvgpr_read_b32 v152, a0
	v_accvgpr_read_b32 v192, a1
	v_cvt_f16_f32_e32 v193, v152
	v_perm_b32 v151, v88, v1, s94
	ds_read_u16 v1, v176 offset:352
	ds_read_u16 v88, v176 offset:880
	;; [unrolled: 1-line block ×4, first 2 shown]
	v_cvt_f16_f32_e32 v194, v192
	s_waitcnt lgkmcnt(2)
	v_perm_b32 v88, v88, v1, s94
	v_cvt_f32_f16_e32 v1, v36
	s_waitcnt lgkmcnt(0)
	v_perm_b32 v89, v90, v89, s94
	v_cvt_f32_f16_sdwa v36, v36 dst_sel:DWORD dst_unused:UNUSED_PAD src0_sel:WORD_1
	v_cvt_f32_f16_e32 v90, v35
	v_cvt_f32_f16_sdwa v35, v35 dst_sel:DWORD dst_unused:UNUSED_PAD src0_sel:WORD_1
	v_accvgpr_write_b32 a0, v1
	v_accvgpr_write_b32 a1, v36
	;; [unrolled: 1-line block ×4, first 2 shown]
	s_nop 1
	v_mfma_f32_16x16x16_f16 a[0:3], v[88:89], v[4:5], a[0:3]
	s_nop 7
	v_accvgpr_read_b32 v1, a2
	v_accvgpr_read_b32 v35, a3
	v_cvt_f16_f32_e32 v1, v1
	v_cvt_f16_f32_e32 v35, v35
	v_accvgpr_read_b32 v36, a0
	v_accvgpr_read_b32 v195, a1
	v_cvt_f16_f32_e32 v88, v36
	v_perm_b32 v35, v35, v1, s94
	ds_read_u16 v1, v176 offset:384
	ds_read_u16 v90, v176 offset:912
	;; [unrolled: 1-line block ×4, first 2 shown]
	v_cvt_f16_f32_e32 v89, v195
	s_waitcnt lgkmcnt(2)
	v_perm_b32 v90, v90, v1, s94
	v_cvt_f32_f16_e32 v1, v30
	s_waitcnt lgkmcnt(0)
	v_perm_b32 v91, v92, v91, s94
	v_cvt_f32_f16_sdwa v30, v30 dst_sel:DWORD dst_unused:UNUSED_PAD src0_sel:WORD_1
	v_cvt_f32_f16_e32 v92, v29
	v_cvt_f32_f16_sdwa v29, v29 dst_sel:DWORD dst_unused:UNUSED_PAD src0_sel:WORD_1
	v_accvgpr_write_b32 a0, v1
	v_accvgpr_write_b32 a1, v30
	;; [unrolled: 1-line block ×4, first 2 shown]
	v_perm_b32 v88, v89, v88, s94
	v_perm_b32 v89, v194, v193, s94
	v_mfma_f32_16x16x16_f16 a[0:3], v[90:91], v[4:5], a[0:3]
	s_nop 7
	v_accvgpr_read_b32 v1, a2
	v_accvgpr_read_b32 v29, a3
	v_cvt_f16_f32_e32 v1, v1
	v_cvt_f16_f32_e32 v29, v29
	v_accvgpr_read_b32 v30, a0
	v_accvgpr_read_b32 v90, a1
	v_cvt_f16_f32_e32 v91, v30
	v_perm_b32 v29, v29, v1, s94
	ds_read_u16 v1, v176 offset:416
	ds_read_u16 v93, v176 offset:944
	;; [unrolled: 1-line block ×4, first 2 shown]
	v_cvt_f16_f32_e32 v92, v90
	s_waitcnt lgkmcnt(0)
	v_perm_b32 v95, v95, v94, s94
	v_perm_b32 v94, v93, v1, s94
	v_cvt_f32_f16_e32 v1, v24
	v_cvt_f32_f16_sdwa v24, v24 dst_sel:DWORD dst_unused:UNUSED_PAD src0_sel:WORD_1
	v_cvt_f32_f16_e32 v93, v23
	v_cvt_f32_f16_sdwa v23, v23 dst_sel:DWORD dst_unused:UNUSED_PAD src0_sel:WORD_1
	v_accvgpr_write_b32 a0, v1
	v_accvgpr_write_b32 a1, v24
	;; [unrolled: 1-line block ×4, first 2 shown]
	v_perm_b32 v91, v92, v91, s94
	v_perm_b32 v92, v191, v190, s94
	v_mfma_f32_16x16x16_f16 a[0:3], v[94:95], v[4:5], a[0:3]
	s_nop 7
	v_accvgpr_read_b32 v1, a2
	v_accvgpr_read_b32 v23, a3
	v_cvt_f16_f32_e32 v1, v1
	v_cvt_f16_f32_e32 v23, v23
	v_accvgpr_read_b32 v24, a0
	v_accvgpr_read_b32 v93, a1
	v_cvt_f16_f32_e32 v94, v24
	v_perm_b32 v23, v23, v1, s94
	ds_read_u16 v1, v176 offset:448
	ds_read_u16 v96, v176 offset:976
	;; [unrolled: 1-line block ×4, first 2 shown]
	v_cvt_f16_f32_e32 v95, v93
	s_waitcnt lgkmcnt(2)
	v_perm_b32 v96, v96, v1, s94
	v_cvt_f32_f16_e32 v1, v18
	s_waitcnt lgkmcnt(0)
	v_perm_b32 v97, v98, v97, s94
	v_cvt_f32_f16_sdwa v18, v18 dst_sel:DWORD dst_unused:UNUSED_PAD src0_sel:WORD_1
	v_cvt_f32_f16_e32 v98, v17
	v_cvt_f32_f16_sdwa v17, v17 dst_sel:DWORD dst_unused:UNUSED_PAD src0_sel:WORD_1
	v_accvgpr_write_b32 a0, v1
	v_accvgpr_write_b32 a1, v18
	;; [unrolled: 1-line block ×4, first 2 shown]
	v_perm_b32 v94, v95, v94, s94
	v_perm_b32 v95, v169, v163, s94
	v_mfma_f32_16x16x16_f16 a[0:3], v[96:97], v[4:5], a[0:3]
	v_perm_b32 v163, v201, v199, s94
	s_nop 6
	v_accvgpr_read_b32 v1, a2
	v_accvgpr_read_b32 v96, a3
	v_cvt_f16_f32_e32 v1, v1
	v_cvt_f16_f32_e32 v96, v96
	v_accvgpr_read_b32 v17, a0
	v_accvgpr_read_b32 v18, a1
	v_cvt_f16_f32_e32 v98, v17
	v_perm_b32 v1, v96, v1, s94
	ds_read_u16 v96, v176 offset:480
	ds_read_u16 v100, v176 offset:1008
	;; [unrolled: 1-line block ×4, first 2 shown]
	v_cvt_f16_f32_e32 v99, v18
	s_waitcnt lgkmcnt(0)
	v_perm_b32 v96, v100, v96, s94
	v_cvt_f32_f16_e32 v100, v13
	v_perm_b32 v97, v101, v97, s94
	v_cvt_f32_f16_sdwa v13, v13 dst_sel:DWORD dst_unused:UNUSED_PAD src0_sel:WORD_1
	v_cvt_f32_f16_e32 v101, v12
	v_cvt_f32_f16_sdwa v12, v12 dst_sel:DWORD dst_unused:UNUSED_PAD src0_sel:WORD_1
	v_accvgpr_write_b32 a0, v100
	v_accvgpr_write_b32 a1, v13
	;; [unrolled: 1-line block ×4, first 2 shown]
	s_barrier
	s_nop 0
	v_mfma_f32_16x16x16_f16 a[0:3], v[96:97], v[4:5], a[0:3]
	s_nop 7
	v_accvgpr_read_b32 v12, a2
	v_accvgpr_read_b32 v97, a3
	v_cvt_f16_f32_e32 v12, v12
	v_cvt_f16_f32_e32 v97, v97
	v_accvgpr_read_b32 v4, a0
	v_accvgpr_read_b32 v5, a1
	v_cvt_f16_f32_e32 v13, v4
	v_perm_b32 v12, v97, v12, s94
	ds_bpermute_b32 v97, v6, v3
	v_cvt_f16_f32_e32 v96, v5
	s_waitcnt lgkmcnt(0)
	v_add_f32_e32 v3, v3, v97
	ds_bpermute_b32 v97, v7, v3
	v_perm_b32 v13, v96, v13, s94
	v_perm_b32 v96, v99, v98, s94
	s_waitcnt lgkmcnt(0)
	v_add_f32_e32 v3, v3, v97
	v_perm_b32 v97, v167, v166, s94
	s_and_saveexec_b64 s[8:9], s[12:13]
	s_cbranch_execz .LBB30_74
; %bb.73:                               ;   in Loop: Header=BB30_12 Depth=1
	v_cvt_pk_f16_f32 v5, v4, v5
	v_lshlrev_b32_e32 v4, 2, v84
	v_readfirstlane_b32 s12, v124
	v_readfirstlane_b32 s13, v125
	v_cvt_pk_f16_f32 v17, v17, v18
	v_max_f32_e32 v21, v2, v2
	v_cvt_pk_f16_f32 v13, v19, v20
	v_cvt_pk_f16_f32 v22, v44, v144
	v_cvt_pk_f16_f32 v19, v25, v26
	global_load_dword v18, v4, s[12:13]
	v_cvt_pk_f16_f32 v20, v31, v32
	v_cvt_pk_f16_f32 v25, v153, v154
	;; [unrolled: 1-line block ×11, first 2 shown]
	s_waitcnt vmcnt(0)
	v_max_f32_e32 v4, v18, v18
	v_max_f32_e32 v4, v21, v4
	v_sub_f32_e32 v2, v2, v4
	v_mul_f32_e32 v21, 0x3fb8aa3b, v2
	v_fma_f32 v27, v2, s63, -v21
	v_rndne_f32_e32 v33, v21
	v_fmac_f32_e32 v27, 0x32a5705f, v2
	v_sub_f32_e32 v21, v21, v33
	v_add_f32_e32 v21, v21, v27
	v_exp_f32_e32 v21, v21
	v_cvt_i32_f32_e32 v27, v33
	v_cmp_ngt_f32_e32 vcc, s90, v2
	v_sub_f32_e32 v18, v18, v4
	v_ldexp_f32 v21, v21, v27
	v_cndmask_b32_e32 v21, 0, v21, vcc
	v_cmp_nlt_f32_e32 vcc, s91, v2
	s_nop 1
	v_cndmask_b32_e32 v21, v243, v21, vcc
	v_cmp_le_f32_e32 vcc, s93, v2
	s_nop 1
	v_cndmask_b32_e32 v2, 0, v21, vcc
	v_cvt_f16_f32_e32 v21, v2
	v_cmp_ngt_f32_e32 vcc, s90, v18
	v_mul_u32_u24_e32 v44, 0x10001, v21
	v_pk_mul_f16 v21, v13, v44
	v_pk_mul_f16 v13, v5, v44
	v_mul_f32_e32 v5, 0x3fb8aa3b, v18
	v_pk_mul_f16 v27, v19, v44
	v_pk_mul_f16 v96, v17, v44
	v_fma_f32 v17, v18, s63, -v5
	v_rndne_f32_e32 v19, v5
	v_fmac_f32_e32 v17, 0x32a5705f, v18
	v_sub_f32_e32 v5, v5, v19
	v_add_f32_e32 v5, v5, v17
	v_exp_f32_e32 v5, v5
	v_cvt_i32_f32_e32 v17, v19
	v_pk_mul_f16 v8, v8, v44
	v_pk_mul_f16 v9, v9, v44
	;; [unrolled: 1-line block ×3, first 2 shown]
	v_ldexp_f32 v5, v5, v17
	v_cndmask_b32_e32 v5, 0, v5, vcc
	v_cmp_nlt_f32_e32 vcc, s91, v18
	v_pk_mul_f16 v10, v10, v44
	v_pk_mul_f16 v149, v22, v44
	v_cndmask_b32_e32 v5, v243, v5, vcc
	v_fmac_f32_e32 v5, v3, v2
	v_pk_mul_f16 v11, v11, v44
	v_pk_mul_f16 v156, v25, v44
	;; [unrolled: 1-line block ×23, first 2 shown]
	v_mov_b64_e32 v[2:3], v[4:5]
.LBB30_74:                              ;   in Loop: Header=BB30_12 Depth=1
	s_or_b64 exec, exec, s[8:9]
	s_and_saveexec_b64 s[8:9], s[6:7]
; %bb.75:                               ;   in Loop: Header=BB30_12 Depth=1
	v_add_u32_e32 v4, 0, v183
	ds_write2_b32 v4, v2, v3 offset0:128 offset1:129
; %bb.76:                               ;   in Loop: Header=BB30_12 Depth=1
	s_or_b64 exec, exec, s[8:9]
	s_waitcnt lgkmcnt(0)
	s_barrier
	s_and_saveexec_b64 s[8:9], s[10:11]
	s_xor_b64 s[8:9], exec, s[8:9]
	s_cbranch_execz .LBB30_78
; %bb.77:                               ;   in Loop: Header=BB30_12 Depth=1
	s_barrier
                                        ; implicit-def: $vgpr6
                                        ; implicit-def: $vgpr7
.LBB30_78:                              ;   in Loop: Header=BB30_12 Depth=1
	s_andn2_saveexec_b64 s[8:9], s[8:9]
	s_cbranch_execz .LBB30_82
; %bb.79:                               ;   in Loop: Header=BB30_12 Depth=1
	v_add_u32_e32 v3, 0, v183
	ds_read_b64 v[4:5], v3 offset:512
	s_waitcnt lgkmcnt(0)
	s_barrier
	ds_bpermute_b32 v2, v6, v4
	v_max_f32_e32 v17, v4, v4
	s_waitcnt lgkmcnt(0)
	v_max_f32_e32 v2, v2, v2
	v_max_f32_e32 v2, v17, v2
	ds_bpermute_b32 v17, v7, v2
	s_waitcnt lgkmcnt(0)
	v_max_f32_e32 v17, v17, v17
	v_max_f32_e32 v2, v2, v17
	v_sub_f32_e32 v4, v4, v2
	v_mul_f32_e32 v17, 0x3fb8aa3b, v4
	v_fma_f32 v18, v4, s63, -v17
	v_rndne_f32_e32 v19, v17
	v_fmac_f32_e32 v18, 0x32a5705f, v4
	v_sub_f32_e32 v17, v17, v19
	v_add_f32_e32 v17, v17, v18
	v_cvt_i32_f32_e32 v19, v19
	v_exp_f32_e32 v17, v17
	v_cmp_ngt_f32_e32 vcc, s90, v4
	v_ldexp_f32 v17, v17, v19
	s_nop 0
	v_cndmask_b32_e32 v17, 0, v17, vcc
	v_cmp_nlt_f32_e32 vcc, s91, v4
	s_nop 1
	v_cndmask_b32_e32 v4, v243, v17, vcc
	v_mul_f32_e32 v17, v5, v4
	ds_bpermute_b32 v6, v6, v17
	s_waitcnt lgkmcnt(0)
	v_fmac_f32_e32 v6, v5, v4
	ds_bpermute_b32 v5, v7, v6
	s_waitcnt lgkmcnt(0)
	v_add_f32_e32 v5, v6, v5
	ds_write_b64 v3, v[4:5] offset:512
	s_and_saveexec_b64 s[12:13], s[6:7]
	s_cbranch_execz .LBB30_81
; %bb.80:                               ;   in Loop: Header=BB30_12 Depth=1
	v_mov_b32_e32 v3, v5
	v_accvgpr_read_b32 v4, a64
	v_accvgpr_read_b32 v5, a65
	global_store_dwordx2 v[4:5], v[2:3], off
.LBB30_81:                              ;   in Loop: Header=BB30_12 Depth=1
	s_or_b64 exec, exec, s[12:13]
.LBB30_82:                              ;   in Loop: Header=BB30_12 Depth=1
	s_or_b64 exec, exec, s[8:9]
	v_add_u32_e32 v2, v184, v185
	ds_write2_b32 v2, v21, v8 offset1:1
	ds_write2_b32 v2, v27, v9 offset0:8 offset1:9
	ds_write2_b32 v2, v33, v10 offset0:16 offset1:17
	;; [unrolled: 1-line block ×15, first 2 shown]
	s_waitcnt lgkmcnt(0)
	s_barrier
	s_and_saveexec_b64 s[70:71], s[0:1]
	s_cbranch_execz .LBB30_160
; %bb.83:                               ;   in Loop: Header=BB30_12 Depth=1
	v_add_u32_e32 v2, v221, v215
	v_or_b32_e32 v1, v244, v43
	v_cmp_gt_i32_e64 s[8:9], s36, v2
	v_cmp_gt_i32_e32 vcc, s74, v1
	s_and_b64 s[12:13], s[8:9], vcc
	v_mov_b32_e32 v1, 0x47
	s_and_saveexec_b64 s[8:9], s[12:13]
	s_cbranch_execz .LBB30_85
; %bb.84:                               ;   in Loop: Header=BB30_12 Depth=1
	ds_read2st64_b32 v[4:5], v186 offset0:2 offset1:35
	ds_read2st64_b32 v[6:7], v230 offset1:1
	ds_read2st64_b32 v[8:9], v186 offset0:68 offset1:101
	ds_read2st64_b32 v[10:11], v230 offset0:33 offset1:34
	;; [unrolled: 1-line block ×4, first 2 shown]
	s_waitcnt lgkmcnt(4)
	v_cvt_f32_f16_sdwa v17, v6 dst_sel:DWORD dst_unused:UNUSED_PAD src0_sel:WORD_1
	v_cvt_f32_f16_e32 v16, v6
	s_waitcnt lgkmcnt(2)
	v_cvt_f32_f16_sdwa v21, v10 dst_sel:DWORD dst_unused:UNUSED_PAD src0_sel:WORD_1
	v_cvt_f32_f16_e32 v20, v10
	s_waitcnt lgkmcnt(1)
	v_cvt_f32_f16_sdwa v23, v12 dst_sel:DWORD dst_unused:UNUSED_PAD src0_sel:WORD_1
	v_cvt_f32_f16_e32 v22, v12
	v_mul_lo_u32 v1, v2, s37
	s_waitcnt lgkmcnt(0)
	v_cvt_f32_f16_sdwa v25, v14 dst_sel:DWORD dst_unused:UNUSED_PAD src0_sel:WORD_1
	v_cvt_f32_f16_e32 v24, v14
	v_add_lshl_u32 v2, v1, v244, 7
	v_pk_fma_f32 v[16:17], v[4:5], v[16:17], 0 op_sel_hi:[0,1,0]
	v_mov_b32_e32 v6, v5
	v_add_u32_e32 v18, v40, v2
	v_pk_fma_f32 v[16:17], v[6:7], v[20:21], v[16:17] op_sel_hi:[0,1,1]
	v_ashrrev_i32_e32 v19, 31, v18
	v_pk_fma_f32 v[16:17], v[8:9], v[22:23], v[16:17] op_sel_hi:[0,1,1]
	v_mov_b32_e32 v10, v9
	v_lshl_add_u64 v[18:19], v[18:19], 3, v[122:123]
	v_pk_fma_f32 v[16:17], v[10:11], v[24:25], v[16:17] op_sel_hi:[0,1,1]
	global_store_dwordx2 v[18:19], v[16:17], off
	v_cvt_f32_f16_sdwa v17, v7 dst_sel:DWORD dst_unused:UNUSED_PAD src0_sel:WORD_1
	v_cvt_f32_f16_e32 v16, v7
	v_cvt_f32_f16_sdwa v19, v11 dst_sel:DWORD dst_unused:UNUSED_PAD src0_sel:WORD_1
	v_cvt_f32_f16_e32 v18, v11
	;; [unrolled: 2-line block ×4, first 2 shown]
	v_pk_fma_f32 v[4:5], v[4:5], v[16:17], 0 op_sel_hi:[0,1,0]
	v_ashrrev_i32_e32 v3, 31, v2
	v_pk_fma_f32 v[4:5], v[6:7], v[18:19], v[4:5] op_sel_hi:[0,1,1]
	v_lshl_add_u64 v[2:3], v[40:41], 0, v[2:3]
	v_pk_fma_f32 v[4:5], v[8:9], v[20:21], v[4:5] op_sel_hi:[0,1,1]
	v_lshl_add_u64 v[2:3], v[2:3], 3, v[122:123]
	v_pk_fma_f32 v[4:5], v[10:11], v[12:13], v[4:5] op_sel_hi:[0,1,1]
	v_mov_b32_e32 v1, 0
	global_store_dwordx2 v[2:3], v[4:5], off offset:512
.LBB30_85:                              ;   in Loop: Header=BB30_12 Depth=1
	s_or_b64 exec, exec, s[8:9]
	v_cmp_gt_i32_e64 s[8:9], s95, v1
	s_mov_b64 s[12:13], -1
	s_and_saveexec_b64 s[72:73], s[8:9]
; %bb.86:                               ;   in Loop: Header=BB30_12 Depth=1
	v_cmp_eq_u32_e64 s[8:9], 0, v1
	s_orn2_b64 s[12:13], s[8:9], exec
; %bb.87:                               ;   in Loop: Header=BB30_12 Depth=1
	s_or_b64 exec, exec, s[72:73]
	s_and_b64 exec, exec, s[12:13]
	s_cbranch_execz .LBB30_160
; %bb.88:                               ;   in Loop: Header=BB30_12 Depth=1
	v_add_u32_e32 v2, v187, v215
	v_or_b32_e32 v1, v188, v43
	v_cmp_gt_i32_e64 s[8:9], s36, v2
	v_cmp_gt_i32_e64 s[12:13], s74, v1
	s_and_b64 s[12:13], s[8:9], s[12:13]
	v_mov_b32_e32 v1, 0x47
	s_and_saveexec_b64 s[8:9], s[12:13]
	s_cbranch_execz .LBB30_90
; %bb.89:                               ;   in Loop: Header=BB30_12 Depth=1
	ds_read2st64_b32 v[4:5], v189 offset0:2 offset1:35
	ds_read2st64_b32 v[6:7], v231 offset1:1
	ds_read2st64_b32 v[8:9], v189 offset0:68 offset1:101
	ds_read2st64_b32 v[10:11], v231 offset0:33 offset1:34
	;; [unrolled: 1-line block ×4, first 2 shown]
	s_waitcnt lgkmcnt(4)
	v_cvt_f32_f16_sdwa v17, v6 dst_sel:DWORD dst_unused:UNUSED_PAD src0_sel:WORD_1
	v_cvt_f32_f16_e32 v16, v6
	s_waitcnt lgkmcnt(2)
	v_cvt_f32_f16_sdwa v21, v10 dst_sel:DWORD dst_unused:UNUSED_PAD src0_sel:WORD_1
	v_cvt_f32_f16_e32 v20, v10
	;; [unrolled: 3-line block ×3, first 2 shown]
	v_mul_lo_u32 v1, v2, s37
	s_waitcnt lgkmcnt(0)
	v_cvt_f32_f16_sdwa v25, v14 dst_sel:DWORD dst_unused:UNUSED_PAD src0_sel:WORD_1
	v_cvt_f32_f16_e32 v24, v14
	v_add_lshl_u32 v2, v1, v188, 7
	v_pk_fma_f32 v[16:17], v[4:5], v[16:17], 0 op_sel_hi:[0,1,0]
	v_mov_b32_e32 v6, v5
	v_add_u32_e32 v18, v40, v2
	v_pk_fma_f32 v[16:17], v[6:7], v[20:21], v[16:17] op_sel_hi:[0,1,1]
	v_ashrrev_i32_e32 v19, 31, v18
	v_pk_fma_f32 v[16:17], v[8:9], v[22:23], v[16:17] op_sel_hi:[0,1,1]
	v_mov_b32_e32 v10, v9
	v_lshl_add_u64 v[18:19], v[18:19], 3, v[122:123]
	v_pk_fma_f32 v[16:17], v[10:11], v[24:25], v[16:17] op_sel_hi:[0,1,1]
	global_store_dwordx2 v[18:19], v[16:17], off
	v_cvt_f32_f16_sdwa v17, v7 dst_sel:DWORD dst_unused:UNUSED_PAD src0_sel:WORD_1
	v_cvt_f32_f16_e32 v16, v7
	v_cvt_f32_f16_sdwa v19, v11 dst_sel:DWORD dst_unused:UNUSED_PAD src0_sel:WORD_1
	v_cvt_f32_f16_e32 v18, v11
	;; [unrolled: 2-line block ×4, first 2 shown]
	v_pk_fma_f32 v[4:5], v[4:5], v[16:17], 0 op_sel_hi:[0,1,0]
	v_ashrrev_i32_e32 v3, 31, v2
	v_pk_fma_f32 v[4:5], v[6:7], v[18:19], v[4:5] op_sel_hi:[0,1,1]
	v_lshl_add_u64 v[2:3], v[40:41], 0, v[2:3]
	v_pk_fma_f32 v[4:5], v[8:9], v[20:21], v[4:5] op_sel_hi:[0,1,1]
	v_lshl_add_u64 v[2:3], v[2:3], 3, v[122:123]
	v_pk_fma_f32 v[4:5], v[10:11], v[12:13], v[4:5] op_sel_hi:[0,1,1]
	v_mov_b32_e32 v1, 0
	global_store_dwordx2 v[2:3], v[4:5], off offset:512
.LBB30_90:                              ;   in Loop: Header=BB30_12 Depth=1
	s_or_b64 exec, exec, s[8:9]
	v_cmp_gt_i32_e64 s[8:9], s95, v1
	s_mov_b64 s[12:13], -1
	s_and_saveexec_b64 s[72:73], s[8:9]
; %bb.91:                               ;   in Loop: Header=BB30_12 Depth=1
	v_cmp_eq_u32_e64 s[8:9], 0, v1
	s_orn2_b64 s[12:13], s[8:9], exec
; %bb.92:                               ;   in Loop: Header=BB30_12 Depth=1
	s_or_b64 exec, exec, s[72:73]
	s_and_b64 exec, exec, s[12:13]
	s_cbranch_execz .LBB30_160
; %bb.93:                               ;   in Loop: Header=BB30_12 Depth=1
	v_accvgpr_read_b32 v1, a11
	v_add_u32_e32 v2, v1, v215
	v_accvgpr_read_b32 v1, a12
	v_or_b32_e32 v1, v1, v43
	v_cmp_gt_i32_e64 s[8:9], s36, v2
	v_cmp_gt_i32_e64 s[12:13], s74, v1
	s_and_b64 s[12:13], s[8:9], s[12:13]
	v_mov_b32_e32 v1, 0x47
	s_and_saveexec_b64 s[8:9], s[12:13]
	s_cbranch_execz .LBB30_95
; %bb.94:                               ;   in Loop: Header=BB30_12 Depth=1
	v_mul_lo_u32 v1, v2, s37
	v_accvgpr_read_b32 v2, a12
	v_add_lshl_u32 v2, v1, v2, 7
	v_accvgpr_read_b32 v1, a13
	ds_read2st64_b32 v[4:5], v1 offset0:2 offset1:35
	ds_read2st64_b32 v[6:7], v232 offset1:1
	ds_read2st64_b32 v[8:9], v1 offset0:68 offset1:101
	ds_read2st64_b32 v[10:11], v232 offset0:33 offset1:34
	;; [unrolled: 1-line block ×4, first 2 shown]
	s_waitcnt lgkmcnt(4)
	v_cvt_f32_f16_sdwa v17, v6 dst_sel:DWORD dst_unused:UNUSED_PAD src0_sel:WORD_1
	v_cvt_f32_f16_e32 v16, v6
	s_waitcnt lgkmcnt(2)
	v_cvt_f32_f16_sdwa v21, v10 dst_sel:DWORD dst_unused:UNUSED_PAD src0_sel:WORD_1
	v_cvt_f32_f16_e32 v20, v10
	;; [unrolled: 3-line block ×4, first 2 shown]
	v_pk_fma_f32 v[16:17], v[4:5], v[16:17], 0 op_sel_hi:[0,1,0]
	v_mov_b32_e32 v6, v5
	v_add_u32_e32 v18, v40, v2
	v_pk_fma_f32 v[16:17], v[6:7], v[20:21], v[16:17] op_sel_hi:[0,1,1]
	v_ashrrev_i32_e32 v19, 31, v18
	v_pk_fma_f32 v[16:17], v[8:9], v[22:23], v[16:17] op_sel_hi:[0,1,1]
	v_mov_b32_e32 v10, v9
	v_lshl_add_u64 v[18:19], v[18:19], 3, v[122:123]
	v_pk_fma_f32 v[16:17], v[10:11], v[24:25], v[16:17] op_sel_hi:[0,1,1]
	global_store_dwordx2 v[18:19], v[16:17], off
	v_cvt_f32_f16_sdwa v17, v7 dst_sel:DWORD dst_unused:UNUSED_PAD src0_sel:WORD_1
	v_cvt_f32_f16_e32 v16, v7
	v_cvt_f32_f16_sdwa v19, v11 dst_sel:DWORD dst_unused:UNUSED_PAD src0_sel:WORD_1
	v_cvt_f32_f16_e32 v18, v11
	;; [unrolled: 2-line block ×4, first 2 shown]
	v_pk_fma_f32 v[4:5], v[4:5], v[16:17], 0 op_sel_hi:[0,1,0]
	v_ashrrev_i32_e32 v3, 31, v2
	v_pk_fma_f32 v[4:5], v[6:7], v[18:19], v[4:5] op_sel_hi:[0,1,1]
	v_lshl_add_u64 v[2:3], v[40:41], 0, v[2:3]
	v_pk_fma_f32 v[4:5], v[8:9], v[20:21], v[4:5] op_sel_hi:[0,1,1]
	v_lshl_add_u64 v[2:3], v[2:3], 3, v[122:123]
	v_pk_fma_f32 v[4:5], v[10:11], v[12:13], v[4:5] op_sel_hi:[0,1,1]
	v_mov_b32_e32 v1, 0
	global_store_dwordx2 v[2:3], v[4:5], off offset:512
.LBB30_95:                              ;   in Loop: Header=BB30_12 Depth=1
	s_or_b64 exec, exec, s[8:9]
	v_cmp_gt_i32_e64 s[8:9], s95, v1
	s_mov_b64 s[12:13], -1
	s_and_saveexec_b64 s[72:73], s[8:9]
; %bb.96:                               ;   in Loop: Header=BB30_12 Depth=1
	v_cmp_eq_u32_e64 s[8:9], 0, v1
	s_orn2_b64 s[12:13], s[8:9], exec
; %bb.97:                               ;   in Loop: Header=BB30_12 Depth=1
	s_or_b64 exec, exec, s[72:73]
	s_and_b64 exec, exec, s[12:13]
	s_cbranch_execz .LBB30_160
; %bb.98:                               ;   in Loop: Header=BB30_12 Depth=1
	v_accvgpr_read_b32 v1, a14
	v_add_u32_e32 v2, v1, v215
	v_accvgpr_read_b32 v1, a15
	v_or_b32_e32 v1, v1, v43
	v_cmp_gt_i32_e64 s[8:9], s36, v2
	v_cmp_gt_i32_e64 s[12:13], s74, v1
	s_and_b64 s[12:13], s[8:9], s[12:13]
	v_mov_b32_e32 v1, 0x47
	s_and_saveexec_b64 s[8:9], s[12:13]
	s_cbranch_execz .LBB30_100
; %bb.99:                               ;   in Loop: Header=BB30_12 Depth=1
	v_mul_lo_u32 v1, v2, s37
	v_accvgpr_read_b32 v2, a15
	v_add_lshl_u32 v2, v1, v2, 7
	v_accvgpr_read_b32 v1, a16
	v_accvgpr_read_b32 v3, a50
	ds_read2st64_b32 v[4:5], v1 offset0:2 offset1:35
	ds_read2st64_b32 v[6:7], v3 offset1:1
	ds_read2st64_b32 v[8:9], v1 offset0:68 offset1:101
	ds_read2st64_b32 v[10:11], v3 offset0:33 offset1:34
	;; [unrolled: 1-line block ×4, first 2 shown]
	s_waitcnt lgkmcnt(4)
	v_cvt_f32_f16_sdwa v17, v6 dst_sel:DWORD dst_unused:UNUSED_PAD src0_sel:WORD_1
	v_cvt_f32_f16_e32 v16, v6
	s_waitcnt lgkmcnt(2)
	v_cvt_f32_f16_sdwa v21, v10 dst_sel:DWORD dst_unused:UNUSED_PAD src0_sel:WORD_1
	v_cvt_f32_f16_e32 v20, v10
	;; [unrolled: 3-line block ×4, first 2 shown]
	v_pk_fma_f32 v[16:17], v[4:5], v[16:17], 0 op_sel_hi:[0,1,0]
	v_mov_b32_e32 v6, v5
	v_add_u32_e32 v18, v40, v2
	v_pk_fma_f32 v[16:17], v[6:7], v[20:21], v[16:17] op_sel_hi:[0,1,1]
	v_ashrrev_i32_e32 v19, 31, v18
	v_pk_fma_f32 v[16:17], v[8:9], v[22:23], v[16:17] op_sel_hi:[0,1,1]
	v_mov_b32_e32 v10, v9
	v_lshl_add_u64 v[18:19], v[18:19], 3, v[122:123]
	v_pk_fma_f32 v[16:17], v[10:11], v[24:25], v[16:17] op_sel_hi:[0,1,1]
	global_store_dwordx2 v[18:19], v[16:17], off
	v_cvt_f32_f16_sdwa v17, v7 dst_sel:DWORD dst_unused:UNUSED_PAD src0_sel:WORD_1
	v_cvt_f32_f16_e32 v16, v7
	v_cvt_f32_f16_sdwa v19, v11 dst_sel:DWORD dst_unused:UNUSED_PAD src0_sel:WORD_1
	v_cvt_f32_f16_e32 v18, v11
	;; [unrolled: 2-line block ×4, first 2 shown]
	v_pk_fma_f32 v[4:5], v[4:5], v[16:17], 0 op_sel_hi:[0,1,0]
	v_ashrrev_i32_e32 v3, 31, v2
	v_pk_fma_f32 v[4:5], v[6:7], v[18:19], v[4:5] op_sel_hi:[0,1,1]
	v_lshl_add_u64 v[2:3], v[40:41], 0, v[2:3]
	v_pk_fma_f32 v[4:5], v[8:9], v[20:21], v[4:5] op_sel_hi:[0,1,1]
	v_lshl_add_u64 v[2:3], v[2:3], 3, v[122:123]
	v_pk_fma_f32 v[4:5], v[10:11], v[12:13], v[4:5] op_sel_hi:[0,1,1]
	v_mov_b32_e32 v1, 0
	global_store_dwordx2 v[2:3], v[4:5], off offset:512
.LBB30_100:                             ;   in Loop: Header=BB30_12 Depth=1
	s_or_b64 exec, exec, s[8:9]
	v_cmp_gt_i32_e64 s[8:9], s95, v1
	s_mov_b64 s[12:13], -1
	s_and_saveexec_b64 s[72:73], s[8:9]
; %bb.101:                              ;   in Loop: Header=BB30_12 Depth=1
	v_cmp_eq_u32_e64 s[8:9], 0, v1
	s_orn2_b64 s[12:13], s[8:9], exec
; %bb.102:                              ;   in Loop: Header=BB30_12 Depth=1
	s_or_b64 exec, exec, s[72:73]
	s_and_b64 exec, exec, s[12:13]
	s_cbranch_execz .LBB30_160
; %bb.103:                              ;   in Loop: Header=BB30_12 Depth=1
	v_accvgpr_read_b32 v1, a17
	v_add_u32_e32 v2, v1, v215
	v_cmp_gt_i32_e64 s[8:9], s36, v2
	s_and_b64 s[12:13], s[8:9], vcc
	v_mov_b32_e32 v1, 0x47
	s_and_saveexec_b64 s[8:9], s[12:13]
	s_cbranch_execz .LBB30_105
; %bb.104:                              ;   in Loop: Header=BB30_12 Depth=1
	v_mul_lo_u32 v1, v2, s37
	v_add_lshl_u32 v2, v1, v244, 7
	v_accvgpr_read_b32 v1, a18
	v_accvgpr_read_b32 v3, a51
	ds_read2st64_b32 v[4:5], v1 offset0:2 offset1:35
	ds_read2st64_b32 v[6:7], v3 offset1:1
	ds_read2st64_b32 v[8:9], v1 offset0:68 offset1:101
	ds_read2st64_b32 v[10:11], v3 offset0:33 offset1:34
	;; [unrolled: 1-line block ×4, first 2 shown]
	s_waitcnt lgkmcnt(4)
	v_cvt_f32_f16_sdwa v17, v6 dst_sel:DWORD dst_unused:UNUSED_PAD src0_sel:WORD_1
	v_cvt_f32_f16_e32 v16, v6
	s_waitcnt lgkmcnt(2)
	v_cvt_f32_f16_sdwa v21, v10 dst_sel:DWORD dst_unused:UNUSED_PAD src0_sel:WORD_1
	v_cvt_f32_f16_e32 v20, v10
	;; [unrolled: 3-line block ×4, first 2 shown]
	v_pk_fma_f32 v[16:17], v[4:5], v[16:17], 0 op_sel_hi:[0,1,0]
	v_mov_b32_e32 v6, v5
	v_add_u32_e32 v18, v40, v2
	v_pk_fma_f32 v[16:17], v[6:7], v[20:21], v[16:17] op_sel_hi:[0,1,1]
	v_ashrrev_i32_e32 v19, 31, v18
	v_pk_fma_f32 v[16:17], v[8:9], v[22:23], v[16:17] op_sel_hi:[0,1,1]
	v_mov_b32_e32 v10, v9
	v_lshl_add_u64 v[18:19], v[18:19], 3, v[122:123]
	v_pk_fma_f32 v[16:17], v[10:11], v[24:25], v[16:17] op_sel_hi:[0,1,1]
	global_store_dwordx2 v[18:19], v[16:17], off
	v_cvt_f32_f16_sdwa v17, v7 dst_sel:DWORD dst_unused:UNUSED_PAD src0_sel:WORD_1
	v_cvt_f32_f16_e32 v16, v7
	v_cvt_f32_f16_sdwa v19, v11 dst_sel:DWORD dst_unused:UNUSED_PAD src0_sel:WORD_1
	v_cvt_f32_f16_e32 v18, v11
	v_cvt_f32_f16_sdwa v21, v13 dst_sel:DWORD dst_unused:UNUSED_PAD src0_sel:WORD_1
	v_cvt_f32_f16_e32 v20, v13
	v_cvt_f32_f16_sdwa v13, v15 dst_sel:DWORD dst_unused:UNUSED_PAD src0_sel:WORD_1
	v_cvt_f32_f16_e32 v12, v15
	v_pk_fma_f32 v[4:5], v[4:5], v[16:17], 0 op_sel_hi:[0,1,0]
	v_ashrrev_i32_e32 v3, 31, v2
	v_pk_fma_f32 v[4:5], v[6:7], v[18:19], v[4:5] op_sel_hi:[0,1,1]
	v_lshl_add_u64 v[2:3], v[40:41], 0, v[2:3]
	v_pk_fma_f32 v[4:5], v[8:9], v[20:21], v[4:5] op_sel_hi:[0,1,1]
	v_lshl_add_u64 v[2:3], v[2:3], 3, v[122:123]
	v_pk_fma_f32 v[4:5], v[10:11], v[12:13], v[4:5] op_sel_hi:[0,1,1]
	v_mov_b32_e32 v1, 0
	global_store_dwordx2 v[2:3], v[4:5], off offset:512
.LBB30_105:                             ;   in Loop: Header=BB30_12 Depth=1
	s_or_b64 exec, exec, s[8:9]
	v_cmp_gt_i32_e64 s[8:9], s95, v1
	s_mov_b64 s[12:13], -1
	s_and_saveexec_b64 s[72:73], s[8:9]
; %bb.106:                              ;   in Loop: Header=BB30_12 Depth=1
	v_cmp_eq_u32_e64 s[8:9], 0, v1
	s_orn2_b64 s[12:13], s[8:9], exec
; %bb.107:                              ;   in Loop: Header=BB30_12 Depth=1
	s_or_b64 exec, exec, s[72:73]
	s_and_b64 exec, exec, s[12:13]
	s_cbranch_execz .LBB30_160
; %bb.108:                              ;   in Loop: Header=BB30_12 Depth=1
	v_accvgpr_read_b32 v1, a19
	v_add_u32_e32 v2, v1, v215
	v_accvgpr_read_b32 v1, a20
	v_or_b32_e32 v1, v1, v43
	v_cmp_gt_i32_e64 s[8:9], s36, v2
	v_cmp_gt_i32_e64 s[12:13], s74, v1
	s_and_b64 s[12:13], s[8:9], s[12:13]
	v_mov_b32_e32 v1, 0x47
	s_and_saveexec_b64 s[8:9], s[12:13]
	s_cbranch_execz .LBB30_110
; %bb.109:                              ;   in Loop: Header=BB30_12 Depth=1
	v_mul_lo_u32 v1, v2, s37
	v_accvgpr_read_b32 v2, a20
	v_add_lshl_u32 v2, v1, v2, 7
	v_accvgpr_read_b32 v1, a21
	v_accvgpr_read_b32 v3, a52
	ds_read2st64_b32 v[4:5], v1 offset0:2 offset1:35
	ds_read2st64_b32 v[6:7], v3 offset1:1
	ds_read2st64_b32 v[8:9], v1 offset0:68 offset1:101
	ds_read2st64_b32 v[10:11], v3 offset0:33 offset1:34
	;; [unrolled: 1-line block ×4, first 2 shown]
	s_waitcnt lgkmcnt(4)
	v_cvt_f32_f16_sdwa v17, v6 dst_sel:DWORD dst_unused:UNUSED_PAD src0_sel:WORD_1
	v_cvt_f32_f16_e32 v16, v6
	s_waitcnt lgkmcnt(2)
	v_cvt_f32_f16_sdwa v21, v10 dst_sel:DWORD dst_unused:UNUSED_PAD src0_sel:WORD_1
	v_cvt_f32_f16_e32 v20, v10
	s_waitcnt lgkmcnt(1)
	v_cvt_f32_f16_sdwa v23, v12 dst_sel:DWORD dst_unused:UNUSED_PAD src0_sel:WORD_1
	v_cvt_f32_f16_e32 v22, v12
	s_waitcnt lgkmcnt(0)
	v_cvt_f32_f16_sdwa v25, v14 dst_sel:DWORD dst_unused:UNUSED_PAD src0_sel:WORD_1
	v_cvt_f32_f16_e32 v24, v14
	v_pk_fma_f32 v[16:17], v[4:5], v[16:17], 0 op_sel_hi:[0,1,0]
	v_mov_b32_e32 v6, v5
	v_add_u32_e32 v18, v40, v2
	v_pk_fma_f32 v[16:17], v[6:7], v[20:21], v[16:17] op_sel_hi:[0,1,1]
	v_ashrrev_i32_e32 v19, 31, v18
	v_pk_fma_f32 v[16:17], v[8:9], v[22:23], v[16:17] op_sel_hi:[0,1,1]
	v_mov_b32_e32 v10, v9
	v_lshl_add_u64 v[18:19], v[18:19], 3, v[122:123]
	v_pk_fma_f32 v[16:17], v[10:11], v[24:25], v[16:17] op_sel_hi:[0,1,1]
	global_store_dwordx2 v[18:19], v[16:17], off
	v_cvt_f32_f16_sdwa v17, v7 dst_sel:DWORD dst_unused:UNUSED_PAD src0_sel:WORD_1
	v_cvt_f32_f16_e32 v16, v7
	v_cvt_f32_f16_sdwa v19, v11 dst_sel:DWORD dst_unused:UNUSED_PAD src0_sel:WORD_1
	v_cvt_f32_f16_e32 v18, v11
	v_cvt_f32_f16_sdwa v21, v13 dst_sel:DWORD dst_unused:UNUSED_PAD src0_sel:WORD_1
	v_cvt_f32_f16_e32 v20, v13
	v_cvt_f32_f16_sdwa v13, v15 dst_sel:DWORD dst_unused:UNUSED_PAD src0_sel:WORD_1
	v_cvt_f32_f16_e32 v12, v15
	v_pk_fma_f32 v[4:5], v[4:5], v[16:17], 0 op_sel_hi:[0,1,0]
	v_ashrrev_i32_e32 v3, 31, v2
	v_pk_fma_f32 v[4:5], v[6:7], v[18:19], v[4:5] op_sel_hi:[0,1,1]
	v_lshl_add_u64 v[2:3], v[40:41], 0, v[2:3]
	v_pk_fma_f32 v[4:5], v[8:9], v[20:21], v[4:5] op_sel_hi:[0,1,1]
	v_lshl_add_u64 v[2:3], v[2:3], 3, v[122:123]
	v_pk_fma_f32 v[4:5], v[10:11], v[12:13], v[4:5] op_sel_hi:[0,1,1]
	v_mov_b32_e32 v1, 0
	global_store_dwordx2 v[2:3], v[4:5], off offset:512
.LBB30_110:                             ;   in Loop: Header=BB30_12 Depth=1
	s_or_b64 exec, exec, s[8:9]
	v_cmp_gt_i32_e64 s[8:9], s95, v1
	s_mov_b64 s[12:13], -1
	s_and_saveexec_b64 s[72:73], s[8:9]
; %bb.111:                              ;   in Loop: Header=BB30_12 Depth=1
	v_cmp_eq_u32_e64 s[8:9], 0, v1
	s_orn2_b64 s[12:13], s[8:9], exec
; %bb.112:                              ;   in Loop: Header=BB30_12 Depth=1
	s_or_b64 exec, exec, s[72:73]
	s_and_b64 exec, exec, s[12:13]
	s_cbranch_execz .LBB30_160
; %bb.113:                              ;   in Loop: Header=BB30_12 Depth=1
	v_accvgpr_read_b32 v1, a22
	v_add_u32_e32 v2, v1, v215
	v_accvgpr_read_b32 v1, a23
	v_or_b32_e32 v1, v1, v43
	v_cmp_gt_i32_e64 s[8:9], s36, v2
	v_cmp_gt_i32_e64 s[12:13], s74, v1
	s_and_b64 s[12:13], s[8:9], s[12:13]
	v_mov_b32_e32 v1, 0x47
	s_and_saveexec_b64 s[8:9], s[12:13]
	s_cbranch_execz .LBB30_115
; %bb.114:                              ;   in Loop: Header=BB30_12 Depth=1
	v_mul_lo_u32 v1, v2, s37
	v_accvgpr_read_b32 v2, a23
	v_add_lshl_u32 v2, v1, v2, 7
	v_accvgpr_read_b32 v1, a24
	v_accvgpr_read_b32 v3, a53
	ds_read2st64_b32 v[4:5], v1 offset0:2 offset1:35
	ds_read2st64_b32 v[6:7], v3 offset1:1
	ds_read2st64_b32 v[8:9], v1 offset0:68 offset1:101
	ds_read2st64_b32 v[10:11], v3 offset0:33 offset1:34
	;; [unrolled: 1-line block ×4, first 2 shown]
	s_waitcnt lgkmcnt(4)
	v_cvt_f32_f16_sdwa v17, v6 dst_sel:DWORD dst_unused:UNUSED_PAD src0_sel:WORD_1
	v_cvt_f32_f16_e32 v16, v6
	s_waitcnt lgkmcnt(2)
	v_cvt_f32_f16_sdwa v21, v10 dst_sel:DWORD dst_unused:UNUSED_PAD src0_sel:WORD_1
	v_cvt_f32_f16_e32 v20, v10
	;; [unrolled: 3-line block ×4, first 2 shown]
	v_pk_fma_f32 v[16:17], v[4:5], v[16:17], 0 op_sel_hi:[0,1,0]
	v_mov_b32_e32 v6, v5
	v_add_u32_e32 v18, v40, v2
	v_pk_fma_f32 v[16:17], v[6:7], v[20:21], v[16:17] op_sel_hi:[0,1,1]
	v_ashrrev_i32_e32 v19, 31, v18
	v_pk_fma_f32 v[16:17], v[8:9], v[22:23], v[16:17] op_sel_hi:[0,1,1]
	v_mov_b32_e32 v10, v9
	v_lshl_add_u64 v[18:19], v[18:19], 3, v[122:123]
	v_pk_fma_f32 v[16:17], v[10:11], v[24:25], v[16:17] op_sel_hi:[0,1,1]
	global_store_dwordx2 v[18:19], v[16:17], off
	v_cvt_f32_f16_sdwa v17, v7 dst_sel:DWORD dst_unused:UNUSED_PAD src0_sel:WORD_1
	v_cvt_f32_f16_e32 v16, v7
	v_cvt_f32_f16_sdwa v19, v11 dst_sel:DWORD dst_unused:UNUSED_PAD src0_sel:WORD_1
	v_cvt_f32_f16_e32 v18, v11
	;; [unrolled: 2-line block ×4, first 2 shown]
	v_pk_fma_f32 v[4:5], v[4:5], v[16:17], 0 op_sel_hi:[0,1,0]
	v_ashrrev_i32_e32 v3, 31, v2
	v_pk_fma_f32 v[4:5], v[6:7], v[18:19], v[4:5] op_sel_hi:[0,1,1]
	v_lshl_add_u64 v[2:3], v[40:41], 0, v[2:3]
	v_pk_fma_f32 v[4:5], v[8:9], v[20:21], v[4:5] op_sel_hi:[0,1,1]
	v_lshl_add_u64 v[2:3], v[2:3], 3, v[122:123]
	v_pk_fma_f32 v[4:5], v[10:11], v[12:13], v[4:5] op_sel_hi:[0,1,1]
	v_mov_b32_e32 v1, 0
	global_store_dwordx2 v[2:3], v[4:5], off offset:512
.LBB30_115:                             ;   in Loop: Header=BB30_12 Depth=1
	s_or_b64 exec, exec, s[8:9]
	v_cmp_gt_i32_e64 s[8:9], s95, v1
	s_mov_b64 s[12:13], -1
	s_and_saveexec_b64 s[72:73], s[8:9]
; %bb.116:                              ;   in Loop: Header=BB30_12 Depth=1
	v_cmp_eq_u32_e64 s[8:9], 0, v1
	s_orn2_b64 s[12:13], s[8:9], exec
; %bb.117:                              ;   in Loop: Header=BB30_12 Depth=1
	s_or_b64 exec, exec, s[72:73]
	s_and_b64 exec, exec, s[12:13]
	s_cbranch_execz .LBB30_160
; %bb.118:                              ;   in Loop: Header=BB30_12 Depth=1
	v_accvgpr_read_b32 v1, a25
	v_add_u32_e32 v2, v1, v215
	v_accvgpr_read_b32 v1, a26
	v_or_b32_e32 v1, v1, v43
	v_cmp_gt_i32_e64 s[8:9], s36, v2
	v_cmp_gt_i32_e64 s[12:13], s74, v1
	s_and_b64 s[12:13], s[8:9], s[12:13]
	v_mov_b32_e32 v1, 0x47
	s_and_saveexec_b64 s[8:9], s[12:13]
	s_cbranch_execz .LBB30_120
; %bb.119:                              ;   in Loop: Header=BB30_12 Depth=1
	v_mul_lo_u32 v1, v2, s37
	v_accvgpr_read_b32 v2, a26
	v_add_lshl_u32 v2, v1, v2, 7
	v_accvgpr_read_b32 v1, a27
	v_accvgpr_read_b32 v3, a54
	ds_read2st64_b32 v[4:5], v1 offset0:2 offset1:35
	ds_read2st64_b32 v[6:7], v3 offset1:1
	ds_read2st64_b32 v[8:9], v1 offset0:68 offset1:101
	ds_read2st64_b32 v[10:11], v3 offset0:33 offset1:34
	;; [unrolled: 1-line block ×4, first 2 shown]
	s_waitcnt lgkmcnt(4)
	v_cvt_f32_f16_sdwa v17, v6 dst_sel:DWORD dst_unused:UNUSED_PAD src0_sel:WORD_1
	v_cvt_f32_f16_e32 v16, v6
	s_waitcnt lgkmcnt(2)
	v_cvt_f32_f16_sdwa v21, v10 dst_sel:DWORD dst_unused:UNUSED_PAD src0_sel:WORD_1
	v_cvt_f32_f16_e32 v20, v10
	;; [unrolled: 3-line block ×4, first 2 shown]
	v_pk_fma_f32 v[16:17], v[4:5], v[16:17], 0 op_sel_hi:[0,1,0]
	v_mov_b32_e32 v6, v5
	v_add_u32_e32 v18, v40, v2
	v_pk_fma_f32 v[16:17], v[6:7], v[20:21], v[16:17] op_sel_hi:[0,1,1]
	v_ashrrev_i32_e32 v19, 31, v18
	v_pk_fma_f32 v[16:17], v[8:9], v[22:23], v[16:17] op_sel_hi:[0,1,1]
	v_mov_b32_e32 v10, v9
	v_lshl_add_u64 v[18:19], v[18:19], 3, v[122:123]
	v_pk_fma_f32 v[16:17], v[10:11], v[24:25], v[16:17] op_sel_hi:[0,1,1]
	global_store_dwordx2 v[18:19], v[16:17], off
	v_cvt_f32_f16_sdwa v17, v7 dst_sel:DWORD dst_unused:UNUSED_PAD src0_sel:WORD_1
	v_cvt_f32_f16_e32 v16, v7
	v_cvt_f32_f16_sdwa v19, v11 dst_sel:DWORD dst_unused:UNUSED_PAD src0_sel:WORD_1
	v_cvt_f32_f16_e32 v18, v11
	;; [unrolled: 2-line block ×4, first 2 shown]
	v_pk_fma_f32 v[4:5], v[4:5], v[16:17], 0 op_sel_hi:[0,1,0]
	v_ashrrev_i32_e32 v3, 31, v2
	v_pk_fma_f32 v[4:5], v[6:7], v[18:19], v[4:5] op_sel_hi:[0,1,1]
	v_lshl_add_u64 v[2:3], v[40:41], 0, v[2:3]
	v_pk_fma_f32 v[4:5], v[8:9], v[20:21], v[4:5] op_sel_hi:[0,1,1]
	v_lshl_add_u64 v[2:3], v[2:3], 3, v[122:123]
	v_pk_fma_f32 v[4:5], v[10:11], v[12:13], v[4:5] op_sel_hi:[0,1,1]
	v_mov_b32_e32 v1, 0
	global_store_dwordx2 v[2:3], v[4:5], off offset:512
.LBB30_120:                             ;   in Loop: Header=BB30_12 Depth=1
	s_or_b64 exec, exec, s[8:9]
	v_cmp_gt_i32_e64 s[8:9], s95, v1
	s_mov_b64 s[12:13], -1
	s_and_saveexec_b64 s[72:73], s[8:9]
; %bb.121:                              ;   in Loop: Header=BB30_12 Depth=1
	v_cmp_eq_u32_e64 s[8:9], 0, v1
	s_orn2_b64 s[12:13], s[8:9], exec
; %bb.122:                              ;   in Loop: Header=BB30_12 Depth=1
	s_or_b64 exec, exec, s[72:73]
	s_and_b64 exec, exec, s[12:13]
	s_cbranch_execz .LBB30_160
; %bb.123:                              ;   in Loop: Header=BB30_12 Depth=1
	v_accvgpr_read_b32 v1, a28
	v_add_u32_e32 v2, v1, v215
	v_cmp_gt_i32_e64 s[8:9], s36, v2
	s_and_b64 s[12:13], s[8:9], vcc
	v_mov_b32_e32 v1, 0x47
	s_and_saveexec_b64 s[8:9], s[12:13]
	s_cbranch_execz .LBB30_125
; %bb.124:                              ;   in Loop: Header=BB30_12 Depth=1
	v_mul_lo_u32 v1, v2, s37
	v_add_lshl_u32 v2, v1, v244, 7
	v_accvgpr_read_b32 v1, a29
	v_accvgpr_read_b32 v3, a55
	ds_read2st64_b32 v[4:5], v1 offset0:2 offset1:35
	ds_read2st64_b32 v[6:7], v3 offset1:1
	ds_read2st64_b32 v[8:9], v1 offset0:68 offset1:101
	ds_read2st64_b32 v[10:11], v3 offset0:33 offset1:34
	;; [unrolled: 1-line block ×4, first 2 shown]
	s_waitcnt lgkmcnt(4)
	v_cvt_f32_f16_sdwa v17, v6 dst_sel:DWORD dst_unused:UNUSED_PAD src0_sel:WORD_1
	v_cvt_f32_f16_e32 v16, v6
	s_waitcnt lgkmcnt(2)
	v_cvt_f32_f16_sdwa v21, v10 dst_sel:DWORD dst_unused:UNUSED_PAD src0_sel:WORD_1
	v_cvt_f32_f16_e32 v20, v10
	s_waitcnt lgkmcnt(1)
	v_cvt_f32_f16_sdwa v23, v12 dst_sel:DWORD dst_unused:UNUSED_PAD src0_sel:WORD_1
	v_cvt_f32_f16_e32 v22, v12
	s_waitcnt lgkmcnt(0)
	v_cvt_f32_f16_sdwa v25, v14 dst_sel:DWORD dst_unused:UNUSED_PAD src0_sel:WORD_1
	v_cvt_f32_f16_e32 v24, v14
	v_pk_fma_f32 v[16:17], v[4:5], v[16:17], 0 op_sel_hi:[0,1,0]
	v_mov_b32_e32 v6, v5
	v_add_u32_e32 v18, v40, v2
	v_pk_fma_f32 v[16:17], v[6:7], v[20:21], v[16:17] op_sel_hi:[0,1,1]
	v_ashrrev_i32_e32 v19, 31, v18
	v_pk_fma_f32 v[16:17], v[8:9], v[22:23], v[16:17] op_sel_hi:[0,1,1]
	v_mov_b32_e32 v10, v9
	v_lshl_add_u64 v[18:19], v[18:19], 3, v[122:123]
	v_pk_fma_f32 v[16:17], v[10:11], v[24:25], v[16:17] op_sel_hi:[0,1,1]
	global_store_dwordx2 v[18:19], v[16:17], off
	v_cvt_f32_f16_sdwa v17, v7 dst_sel:DWORD dst_unused:UNUSED_PAD src0_sel:WORD_1
	v_cvt_f32_f16_e32 v16, v7
	v_cvt_f32_f16_sdwa v19, v11 dst_sel:DWORD dst_unused:UNUSED_PAD src0_sel:WORD_1
	v_cvt_f32_f16_e32 v18, v11
	v_cvt_f32_f16_sdwa v21, v13 dst_sel:DWORD dst_unused:UNUSED_PAD src0_sel:WORD_1
	v_cvt_f32_f16_e32 v20, v13
	v_cvt_f32_f16_sdwa v13, v15 dst_sel:DWORD dst_unused:UNUSED_PAD src0_sel:WORD_1
	v_cvt_f32_f16_e32 v12, v15
	v_pk_fma_f32 v[4:5], v[4:5], v[16:17], 0 op_sel_hi:[0,1,0]
	v_ashrrev_i32_e32 v3, 31, v2
	v_pk_fma_f32 v[4:5], v[6:7], v[18:19], v[4:5] op_sel_hi:[0,1,1]
	v_lshl_add_u64 v[2:3], v[40:41], 0, v[2:3]
	v_pk_fma_f32 v[4:5], v[8:9], v[20:21], v[4:5] op_sel_hi:[0,1,1]
	v_lshl_add_u64 v[2:3], v[2:3], 3, v[122:123]
	v_pk_fma_f32 v[4:5], v[10:11], v[12:13], v[4:5] op_sel_hi:[0,1,1]
	v_mov_b32_e32 v1, 0
	global_store_dwordx2 v[2:3], v[4:5], off offset:512
.LBB30_125:                             ;   in Loop: Header=BB30_12 Depth=1
	s_or_b64 exec, exec, s[8:9]
	v_cmp_gt_i32_e64 s[8:9], s95, v1
	s_mov_b64 s[12:13], -1
	s_and_saveexec_b64 s[72:73], s[8:9]
; %bb.126:                              ;   in Loop: Header=BB30_12 Depth=1
	v_cmp_eq_u32_e64 s[8:9], 0, v1
	s_orn2_b64 s[12:13], s[8:9], exec
; %bb.127:                              ;   in Loop: Header=BB30_12 Depth=1
	s_or_b64 exec, exec, s[72:73]
	s_and_b64 exec, exec, s[12:13]
	s_cbranch_execz .LBB30_160
; %bb.128:                              ;   in Loop: Header=BB30_12 Depth=1
	v_accvgpr_read_b32 v1, a30
	v_add_u32_e32 v2, v1, v215
	v_accvgpr_read_b32 v1, a31
	v_or_b32_e32 v1, v1, v43
	v_cmp_gt_i32_e64 s[8:9], s36, v2
	v_cmp_gt_i32_e64 s[12:13], s74, v1
	s_and_b64 s[12:13], s[8:9], s[12:13]
	v_mov_b32_e32 v1, 0x47
	s_and_saveexec_b64 s[8:9], s[12:13]
	s_cbranch_execz .LBB30_130
; %bb.129:                              ;   in Loop: Header=BB30_12 Depth=1
	v_mul_lo_u32 v1, v2, s37
	v_accvgpr_read_b32 v2, a31
	v_add_lshl_u32 v2, v1, v2, 7
	v_accvgpr_read_b32 v1, a32
	v_accvgpr_read_b32 v3, a56
	ds_read2st64_b32 v[4:5], v1 offset0:2 offset1:35
	ds_read2st64_b32 v[6:7], v3 offset1:1
	ds_read2st64_b32 v[8:9], v1 offset0:68 offset1:101
	ds_read2st64_b32 v[10:11], v3 offset0:33 offset1:34
	;; [unrolled: 1-line block ×4, first 2 shown]
	s_waitcnt lgkmcnt(4)
	v_cvt_f32_f16_sdwa v17, v6 dst_sel:DWORD dst_unused:UNUSED_PAD src0_sel:WORD_1
	v_cvt_f32_f16_e32 v16, v6
	s_waitcnt lgkmcnt(2)
	v_cvt_f32_f16_sdwa v21, v10 dst_sel:DWORD dst_unused:UNUSED_PAD src0_sel:WORD_1
	v_cvt_f32_f16_e32 v20, v10
	;; [unrolled: 3-line block ×4, first 2 shown]
	v_pk_fma_f32 v[16:17], v[4:5], v[16:17], 0 op_sel_hi:[0,1,0]
	v_mov_b32_e32 v6, v5
	v_add_u32_e32 v18, v40, v2
	v_pk_fma_f32 v[16:17], v[6:7], v[20:21], v[16:17] op_sel_hi:[0,1,1]
	v_ashrrev_i32_e32 v19, 31, v18
	v_pk_fma_f32 v[16:17], v[8:9], v[22:23], v[16:17] op_sel_hi:[0,1,1]
	v_mov_b32_e32 v10, v9
	v_lshl_add_u64 v[18:19], v[18:19], 3, v[122:123]
	v_pk_fma_f32 v[16:17], v[10:11], v[24:25], v[16:17] op_sel_hi:[0,1,1]
	global_store_dwordx2 v[18:19], v[16:17], off
	v_cvt_f32_f16_sdwa v17, v7 dst_sel:DWORD dst_unused:UNUSED_PAD src0_sel:WORD_1
	v_cvt_f32_f16_e32 v16, v7
	v_cvt_f32_f16_sdwa v19, v11 dst_sel:DWORD dst_unused:UNUSED_PAD src0_sel:WORD_1
	v_cvt_f32_f16_e32 v18, v11
	;; [unrolled: 2-line block ×4, first 2 shown]
	v_pk_fma_f32 v[4:5], v[4:5], v[16:17], 0 op_sel_hi:[0,1,0]
	v_ashrrev_i32_e32 v3, 31, v2
	v_pk_fma_f32 v[4:5], v[6:7], v[18:19], v[4:5] op_sel_hi:[0,1,1]
	v_lshl_add_u64 v[2:3], v[40:41], 0, v[2:3]
	v_pk_fma_f32 v[4:5], v[8:9], v[20:21], v[4:5] op_sel_hi:[0,1,1]
	v_lshl_add_u64 v[2:3], v[2:3], 3, v[122:123]
	v_pk_fma_f32 v[4:5], v[10:11], v[12:13], v[4:5] op_sel_hi:[0,1,1]
	v_mov_b32_e32 v1, 0
	global_store_dwordx2 v[2:3], v[4:5], off offset:512
.LBB30_130:                             ;   in Loop: Header=BB30_12 Depth=1
	s_or_b64 exec, exec, s[8:9]
	v_cmp_gt_i32_e64 s[8:9], s95, v1
	s_mov_b64 s[12:13], -1
	s_and_saveexec_b64 s[72:73], s[8:9]
; %bb.131:                              ;   in Loop: Header=BB30_12 Depth=1
	v_cmp_eq_u32_e64 s[8:9], 0, v1
	s_orn2_b64 s[12:13], s[8:9], exec
; %bb.132:                              ;   in Loop: Header=BB30_12 Depth=1
	s_or_b64 exec, exec, s[72:73]
	s_and_b64 exec, exec, s[12:13]
	s_cbranch_execz .LBB30_160
; %bb.133:                              ;   in Loop: Header=BB30_12 Depth=1
	v_accvgpr_read_b32 v1, a33
	v_add_u32_e32 v2, v1, v215
	v_accvgpr_read_b32 v1, a34
	v_or_b32_e32 v1, v1, v43
	v_cmp_gt_i32_e64 s[8:9], s36, v2
	v_cmp_gt_i32_e64 s[12:13], s74, v1
	s_and_b64 s[12:13], s[8:9], s[12:13]
	v_mov_b32_e32 v1, 0x47
	s_and_saveexec_b64 s[8:9], s[12:13]
	s_cbranch_execz .LBB30_135
; %bb.134:                              ;   in Loop: Header=BB30_12 Depth=1
	v_mul_lo_u32 v1, v2, s37
	v_accvgpr_read_b32 v2, a34
	v_add_lshl_u32 v2, v1, v2, 7
	v_accvgpr_read_b32 v1, a35
	v_accvgpr_read_b32 v3, a57
	ds_read2st64_b32 v[4:5], v1 offset0:2 offset1:35
	ds_read2st64_b32 v[6:7], v3 offset1:1
	ds_read2st64_b32 v[8:9], v1 offset0:68 offset1:101
	ds_read2st64_b32 v[10:11], v3 offset0:33 offset1:34
	;; [unrolled: 1-line block ×4, first 2 shown]
	s_waitcnt lgkmcnt(4)
	v_cvt_f32_f16_sdwa v17, v6 dst_sel:DWORD dst_unused:UNUSED_PAD src0_sel:WORD_1
	v_cvt_f32_f16_e32 v16, v6
	s_waitcnt lgkmcnt(2)
	v_cvt_f32_f16_sdwa v21, v10 dst_sel:DWORD dst_unused:UNUSED_PAD src0_sel:WORD_1
	v_cvt_f32_f16_e32 v20, v10
	;; [unrolled: 3-line block ×4, first 2 shown]
	v_pk_fma_f32 v[16:17], v[4:5], v[16:17], 0 op_sel_hi:[0,1,0]
	v_mov_b32_e32 v6, v5
	v_add_u32_e32 v18, v40, v2
	v_pk_fma_f32 v[16:17], v[6:7], v[20:21], v[16:17] op_sel_hi:[0,1,1]
	v_ashrrev_i32_e32 v19, 31, v18
	v_pk_fma_f32 v[16:17], v[8:9], v[22:23], v[16:17] op_sel_hi:[0,1,1]
	v_mov_b32_e32 v10, v9
	v_lshl_add_u64 v[18:19], v[18:19], 3, v[122:123]
	v_pk_fma_f32 v[16:17], v[10:11], v[24:25], v[16:17] op_sel_hi:[0,1,1]
	global_store_dwordx2 v[18:19], v[16:17], off
	v_cvt_f32_f16_sdwa v17, v7 dst_sel:DWORD dst_unused:UNUSED_PAD src0_sel:WORD_1
	v_cvt_f32_f16_e32 v16, v7
	v_cvt_f32_f16_sdwa v19, v11 dst_sel:DWORD dst_unused:UNUSED_PAD src0_sel:WORD_1
	v_cvt_f32_f16_e32 v18, v11
	v_cvt_f32_f16_sdwa v21, v13 dst_sel:DWORD dst_unused:UNUSED_PAD src0_sel:WORD_1
	v_cvt_f32_f16_e32 v20, v13
	v_cvt_f32_f16_sdwa v13, v15 dst_sel:DWORD dst_unused:UNUSED_PAD src0_sel:WORD_1
	v_cvt_f32_f16_e32 v12, v15
	v_pk_fma_f32 v[4:5], v[4:5], v[16:17], 0 op_sel_hi:[0,1,0]
	v_ashrrev_i32_e32 v3, 31, v2
	v_pk_fma_f32 v[4:5], v[6:7], v[18:19], v[4:5] op_sel_hi:[0,1,1]
	v_lshl_add_u64 v[2:3], v[40:41], 0, v[2:3]
	v_pk_fma_f32 v[4:5], v[8:9], v[20:21], v[4:5] op_sel_hi:[0,1,1]
	v_lshl_add_u64 v[2:3], v[2:3], 3, v[122:123]
	v_pk_fma_f32 v[4:5], v[10:11], v[12:13], v[4:5] op_sel_hi:[0,1,1]
	v_mov_b32_e32 v1, 0
	global_store_dwordx2 v[2:3], v[4:5], off offset:512
.LBB30_135:                             ;   in Loop: Header=BB30_12 Depth=1
	s_or_b64 exec, exec, s[8:9]
	v_cmp_gt_i32_e64 s[8:9], s95, v1
	s_mov_b64 s[12:13], -1
	s_and_saveexec_b64 s[72:73], s[8:9]
; %bb.136:                              ;   in Loop: Header=BB30_12 Depth=1
	v_cmp_eq_u32_e64 s[8:9], 0, v1
	s_orn2_b64 s[12:13], s[8:9], exec
; %bb.137:                              ;   in Loop: Header=BB30_12 Depth=1
	s_or_b64 exec, exec, s[72:73]
	s_and_b64 exec, exec, s[12:13]
	s_cbranch_execz .LBB30_160
; %bb.138:                              ;   in Loop: Header=BB30_12 Depth=1
	v_accvgpr_read_b32 v1, a36
	v_add_u32_e32 v2, v1, v215
	v_accvgpr_read_b32 v1, a37
	v_or_b32_e32 v1, v1, v43
	v_cmp_gt_i32_e64 s[8:9], s36, v2
	v_cmp_gt_i32_e64 s[12:13], s74, v1
	s_and_b64 s[12:13], s[8:9], s[12:13]
	v_mov_b32_e32 v1, 0x47
	s_and_saveexec_b64 s[8:9], s[12:13]
	s_cbranch_execz .LBB30_140
; %bb.139:                              ;   in Loop: Header=BB30_12 Depth=1
	v_mul_lo_u32 v1, v2, s37
	v_accvgpr_read_b32 v2, a37
	v_add_lshl_u32 v2, v1, v2, 7
	v_accvgpr_read_b32 v1, a38
	v_accvgpr_read_b32 v3, a58
	ds_read2st64_b32 v[4:5], v1 offset0:2 offset1:35
	ds_read2st64_b32 v[6:7], v3 offset1:1
	ds_read2st64_b32 v[8:9], v1 offset0:68 offset1:101
	ds_read2st64_b32 v[10:11], v3 offset0:33 offset1:34
	;; [unrolled: 1-line block ×4, first 2 shown]
	s_waitcnt lgkmcnt(4)
	v_cvt_f32_f16_sdwa v17, v6 dst_sel:DWORD dst_unused:UNUSED_PAD src0_sel:WORD_1
	v_cvt_f32_f16_e32 v16, v6
	s_waitcnt lgkmcnt(2)
	v_cvt_f32_f16_sdwa v21, v10 dst_sel:DWORD dst_unused:UNUSED_PAD src0_sel:WORD_1
	v_cvt_f32_f16_e32 v20, v10
	;; [unrolled: 3-line block ×4, first 2 shown]
	v_pk_fma_f32 v[16:17], v[4:5], v[16:17], 0 op_sel_hi:[0,1,0]
	v_mov_b32_e32 v6, v5
	v_add_u32_e32 v18, v40, v2
	v_pk_fma_f32 v[16:17], v[6:7], v[20:21], v[16:17] op_sel_hi:[0,1,1]
	v_ashrrev_i32_e32 v19, 31, v18
	v_pk_fma_f32 v[16:17], v[8:9], v[22:23], v[16:17] op_sel_hi:[0,1,1]
	v_mov_b32_e32 v10, v9
	v_lshl_add_u64 v[18:19], v[18:19], 3, v[122:123]
	v_pk_fma_f32 v[16:17], v[10:11], v[24:25], v[16:17] op_sel_hi:[0,1,1]
	global_store_dwordx2 v[18:19], v[16:17], off
	v_cvt_f32_f16_sdwa v17, v7 dst_sel:DWORD dst_unused:UNUSED_PAD src0_sel:WORD_1
	v_cvt_f32_f16_e32 v16, v7
	v_cvt_f32_f16_sdwa v19, v11 dst_sel:DWORD dst_unused:UNUSED_PAD src0_sel:WORD_1
	v_cvt_f32_f16_e32 v18, v11
	;; [unrolled: 2-line block ×4, first 2 shown]
	v_pk_fma_f32 v[4:5], v[4:5], v[16:17], 0 op_sel_hi:[0,1,0]
	v_ashrrev_i32_e32 v3, 31, v2
	v_pk_fma_f32 v[4:5], v[6:7], v[18:19], v[4:5] op_sel_hi:[0,1,1]
	v_lshl_add_u64 v[2:3], v[40:41], 0, v[2:3]
	v_pk_fma_f32 v[4:5], v[8:9], v[20:21], v[4:5] op_sel_hi:[0,1,1]
	v_lshl_add_u64 v[2:3], v[2:3], 3, v[122:123]
	v_pk_fma_f32 v[4:5], v[10:11], v[12:13], v[4:5] op_sel_hi:[0,1,1]
	v_mov_b32_e32 v1, 0
	global_store_dwordx2 v[2:3], v[4:5], off offset:512
.LBB30_140:                             ;   in Loop: Header=BB30_12 Depth=1
	s_or_b64 exec, exec, s[8:9]
	v_cmp_gt_i32_e64 s[8:9], s95, v1
	s_mov_b64 s[12:13], -1
	s_and_saveexec_b64 s[72:73], s[8:9]
; %bb.141:                              ;   in Loop: Header=BB30_12 Depth=1
	v_cmp_eq_u32_e64 s[8:9], 0, v1
	s_orn2_b64 s[12:13], s[8:9], exec
; %bb.142:                              ;   in Loop: Header=BB30_12 Depth=1
	s_or_b64 exec, exec, s[72:73]
	s_and_b64 exec, exec, s[12:13]
	s_cbranch_execz .LBB30_160
; %bb.143:                              ;   in Loop: Header=BB30_12 Depth=1
	v_accvgpr_read_b32 v1, a39
	v_add_u32_e32 v2, v1, v215
	v_cmp_gt_i32_e64 s[8:9], s36, v2
	s_and_b64 s[12:13], s[8:9], vcc
	v_mov_b32_e32 v1, 0x47
	s_and_saveexec_b64 s[8:9], s[12:13]
	s_cbranch_execz .LBB30_145
; %bb.144:                              ;   in Loop: Header=BB30_12 Depth=1
	v_mul_lo_u32 v1, v2, s37
	v_add_lshl_u32 v2, v1, v244, 7
	v_accvgpr_read_b32 v1, a40
	v_accvgpr_read_b32 v3, a59
	ds_read2st64_b32 v[4:5], v1 offset0:2 offset1:35
	ds_read2st64_b32 v[6:7], v3 offset1:1
	ds_read2st64_b32 v[8:9], v1 offset0:68 offset1:101
	ds_read2st64_b32 v[10:11], v3 offset0:33 offset1:34
	;; [unrolled: 1-line block ×4, first 2 shown]
	s_waitcnt lgkmcnt(4)
	v_cvt_f32_f16_sdwa v17, v6 dst_sel:DWORD dst_unused:UNUSED_PAD src0_sel:WORD_1
	v_cvt_f32_f16_e32 v16, v6
	s_waitcnt lgkmcnt(2)
	v_cvt_f32_f16_sdwa v21, v10 dst_sel:DWORD dst_unused:UNUSED_PAD src0_sel:WORD_1
	v_cvt_f32_f16_e32 v20, v10
	;; [unrolled: 3-line block ×4, first 2 shown]
	v_pk_fma_f32 v[16:17], v[4:5], v[16:17], 0 op_sel_hi:[0,1,0]
	v_mov_b32_e32 v6, v5
	v_add_u32_e32 v18, v40, v2
	v_pk_fma_f32 v[16:17], v[6:7], v[20:21], v[16:17] op_sel_hi:[0,1,1]
	v_ashrrev_i32_e32 v19, 31, v18
	v_pk_fma_f32 v[16:17], v[8:9], v[22:23], v[16:17] op_sel_hi:[0,1,1]
	v_mov_b32_e32 v10, v9
	v_lshl_add_u64 v[18:19], v[18:19], 3, v[122:123]
	v_pk_fma_f32 v[16:17], v[10:11], v[24:25], v[16:17] op_sel_hi:[0,1,1]
	global_store_dwordx2 v[18:19], v[16:17], off
	v_cvt_f32_f16_sdwa v17, v7 dst_sel:DWORD dst_unused:UNUSED_PAD src0_sel:WORD_1
	v_cvt_f32_f16_e32 v16, v7
	v_cvt_f32_f16_sdwa v19, v11 dst_sel:DWORD dst_unused:UNUSED_PAD src0_sel:WORD_1
	v_cvt_f32_f16_e32 v18, v11
	;; [unrolled: 2-line block ×4, first 2 shown]
	v_pk_fma_f32 v[4:5], v[4:5], v[16:17], 0 op_sel_hi:[0,1,0]
	v_ashrrev_i32_e32 v3, 31, v2
	v_pk_fma_f32 v[4:5], v[6:7], v[18:19], v[4:5] op_sel_hi:[0,1,1]
	v_lshl_add_u64 v[2:3], v[40:41], 0, v[2:3]
	v_pk_fma_f32 v[4:5], v[8:9], v[20:21], v[4:5] op_sel_hi:[0,1,1]
	v_lshl_add_u64 v[2:3], v[2:3], 3, v[122:123]
	v_pk_fma_f32 v[4:5], v[10:11], v[12:13], v[4:5] op_sel_hi:[0,1,1]
	v_mov_b32_e32 v1, 0
	global_store_dwordx2 v[2:3], v[4:5], off offset:512
.LBB30_145:                             ;   in Loop: Header=BB30_12 Depth=1
	s_or_b64 exec, exec, s[8:9]
	v_cmp_gt_i32_e32 vcc, s95, v1
	s_mov_b64 s[8:9], -1
	s_and_saveexec_b64 s[12:13], vcc
; %bb.146:                              ;   in Loop: Header=BB30_12 Depth=1
	v_cmp_eq_u32_e32 vcc, 0, v1
	s_orn2_b64 s[8:9], vcc, exec
; %bb.147:                              ;   in Loop: Header=BB30_12 Depth=1
	s_or_b64 exec, exec, s[12:13]
	s_and_b64 exec, exec, s[8:9]
	s_cbranch_execz .LBB30_160
; %bb.148:                              ;   in Loop: Header=BB30_12 Depth=1
	v_accvgpr_read_b32 v1, a41
	v_add_u32_e32 v2, v1, v215
	v_accvgpr_read_b32 v1, a42
	v_or_b32_e32 v1, v1, v43
	v_cmp_gt_i32_e32 vcc, s36, v2
	v_cmp_gt_i32_e64 s[8:9], s74, v1
	s_and_b64 s[12:13], vcc, s[8:9]
	v_mov_b32_e32 v1, 0x47
	s_and_saveexec_b64 s[8:9], s[12:13]
	s_cbranch_execz .LBB30_150
; %bb.149:                              ;   in Loop: Header=BB30_12 Depth=1
	v_mul_lo_u32 v1, v2, s37
	v_accvgpr_read_b32 v2, a42
	v_add_lshl_u32 v2, v1, v2, 7
	v_accvgpr_read_b32 v1, a43
	v_accvgpr_read_b32 v3, a60
	ds_read2st64_b32 v[4:5], v1 offset0:2 offset1:35
	ds_read2st64_b32 v[6:7], v3 offset1:1
	ds_read2st64_b32 v[8:9], v1 offset0:68 offset1:101
	ds_read2st64_b32 v[10:11], v3 offset0:33 offset1:34
	;; [unrolled: 1-line block ×4, first 2 shown]
	s_waitcnt lgkmcnt(4)
	v_cvt_f32_f16_sdwa v17, v6 dst_sel:DWORD dst_unused:UNUSED_PAD src0_sel:WORD_1
	v_cvt_f32_f16_e32 v16, v6
	s_waitcnt lgkmcnt(2)
	v_cvt_f32_f16_sdwa v21, v10 dst_sel:DWORD dst_unused:UNUSED_PAD src0_sel:WORD_1
	v_cvt_f32_f16_e32 v20, v10
	;; [unrolled: 3-line block ×4, first 2 shown]
	v_pk_fma_f32 v[16:17], v[4:5], v[16:17], 0 op_sel_hi:[0,1,0]
	v_mov_b32_e32 v6, v5
	v_add_u32_e32 v18, v40, v2
	v_pk_fma_f32 v[16:17], v[6:7], v[20:21], v[16:17] op_sel_hi:[0,1,1]
	v_ashrrev_i32_e32 v19, 31, v18
	v_pk_fma_f32 v[16:17], v[8:9], v[22:23], v[16:17] op_sel_hi:[0,1,1]
	v_mov_b32_e32 v10, v9
	v_lshl_add_u64 v[18:19], v[18:19], 3, v[122:123]
	v_pk_fma_f32 v[16:17], v[10:11], v[24:25], v[16:17] op_sel_hi:[0,1,1]
	global_store_dwordx2 v[18:19], v[16:17], off
	v_cvt_f32_f16_sdwa v17, v7 dst_sel:DWORD dst_unused:UNUSED_PAD src0_sel:WORD_1
	v_cvt_f32_f16_e32 v16, v7
	v_cvt_f32_f16_sdwa v19, v11 dst_sel:DWORD dst_unused:UNUSED_PAD src0_sel:WORD_1
	v_cvt_f32_f16_e32 v18, v11
	;; [unrolled: 2-line block ×4, first 2 shown]
	v_pk_fma_f32 v[4:5], v[4:5], v[16:17], 0 op_sel_hi:[0,1,0]
	v_ashrrev_i32_e32 v3, 31, v2
	v_pk_fma_f32 v[4:5], v[6:7], v[18:19], v[4:5] op_sel_hi:[0,1,1]
	v_lshl_add_u64 v[2:3], v[40:41], 0, v[2:3]
	v_pk_fma_f32 v[4:5], v[8:9], v[20:21], v[4:5] op_sel_hi:[0,1,1]
	v_lshl_add_u64 v[2:3], v[2:3], 3, v[122:123]
	v_pk_fma_f32 v[4:5], v[10:11], v[12:13], v[4:5] op_sel_hi:[0,1,1]
	v_mov_b32_e32 v1, 0
	global_store_dwordx2 v[2:3], v[4:5], off offset:512
.LBB30_150:                             ;   in Loop: Header=BB30_12 Depth=1
	s_or_b64 exec, exec, s[8:9]
	v_cmp_gt_i32_e32 vcc, s95, v1
	s_mov_b64 s[8:9], -1
	s_and_saveexec_b64 s[12:13], vcc
; %bb.151:                              ;   in Loop: Header=BB30_12 Depth=1
	v_cmp_eq_u32_e32 vcc, 0, v1
	s_orn2_b64 s[8:9], vcc, exec
; %bb.152:                              ;   in Loop: Header=BB30_12 Depth=1
	s_or_b64 exec, exec, s[12:13]
	s_and_b64 exec, exec, s[8:9]
	s_cbranch_execz .LBB30_160
; %bb.153:                              ;   in Loop: Header=BB30_12 Depth=1
	v_accvgpr_read_b32 v1, a44
	v_add_u32_e32 v2, v1, v215
	v_accvgpr_read_b32 v1, a45
	v_or_b32_e32 v1, v1, v43
	v_cmp_gt_i32_e32 vcc, s36, v2
	v_cmp_gt_i32_e64 s[8:9], s74, v1
	s_and_b64 s[12:13], vcc, s[8:9]
	v_mov_b32_e32 v1, 0x47
	s_and_saveexec_b64 s[8:9], s[12:13]
	s_cbranch_execz .LBB30_155
; %bb.154:                              ;   in Loop: Header=BB30_12 Depth=1
	v_mul_lo_u32 v1, v2, s37
	v_accvgpr_read_b32 v2, a45
	v_add_lshl_u32 v2, v1, v2, 7
	v_accvgpr_read_b32 v1, a46
	v_accvgpr_read_b32 v3, a61
	ds_read2st64_b32 v[4:5], v1 offset0:2 offset1:35
	ds_read2st64_b32 v[6:7], v3 offset1:1
	ds_read2st64_b32 v[8:9], v1 offset0:68 offset1:101
	ds_read2st64_b32 v[10:11], v3 offset0:33 offset1:34
	;; [unrolled: 1-line block ×4, first 2 shown]
	s_waitcnt lgkmcnt(4)
	v_cvt_f32_f16_sdwa v17, v6 dst_sel:DWORD dst_unused:UNUSED_PAD src0_sel:WORD_1
	v_cvt_f32_f16_e32 v16, v6
	s_waitcnt lgkmcnt(2)
	v_cvt_f32_f16_sdwa v21, v10 dst_sel:DWORD dst_unused:UNUSED_PAD src0_sel:WORD_1
	v_cvt_f32_f16_e32 v20, v10
	s_waitcnt lgkmcnt(1)
	v_cvt_f32_f16_sdwa v23, v12 dst_sel:DWORD dst_unused:UNUSED_PAD src0_sel:WORD_1
	v_cvt_f32_f16_e32 v22, v12
	s_waitcnt lgkmcnt(0)
	v_cvt_f32_f16_sdwa v25, v14 dst_sel:DWORD dst_unused:UNUSED_PAD src0_sel:WORD_1
	v_cvt_f32_f16_e32 v24, v14
	v_pk_fma_f32 v[16:17], v[4:5], v[16:17], 0 op_sel_hi:[0,1,0]
	v_mov_b32_e32 v6, v5
	v_add_u32_e32 v18, v40, v2
	v_pk_fma_f32 v[16:17], v[6:7], v[20:21], v[16:17] op_sel_hi:[0,1,1]
	v_ashrrev_i32_e32 v19, 31, v18
	v_pk_fma_f32 v[16:17], v[8:9], v[22:23], v[16:17] op_sel_hi:[0,1,1]
	v_mov_b32_e32 v10, v9
	v_lshl_add_u64 v[18:19], v[18:19], 3, v[122:123]
	v_pk_fma_f32 v[16:17], v[10:11], v[24:25], v[16:17] op_sel_hi:[0,1,1]
	global_store_dwordx2 v[18:19], v[16:17], off
	v_cvt_f32_f16_sdwa v17, v7 dst_sel:DWORD dst_unused:UNUSED_PAD src0_sel:WORD_1
	v_cvt_f32_f16_e32 v16, v7
	v_cvt_f32_f16_sdwa v19, v11 dst_sel:DWORD dst_unused:UNUSED_PAD src0_sel:WORD_1
	v_cvt_f32_f16_e32 v18, v11
	;; [unrolled: 2-line block ×4, first 2 shown]
	v_pk_fma_f32 v[4:5], v[4:5], v[16:17], 0 op_sel_hi:[0,1,0]
	v_ashrrev_i32_e32 v3, 31, v2
	v_pk_fma_f32 v[4:5], v[6:7], v[18:19], v[4:5] op_sel_hi:[0,1,1]
	v_lshl_add_u64 v[2:3], v[40:41], 0, v[2:3]
	v_pk_fma_f32 v[4:5], v[8:9], v[20:21], v[4:5] op_sel_hi:[0,1,1]
	v_lshl_add_u64 v[2:3], v[2:3], 3, v[122:123]
	v_pk_fma_f32 v[4:5], v[10:11], v[12:13], v[4:5] op_sel_hi:[0,1,1]
	v_mov_b32_e32 v1, 0
	global_store_dwordx2 v[2:3], v[4:5], off offset:512
.LBB30_155:                             ;   in Loop: Header=BB30_12 Depth=1
	s_or_b64 exec, exec, s[8:9]
	v_cmp_gt_i32_e32 vcc, s95, v1
	s_mov_b64 s[8:9], -1
	s_and_saveexec_b64 s[12:13], vcc
; %bb.156:                              ;   in Loop: Header=BB30_12 Depth=1
	v_cmp_eq_u32_e32 vcc, 0, v1
	s_orn2_b64 s[8:9], vcc, exec
; %bb.157:                              ;   in Loop: Header=BB30_12 Depth=1
	s_or_b64 exec, exec, s[12:13]
	s_and_b64 exec, exec, s[8:9]
	s_cbranch_execz .LBB30_160
; %bb.158:                              ;   in Loop: Header=BB30_12 Depth=1
	v_accvgpr_read_b32 v1, a47
	v_accvgpr_read_b32 v2, a48
	v_add_u32_e32 v1, v1, v215
	v_or_b32_e32 v2, v2, v43
	v_cmp_gt_i32_e32 vcc, s36, v1
	v_cmp_gt_i32_e64 s[8:9], s74, v2
	s_and_b64 s[8:9], vcc, s[8:9]
	s_and_b64 exec, exec, s[8:9]
	s_cbranch_execz .LBB30_160
; %bb.159:                              ;   in Loop: Header=BB30_12 Depth=1
	v_mul_lo_u32 v1, v1, s37
	v_accvgpr_read_b32 v2, a48
	v_add_lshl_u32 v2, v1, v2, 7
	v_accvgpr_read_b32 v1, a49
	v_accvgpr_read_b32 v3, a62
	ds_read2st64_b32 v[4:5], v1 offset0:2 offset1:35
	ds_read2st64_b32 v[6:7], v3 offset1:1
	ds_read2st64_b32 v[8:9], v1 offset0:68 offset1:101
	ds_read2st64_b32 v[10:11], v3 offset0:33 offset1:34
	ds_read2st64_b32 v[12:13], v3 offset0:66 offset1:67
	ds_read2st64_b32 v[14:15], v3 offset0:99 offset1:100
	s_waitcnt lgkmcnt(4)
	v_cvt_f32_f16_sdwa v17, v6 dst_sel:DWORD dst_unused:UNUSED_PAD src0_sel:WORD_1
	v_cvt_f32_f16_e32 v16, v6
	s_waitcnt lgkmcnt(2)
	v_cvt_f32_f16_sdwa v21, v10 dst_sel:DWORD dst_unused:UNUSED_PAD src0_sel:WORD_1
	v_cvt_f32_f16_e32 v20, v10
	;; [unrolled: 3-line block ×4, first 2 shown]
	v_pk_fma_f32 v[16:17], v[4:5], v[16:17], 0 op_sel_hi:[0,1,0]
	v_mov_b32_e32 v6, v5
	v_add_u32_e32 v18, v40, v2
	v_pk_fma_f32 v[16:17], v[6:7], v[20:21], v[16:17] op_sel_hi:[0,1,1]
	v_ashrrev_i32_e32 v19, 31, v18
	v_pk_fma_f32 v[16:17], v[8:9], v[22:23], v[16:17] op_sel_hi:[0,1,1]
	v_mov_b32_e32 v10, v9
	v_lshl_add_u64 v[18:19], v[18:19], 3, v[122:123]
	v_pk_fma_f32 v[16:17], v[10:11], v[24:25], v[16:17] op_sel_hi:[0,1,1]
	global_store_dwordx2 v[18:19], v[16:17], off
	v_cvt_f32_f16_sdwa v17, v7 dst_sel:DWORD dst_unused:UNUSED_PAD src0_sel:WORD_1
	v_cvt_f32_f16_e32 v16, v7
	v_cvt_f32_f16_sdwa v19, v11 dst_sel:DWORD dst_unused:UNUSED_PAD src0_sel:WORD_1
	v_cvt_f32_f16_e32 v18, v11
	;; [unrolled: 2-line block ×4, first 2 shown]
	v_pk_fma_f32 v[4:5], v[4:5], v[16:17], 0 op_sel_hi:[0,1,0]
	v_ashrrev_i32_e32 v3, 31, v2
	v_pk_fma_f32 v[4:5], v[6:7], v[18:19], v[4:5] op_sel_hi:[0,1,1]
	v_lshl_add_u64 v[2:3], v[40:41], 0, v[2:3]
	v_pk_fma_f32 v[4:5], v[8:9], v[20:21], v[4:5] op_sel_hi:[0,1,1]
	v_lshl_add_u64 v[2:3], v[2:3], 3, v[122:123]
	v_pk_fma_f32 v[4:5], v[10:11], v[12:13], v[4:5] op_sel_hi:[0,1,1]
	global_store_dwordx2 v[2:3], v[4:5], off offset:512
.LBB30_160:                             ;   in Loop: Header=BB30_12 Depth=1
	s_or_b64 exec, exec, s[70:71]
	s_barrier
	s_branch .LBB30_11
.LBB30_161:                             ;   in Loop: Header=BB30_12 Depth=1
	v_cmp_le_i32_e64 s[8:9], s36, v147
	v_cmp_le_i32_e64 s[12:13], s74, v148
	v_cmp_gt_i32_e32 vcc, s74, v148
	s_or_b64 s[8:9], s[8:9], s[12:13]
	s_and_saveexec_b64 s[12:13], s[8:9]
	s_xor_b64 s[8:9], exec, s[12:13]
; %bb.162:                              ;   in Loop: Header=BB30_12 Depth=1
	v_add_u32_e32 v1, v229, v254
	ds_write2st64_b32 v1, v45, v45 offset1:1
                                        ; implicit-def: $vgpr147
; %bb.163:                              ;   in Loop: Header=BB30_12 Depth=1
	s_andn2_saveexec_b64 s[8:9], s[8:9]
	s_cbranch_execz .LBB30_165
; %bb.164:                              ;   in Loop: Header=BB30_12 Depth=1
	v_mad_u64_u32 v[2:3], s[12:13], v147, s55, v[80:81]
	v_ashrrev_i32_e32 v3, 31, v2
	v_lshl_add_u64 v[2:3], v[2:3], 3, v[142:143]
	global_load_dwordx2 v[4:5], v[2:3], off
	s_nop 0
	global_load_dwordx2 v[2:3], v[2:3], off offset:512
	s_waitcnt vmcnt(1)
	v_cvt_pk_f16_f32 v1, v4, v5
	s_waitcnt vmcnt(0)
	v_cvt_pk_f16_f32 v2, v2, v3
	v_pk_mul_f16 v1, v1, v246
	v_pk_mul_f16 v2, v2, v246
	ds_write2st64_b32 v255, v1, v2 offset1:1
.LBB30_165:                             ;   in Loop: Header=BB30_12 Depth=1
	s_or_b64 exec, exec, s[8:9]
	v_add_u32_e32 v1, v226, v215
	v_cmp_le_i32_e64 s[8:9], s36, v1
	s_xor_b64 s[12:13], vcc, -1
	s_or_b64 s[8:9], s[8:9], s[12:13]
	s_and_saveexec_b64 s[70:71], s[8:9]
	s_xor_b64 s[8:9], exec, s[70:71]
; %bb.166:                              ;   in Loop: Header=BB30_12 Depth=1
	v_add_u32_e32 v1, v229, v254
	v_add_u32_e32 v1, 64, v1
	ds_write2st64_b32 v1, v45, v45 offset0:8 offset1:9
                                        ; implicit-def: $vgpr1
; %bb.167:                              ;   in Loop: Header=BB30_12 Depth=1
	s_andn2_saveexec_b64 s[8:9], s[8:9]
	s_cbranch_execz .LBB30_169
; %bb.168:                              ;   in Loop: Header=BB30_12 Depth=1
	v_mad_u64_u32 v[2:3], s[70:71], v1, s55, v[80:81]
	v_ashrrev_i32_e32 v3, 31, v2
	v_lshl_add_u64 v[2:3], v[2:3], 3, v[142:143]
	global_load_dwordx2 v[4:5], v[2:3], off
	s_nop 0
	global_load_dwordx2 v[2:3], v[2:3], off offset:512
	s_waitcnt vmcnt(1)
	v_cvt_pk_f16_f32 v1, v4, v5
	s_waitcnt vmcnt(0)
	v_cvt_pk_f16_f32 v2, v2, v3
	v_pk_mul_f16 v1, v1, v246
	v_pk_mul_f16 v2, v2, v246
	ds_write2st64_b32 v227, v1, v2 offset1:1
.LBB30_169:                             ;   in Loop: Header=BB30_12 Depth=1
	s_or_b64 exec, exec, s[8:9]
	v_add_u32_e32 v1, v223, v215
	v_cmp_le_i32_e32 vcc, s36, v1
	s_or_b64 s[8:9], vcc, s[12:13]
	s_and_saveexec_b64 s[70:71], s[8:9]
	s_xor_b64 s[8:9], exec, s[70:71]
; %bb.170:                              ;   in Loop: Header=BB30_12 Depth=1
	v_add_u32_e32 v1, v229, v254
	v_add_u32_e32 v1, 0x80, v1
	ds_write2st64_b32 v1, v45, v45 offset0:16 offset1:17
                                        ; implicit-def: $vgpr1
; %bb.171:                              ;   in Loop: Header=BB30_12 Depth=1
	s_andn2_saveexec_b64 s[8:9], s[8:9]
	s_cbranch_execz .LBB30_173
; %bb.172:                              ;   in Loop: Header=BB30_12 Depth=1
	v_mad_u64_u32 v[2:3], s[70:71], v1, s55, v[80:81]
	v_ashrrev_i32_e32 v3, 31, v2
	v_lshl_add_u64 v[2:3], v[2:3], 3, v[142:143]
	global_load_dwordx2 v[4:5], v[2:3], off
	s_nop 0
	global_load_dwordx2 v[2:3], v[2:3], off offset:512
	s_waitcnt vmcnt(1)
	v_cvt_pk_f16_f32 v1, v4, v5
	s_waitcnt vmcnt(0)
	v_cvt_pk_f16_f32 v2, v2, v3
	v_pk_mul_f16 v1, v1, v246
	v_pk_mul_f16 v2, v2, v246
	ds_write2st64_b32 v224, v1, v2 offset1:1
.LBB30_173:                             ;   in Loop: Header=BB30_12 Depth=1
	s_or_b64 exec, exec, s[8:9]
	v_add_u32_e32 v1, v220, v215
	v_cmp_le_i32_e32 vcc, s36, v1
	s_or_b64 s[8:9], vcc, s[12:13]
	s_and_saveexec_b64 s[12:13], s[8:9]
	s_xor_b64 s[8:9], exec, s[12:13]
; %bb.174:                              ;   in Loop: Header=BB30_12 Depth=1
	v_add_u32_e32 v1, v229, v254
	v_add_u32_e32 v1, 0xc0, v1
	ds_write2st64_b32 v1, v45, v45 offset0:24 offset1:25
                                        ; implicit-def: $vgpr1
                                        ; implicit-def: $vgpr142_vgpr143
; %bb.175:                              ;   in Loop: Header=BB30_12 Depth=1
	s_andn2_saveexec_b64 s[8:9], s[8:9]
	s_cbranch_execz .LBB30_177
; %bb.176:                              ;   in Loop: Header=BB30_12 Depth=1
	v_mad_u64_u32 v[2:3], s[12:13], v1, s55, v[80:81]
	v_ashrrev_i32_e32 v3, 31, v2
	v_lshl_add_u64 v[2:3], v[2:3], 3, v[142:143]
	global_load_dwordx2 v[4:5], v[2:3], off
	s_nop 0
	global_load_dwordx2 v[2:3], v[2:3], off offset:512
	s_waitcnt vmcnt(1)
	v_cvt_pk_f16_f32 v1, v4, v5
	s_waitcnt vmcnt(0)
	v_cvt_pk_f16_f32 v2, v2, v3
	v_pk_mul_f16 v1, v1, v246
	v_pk_mul_f16 v2, v2, v246
	ds_write2st64_b32 v245, v1, v2 offset1:1
.LBB30_177:                             ;   in Loop: Header=BB30_12 Depth=1
	s_or_b64 exec, exec, s[8:9]
	s_waitcnt lgkmcnt(0)
	s_barrier
	ds_read2_b64 v[30:33], v171 offset1:4
	ds_read2_b64 v[26:29], v171 offset0:8 offset1:12
	ds_read2_b64 v[22:25], v171 offset0:16 offset1:20
	;; [unrolled: 1-line block ×7, first 2 shown]
	v_cmp_gt_i32_e32 vcc, 2, v146
	s_waitcnt lgkmcnt(0)
	s_barrier
	s_cbranch_vccnz .LBB30_198
; %bb.178:                              ;   in Loop: Header=BB30_12 Depth=1
	v_add_u32_e32 v1, v215, v172
	v_mul_hi_u32 v34, s34, v1
	v_add_u32_e32 v34, v1, v34
	v_lshrrev_b32_e32 v34, s35, v34
	v_mul_lo_u32 v34, v34, s36
	v_sub_u32_e32 v1, v1, v34
	v_and_b32_e32 v34, 64, v81
	v_add_u32_e32 v34, 64, v34
	v_xor_b32_e32 v35, 32, v81
	v_cmp_lt_i32_e32 vcc, v35, v34
	v_accvgpr_read_b32 v36, a66
	v_accvgpr_read_b32 v37, a67
	v_cndmask_b32_e32 v35, v81, v35, vcc
	v_lshlrev_b32_e32 v242, 2, v35
	v_xor_b32_e32 v35, 16, v81
	v_cmp_lt_i32_e32 vcc, v35, v34
	v_add_u32_e32 v212, -1, v146
	v_mov_b32_e32 v213, 0
	v_cndmask_b32_e32 v34, v81, v35, vcc
	v_lshlrev_b32_e32 v216, 2, v34
	v_mad_i64_i32 v[34:35], s[8:9], s62, v1, v[136:137]
	v_lshl_add_u64 v[136:137], v[36:37], 0, v[34:35]
	v_accvgpr_read_b32 v36, a68
	v_lshl_add_u64 v[34:35], v[138:139], 0, v[140:141]
	v_accvgpr_read_b32 v37, a69
	;; [unrolled: 2-line block ×3, first 2 shown]
	v_accvgpr_read_b32 v37, a71
	v_lshl_add_u64 v[140:141], v[36:37], 0, v[34:35]
	v_accvgpr_read_b32 v36, a72
	v_accvgpr_read_b32 v37, a73
	v_lshl_add_u64 v[142:143], v[36:37], 0, v[34:35]
	v_accvgpr_read_b32 v36, a74
	;; [unrolled: 3-line block ×7, first 2 shown]
	v_lshl_add_u64 v[34:35], v[132:133], 0, v[134:135]
	v_accvgpr_read_b32 v37, a85
	v_lshl_add_u64 v[132:133], v[36:37], 0, v[34:35]
	v_lshl_add_u64 v[134:135], v[108:109], 0, v[34:35]
	;; [unrolled: 1-line block ×8, first 2 shown]
	v_mov_b32_e32 v87, 0xfeffffff
	v_mov_b32_e32 v86, 0
	;; [unrolled: 1-line block ×34, first 2 shown]
	s_and_saveexec_b64 s[8:9], s[4:5]
	s_cbranch_execz .LBB30_180
.LBB30_179:                             ;   in Loop: Header=BB30_12 Depth=1
	global_load_dword v34, v[136:137], off
	s_waitcnt vmcnt(0)
	ds_write_b32 v182, v34 offset:33792
.LBB30_180:                             ;   Parent Loop BB30_12 Depth=1
                                        ; =>  This Inner Loop Header: Depth=2
	s_or_b64 exec, exec, s[8:9]
	v_lshl_add_u64 v[34:35], v[132:133], 0, v[82:83]
	global_load_dwordx4 v[34:37], v[34:35], off
	v_lshl_add_u64 v[88:89], v[134:135], 0, v[82:83]
	v_lshl_add_u64 v[90:91], v[154:155], 0, v[82:83]
	;; [unrolled: 1-line block ×7, first 2 shown]
	s_waitcnt vmcnt(0)
	ds_write_b128 v173, v[34:37]
	global_load_dwordx4 v[34:37], v[88:89], off
                                        ; implicit-def: $vgpr89
	s_waitcnt vmcnt(0)
	ds_write_b128 v247, v[34:37]
	global_load_dwordx4 v[34:37], v[90:91], off
	s_waitcnt vmcnt(0)
	ds_write_b128 v248, v[34:37]
	global_load_dwordx4 v[34:37], v[92:93], off
	;; [unrolled: 3-line block ×6, first 2 shown]
	s_waitcnt vmcnt(0)
	ds_write_b128 v253, v[34:37]
	s_waitcnt lgkmcnt(0)
	s_barrier
	ds_read2_b64 v[34:37], v174 offset1:4
	s_waitcnt lgkmcnt(0)
	v_mfma_f32_16x16x16_f16 a[0:3], v[34:35], v[30:31], 0
	v_mfma_f32_16x16x16_f16 a[0:3], v[36:37], v[32:33], a[0:3]
	ds_read2_b64 v[34:37], v174 offset0:8 offset1:12
	s_waitcnt lgkmcnt(0)
	v_mfma_f32_16x16x16_f16 a[0:3], v[34:35], v[26:27], a[0:3]
	v_mfma_f32_16x16x16_f16 a[0:3], v[36:37], v[28:29], a[0:3]
	ds_read2_b64 v[34:37], v174 offset0:16 offset1:20
	;; [unrolled: 4-line block ×7, first 2 shown]
	s_waitcnt lgkmcnt(0)
	s_barrier
	v_mfma_f32_16x16x16_f16 a[0:3], v[34:35], v[2:3], a[0:3]
	v_mfma_f32_16x16x16_f16 a[0:3], v[36:37], v[4:5], a[0:3]
	s_nop 7
	v_accvgpr_read_b32 v88, a0
	v_cmp_nlt_f32_e64 s[8:9], |v88|, s45
	s_and_saveexec_b64 s[12:13], s[8:9]
	s_xor_b64 s[8:9], exec, s[12:13]
	s_cbranch_execz .LBB30_182
; %bb.181:                              ;   in Loop: Header=BB30_180 Depth=2
	v_add_f32_e64 v34, |v88|, |v88|
	v_mul_f32_e32 v35, 0x3fb8aa3b, v34
	v_rndne_f32_e32 v36, v35
	v_sub_f32_e32 v37, v35, v36
	v_fma_f32 v35, v34, s63, -v35
	v_fmac_f32_e32 v35, 0x32a5705f, v34
	v_add_f32_e32 v35, v37, v35
	v_cvt_i32_f32_e32 v36, v36
	v_exp_f32_e32 v35, v35
	v_cmp_ngt_f32_e32 vcc, s90, v34
	v_ldexp_f32 v35, v35, v36
	s_nop 0
	v_cndmask_b32_e32 v35, 0, v35, vcc
	v_cmp_nlt_f32_e32 vcc, s91, v34
	s_nop 1
	v_cndmask_b32_e32 v34, v243, v35, vcc
	v_add_f32_e32 v34, 1.0, v34
	v_rcp_f32_e32 v34, v34
	s_nop 0
	v_fma_f32 v89, v34, -2.0, 1.0
.LBB30_182:                             ;   in Loop: Header=BB30_180 Depth=2
	s_andn2_saveexec_b64 s[8:9], s[8:9]
; %bb.183:                              ;   in Loop: Header=BB30_180 Depth=2
	v_mul_f32_e32 v34, v88, v88
	v_fmamk_f32 v35, v34, 0xbbbac73d, v218
	v_fmaak_f32 v35, v34, v35, 0xbd5c1c4e
	v_fmaak_f32 v35, v34, v35, 0x3e088382
	;; [unrolled: 1-line block ×3, first 2 shown]
	v_mul_f32_e64 v35, |v88|, v35
	v_fma_f32 v89, v34, v35, |v88|
; %bb.184:                              ;   in Loop: Header=BB30_180 Depth=2
	s_or_b64 exec, exec, s[8:9]
	v_accvgpr_read_b32 v37, a3
	v_accvgpr_read_b32 v35, a1
	;; [unrolled: 1-line block ×4, first 2 shown]
	v_cmp_nlt_f32_e64 s[8:9], |v35|, s45
                                        ; implicit-def: $vgpr34
	s_and_saveexec_b64 s[12:13], s[8:9]
	s_xor_b64 s[8:9], exec, s[12:13]
	s_cbranch_execz .LBB30_186
; %bb.185:                              ;   in Loop: Header=BB30_180 Depth=2
	v_add_f32_e64 v34, |v35|, |v35|
	v_mul_f32_e32 v90, 0x3fb8aa3b, v34
	v_rndne_f32_e32 v91, v90
	v_sub_f32_e32 v92, v90, v91
	v_fma_f32 v90, v34, s63, -v90
	v_fmac_f32_e32 v90, 0x32a5705f, v34
	v_add_f32_e32 v90, v92, v90
	v_cvt_i32_f32_e32 v91, v91
	v_exp_f32_e32 v90, v90
	v_cmp_ngt_f32_e32 vcc, s90, v34
	v_ldexp_f32 v90, v90, v91
	s_nop 0
	v_cndmask_b32_e32 v90, 0, v90, vcc
	v_cmp_nlt_f32_e32 vcc, s91, v34
	s_nop 1
	v_cndmask_b32_e32 v34, v243, v90, vcc
	v_add_f32_e32 v34, 1.0, v34
	v_rcp_f32_e32 v34, v34
	s_nop 0
	v_fma_f32 v34, v34, -2.0, 1.0
.LBB30_186:                             ;   in Loop: Header=BB30_180 Depth=2
	s_andn2_saveexec_b64 s[8:9], s[8:9]
; %bb.187:                              ;   in Loop: Header=BB30_180 Depth=2
	v_mul_f32_e32 v34, v35, v35
	v_fmamk_f32 v90, v34, 0xbbbac73d, v218
	v_fmaak_f32 v90, v34, v90, 0xbd5c1c4e
	v_fmaak_f32 v90, v34, v90, 0x3e088382
	;; [unrolled: 1-line block ×3, first 2 shown]
	v_mul_f32_e64 v90, |v35|, v90
	v_fma_f32 v34, v34, v90, |v35|
; %bb.188:                              ;   in Loop: Header=BB30_180 Depth=2
	s_or_b64 exec, exec, s[8:9]
	v_cmp_nlt_f32_e64 s[8:9], |v36|, s45
                                        ; implicit-def: $vgpr90
	s_and_saveexec_b64 s[12:13], s[8:9]
	s_xor_b64 s[8:9], exec, s[12:13]
	s_cbranch_execz .LBB30_190
; %bb.189:                              ;   in Loop: Header=BB30_180 Depth=2
	v_add_f32_e64 v90, |v36|, |v36|
	v_mul_f32_e32 v91, 0x3fb8aa3b, v90
	v_rndne_f32_e32 v92, v91
	v_sub_f32_e32 v93, v91, v92
	v_fma_f32 v91, v90, s63, -v91
	v_fmac_f32_e32 v91, 0x32a5705f, v90
	v_add_f32_e32 v91, v93, v91
	v_cvt_i32_f32_e32 v92, v92
	v_exp_f32_e32 v91, v91
	v_cmp_ngt_f32_e32 vcc, s90, v90
	v_ldexp_f32 v91, v91, v92
	s_nop 0
	v_cndmask_b32_e32 v91, 0, v91, vcc
	v_cmp_nlt_f32_e32 vcc, s91, v90
	s_nop 1
	v_cndmask_b32_e32 v90, v243, v91, vcc
	v_add_f32_e32 v90, 1.0, v90
	v_rcp_f32_e32 v90, v90
	s_nop 0
	v_fma_f32 v90, v90, -2.0, 1.0
.LBB30_190:                             ;   in Loop: Header=BB30_180 Depth=2
	s_andn2_saveexec_b64 s[8:9], s[8:9]
; %bb.191:                              ;   in Loop: Header=BB30_180 Depth=2
	v_mul_f32_e32 v90, v36, v36
	v_fmamk_f32 v91, v90, 0xbbbac73d, v218
	v_fmaak_f32 v91, v90, v91, 0xbd5c1c4e
	v_fmaak_f32 v91, v90, v91, 0x3e088382
	;; [unrolled: 1-line block ×3, first 2 shown]
	v_mul_f32_e64 v91, |v36|, v91
	v_fma_f32 v90, v90, v91, |v36|
; %bb.192:                              ;   in Loop: Header=BB30_180 Depth=2
	s_or_b64 exec, exec, s[8:9]
	v_cmp_nlt_f32_e64 s[8:9], |v37|, s45
                                        ; implicit-def: $vgpr91
	s_and_saveexec_b64 s[12:13], s[8:9]
	s_xor_b64 s[8:9], exec, s[12:13]
	s_cbranch_execz .LBB30_194
; %bb.193:                              ;   in Loop: Header=BB30_180 Depth=2
	v_add_f32_e64 v91, |v37|, |v37|
	v_mul_f32_e32 v92, 0x3fb8aa3b, v91
	v_rndne_f32_e32 v93, v92
	v_sub_f32_e32 v94, v92, v93
	v_fma_f32 v92, v91, s63, -v92
	v_fmac_f32_e32 v92, 0x32a5705f, v91
	v_add_f32_e32 v92, v94, v92
	v_cvt_i32_f32_e32 v93, v93
	v_exp_f32_e32 v92, v92
	v_cmp_ngt_f32_e32 vcc, s90, v91
	v_ldexp_f32 v92, v92, v93
	s_nop 0
	v_cndmask_b32_e32 v92, 0, v92, vcc
	v_cmp_nlt_f32_e32 vcc, s91, v91
	s_nop 1
	v_cndmask_b32_e32 v91, v243, v92, vcc
	v_add_f32_e32 v91, 1.0, v91
	v_rcp_f32_e32 v91, v91
	s_nop 0
	v_fma_f32 v91, v91, -2.0, 1.0
.LBB30_194:                             ;   in Loop: Header=BB30_180 Depth=2
	s_andn2_saveexec_b64 s[8:9], s[8:9]
; %bb.195:                              ;   in Loop: Header=BB30_180 Depth=2
	v_mul_f32_e32 v91, v37, v37
	v_fmamk_f32 v92, v91, 0xbbbac73d, v218
	v_fmaak_f32 v92, v91, v92, 0xbd5c1c4e
	v_fmaak_f32 v92, v91, v92, 0x3e088382
	;; [unrolled: 1-line block ×3, first 2 shown]
	v_mul_f32_e64 v92, |v37|, v92
	v_fma_f32 v91, v91, v92, |v37|
; %bb.196:                              ;   in Loop: Header=BB30_180 Depth=2
	s_or_b64 exec, exec, s[8:9]
	v_bfi_b32 v88, s92, v89, v88
	v_bfi_b32 v89, s92, v34, v35
	v_add_u32_e32 v34, 0x8400, v175
	ds_read2_b32 v[34:35], v34 offset1:1
	v_bfi_b32 v36, s92, v90, v36
	v_bfi_b32 v37, s92, v91, v37
	v_lshl_add_u64 v[98:99], v[140:141], 0, v[82:83]
	v_lshl_add_u64 v[236:237], v[144:145], 0, v[82:83]
	s_waitcnt lgkmcnt(0)
	v_fma_mix_f32 v88, s3, v88, v34 op_sel_hi:[0,0,1]
	v_fma_mix_f32 v89, s3, v89, v34 op_sel:[0,0,1] op_sel_hi:[0,0,1]
	v_fma_mix_f32 v90, s3, v36, v35 op_sel_hi:[0,0,1]
	v_fma_mix_f32 v37, s3, v37, v35 op_sel:[0,0,1] op_sel_hi:[0,0,1]
	v_add_f32_e32 v34, 0x40051340, v88
	v_add_f32_e32 v35, 0x40051340, v89
	v_max3_f32 v34, v87, v34, v35
	v_add_f32_e32 v35, 0x40051340, v90
	v_add_f32_e32 v36, 0x40051340, v37
	v_max3_f32 v34, v34, v35, v36
	ds_bpermute_b32 v35, v242, v34
	v_lshl_add_u64 v[100:101], v[146:147], 0, v[82:83]
	v_lshl_add_u64 v[102:103], v[148:149], 0, v[82:83]
	;; [unrolled: 1-line block ×4, first 2 shown]
	s_waitcnt lgkmcnt(0)
	v_max_f32_e32 v35, v35, v35
	v_max_f32_e32 v34, v34, v35
	ds_bpermute_b32 v35, v216, v34
	v_add_u32_e32 v44, -1, v44
	v_lshl_add_u64 v[136:137], v[136:137], 0, s[68:69]
	v_lshl_add_u64 v[140:141], v[140:141], 0, s[64:65]
	;; [unrolled: 1-line block ×3, first 2 shown]
	s_waitcnt lgkmcnt(0)
	v_max_f32_e32 v35, v35, v35
	v_max_f32_e32 v36, v34, v35
	v_sub_f32_e32 v34, v88, v36
	v_mul_f32_e32 v35, 0x3fb8aa3b, v34
	v_fma_f32 v88, v34, s63, -v35
	v_rndne_f32_e32 v91, v35
	v_fmac_f32_e32 v88, 0x32a5705f, v34
	v_sub_f32_e32 v35, v35, v91
	v_add_f32_e32 v35, v35, v88
	v_exp_f32_e32 v35, v35
	v_cvt_i32_f32_e32 v88, v91
	v_cmp_ngt_f32_e32 vcc, s90, v34
	v_sub_f32_e32 v37, v37, v36
	v_sub_f32_e32 v87, v87, v36
	v_ldexp_f32 v35, v35, v88
	v_cndmask_b32_e32 v35, 0, v35, vcc
	v_cmp_nlt_f32_e32 vcc, s91, v34
	v_lshl_add_u64 v[146:147], v[146:147], 0, s[64:65]
	v_lshl_add_u64 v[148:149], v[148:149], 0, s[64:65]
	v_cndmask_b32_e32 v34, v243, v35, vcc
	v_sub_f32_e32 v35, v89, v36
	v_mul_f32_e32 v88, 0x3fb8aa3b, v35
	v_fma_f32 v89, v35, s63, -v88
	v_rndne_f32_e32 v91, v88
	v_fmac_f32_e32 v89, 0x32a5705f, v35
	v_sub_f32_e32 v88, v88, v91
	v_add_f32_e32 v88, v88, v89
	v_exp_f32_e32 v88, v88
	v_cvt_i32_f32_e32 v89, v91
	v_cmp_ngt_f32_e32 vcc, s90, v35
	v_lshl_add_u64 v[150:151], v[150:151], 0, s[64:65]
	v_lshl_add_u64 v[152:153], v[152:153], 0, s[64:65]
	v_ldexp_f32 v88, v88, v89
	v_cndmask_b32_e32 v88, 0, v88, vcc
	v_cmp_nlt_f32_e32 vcc, s91, v35
	v_sub_f32_e32 v35, v90, v36
	v_mul_f32_e32 v89, 0x3fb8aa3b, v35
	v_fma_f32 v90, v35, s63, -v89
	v_rndne_f32_e32 v91, v89
	v_fmac_f32_e32 v90, 0x32a5705f, v35
	v_sub_f32_e32 v89, v89, v91
	v_add_f32_e32 v89, v89, v90
	v_exp_f32_e32 v89, v89
	v_cvt_i32_f32_e32 v90, v91
	v_cndmask_b32_e32 v94, v243, v88, vcc
	v_cmp_ngt_f32_e32 vcc, s90, v35
	v_add_f32_e32 v88, v34, v94
	v_ldexp_f32 v89, v89, v90
	v_cndmask_b32_e32 v89, 0, v89, vcc
	v_cmp_nlt_f32_e32 vcc, s91, v35
	v_cvt_pk_f16_f32 v34, v34, v94
	v_lshl_add_u64 v[132:133], v[132:133], 0, s[66:67]
	v_cndmask_b32_e32 v35, v243, v89, vcc
	v_mul_f32_e32 v89, 0x3fb8aa3b, v37
	v_fma_f32 v90, v37, s63, -v89
	v_rndne_f32_e32 v91, v89
	v_fmac_f32_e32 v90, 0x32a5705f, v37
	v_sub_f32_e32 v89, v89, v91
	v_add_f32_e32 v89, v89, v90
	v_exp_f32_e32 v89, v89
	v_cvt_i32_f32_e32 v90, v91
	v_cmp_ngt_f32_e32 vcc, s90, v37
	v_add_f32_e32 v88, v35, v88
	v_lshl_add_u64 v[134:135], v[134:135], 0, s[66:67]
	v_ldexp_f32 v89, v89, v90
	v_cndmask_b32_e32 v89, 0, v89, vcc
	v_cmp_nlt_f32_e32 vcc, s91, v37
	v_lshl_add_u64 v[154:155], v[154:155], 0, s[66:67]
	v_lshl_add_u64 v[156:157], v[156:157], 0, s[66:67]
	v_cndmask_b32_e32 v95, v243, v89, vcc
	v_add_f32_e32 v37, v95, v88
	v_mul_f32_e32 v88, 0x3fb8aa3b, v87
	v_fma_f32 v89, v87, s63, -v88
	v_rndne_f32_e32 v90, v88
	v_fmac_f32_e32 v89, 0x32a5705f, v87
	v_sub_f32_e32 v88, v88, v90
	v_add_f32_e32 v88, v88, v89
	v_exp_f32_e32 v88, v88
	v_cvt_i32_f32_e32 v89, v90
	v_cmp_ngt_f32_e32 vcc, s90, v87
	v_cvt_pk_f16_f32 v35, v35, v95
	v_lshl_add_u64 v[158:159], v[158:159], 0, s[66:67]
	v_ldexp_f32 v88, v88, v89
	v_cndmask_b32_e32 v88, 0, v88, vcc
	v_cmp_nlt_f32_e32 vcc, s91, v87
	v_lshl_add_u64 v[160:161], v[160:161], 0, s[66:67]
	v_lshl_add_u64 v[162:163], v[162:163], 0, s[66:67]
	v_cndmask_b32_e32 v88, v243, v88, vcc
	v_cmp_le_f32_e32 vcc, s93, v87
	v_lshl_add_u64 v[164:165], v[164:165], 0, s[66:67]
	s_nop 0
	v_cndmask_b32_e32 v87, 0, v88, vcc
	v_fmac_f32_e32 v37, v86, v87
	v_cvt_f16_f32_e32 v86, v87
	v_cmp_ne_u32_e32 vcc, 0, v44
	s_and_b64 vcc, exec, vcc
	v_mul_u32_u24_e32 v96, 0x10001, v86
	v_pk_mul_f16 v190, v190, v96
	v_pk_mul_f16 v170, v201, v96
	;; [unrolled: 1-line block ×32, first 2 shown]
	v_lshl_add_u64 v[96:97], v[138:139], 0, v[82:83]
	global_load_dwordx4 v[192:195], v[96:97], off
	v_lshl_add_u64 v[200:201], v[142:143], 0, v[82:83]
	v_lshl_add_u64 v[138:139], v[138:139], 0, s[64:65]
	;; [unrolled: 1-line block ×3, first 2 shown]
	s_waitcnt vmcnt(0)
	ds_write_b128 v173, v[192:195]
	global_load_dwordx4 v[192:195], v[98:99], off
	v_cvt_f32_f16_sdwa v99, v190 dst_sel:DWORD dst_unused:UNUSED_PAD src0_sel:WORD_1
	v_accvgpr_write_b32 a1, v99
	v_cvt_f32_f16_sdwa v99, v222 dst_sel:DWORD dst_unused:UNUSED_PAD src0_sel:WORD_1
	s_waitcnt vmcnt(0)
	ds_write_b128 v247, v[192:195]
	global_load_dwordx4 v[192:195], v[200:201], off
	s_waitcnt vmcnt(0)
	ds_write_b128 v248, v[192:195]
	global_load_dwordx4 v[192:195], v[236:237], off
	;; [unrolled: 3-line block ×3, first 2 shown]
	v_cvt_f32_f16_e32 v100, v170
	v_cvt_f32_f16_sdwa v101, v170 dst_sel:DWORD dst_unused:UNUSED_PAD src0_sel:WORD_1
	v_accvgpr_write_b32 a2, v100
	v_accvgpr_write_b32 a3, v101
	v_cvt_f32_f16_sdwa v100, v202 dst_sel:DWORD dst_unused:UNUSED_PAD src0_sel:WORD_1
	v_cvt_f32_f16_e32 v101, v239
	s_waitcnt vmcnt(0)
	ds_write_b128 v250, v[192:195]
	global_load_dwordx4 v[192:195], v[102:103], off
	v_cvt_f32_f16_sdwa v102, v239 dst_sel:DWORD dst_unused:UNUSED_PAD src0_sel:WORD_1
	s_waitcnt vmcnt(0)
	ds_write_b128 v251, v[192:195]
	global_load_dwordx4 v[192:195], v[104:105], off
	v_cvt_f32_f16_e32 v105, v210
	s_waitcnt vmcnt(0)
	ds_write_b128 v252, v[192:195]
	global_load_dwordx4 v[192:195], v[106:107], off
	v_cvt_f32_f16_sdwa v106, v210 dst_sel:DWORD dst_unused:UNUSED_PAD src0_sel:WORD_1
	s_waitcnt vmcnt(0)
	ds_write_b128 v253, v[192:195]
	s_waitcnt lgkmcnt(0)
	s_barrier
	ds_read_u16 v94, v176 offset:528
	ds_read_u16 v95, v176 offset:1056
	ds_read_u16 v96, v177
	ds_read_u16 v97, v177 offset:32
	s_waitcnt lgkmcnt(1)
	v_perm_b32 v95, v96, v95, s94
	ds_read_u16 v96, v176
	ds_read_u16 v98, v176 offset:32
	s_waitcnt lgkmcnt(1)
	v_perm_b32 v94, v94, v96, s94
	v_cvt_f32_f16_e32 v96, v190
	v_accvgpr_write_b32 a0, v96
	s_nop 1
	v_mfma_f32_16x16x16_f16 a[0:3], v[94:95], v[34:35], a[0:3]
	ds_read_u16 v94, v176 offset:560
	ds_read_u16 v95, v176 offset:1088
	v_cvt_f32_f16_e32 v96, v93
	v_cvt_f32_f16_sdwa v93, v93 dst_sel:DWORD dst_unused:UNUSED_PAD src0_sel:WORD_1
	s_waitcnt lgkmcnt(1)
	v_perm_b32 v94, v94, v98, s94
	s_waitcnt lgkmcnt(0)
	v_perm_b32 v95, v97, v95, s94
	v_cvt_f32_f16_e32 v97, v92
	v_cvt_f32_f16_sdwa v92, v92 dst_sel:DWORD dst_unused:UNUSED_PAD src0_sel:WORD_1
	v_accvgpr_read_b32 v238, a0
	v_accvgpr_read_b32 v205, a1
	;; [unrolled: 1-line block ×4, first 2 shown]
	v_accvgpr_write_b32 a0, v96
	v_accvgpr_write_b32 a1, v93
	;; [unrolled: 1-line block ×4, first 2 shown]
	v_cvt_f32_f16_sdwa v96, v196 dst_sel:DWORD dst_unused:UNUSED_PAD src0_sel:WORD_1
	v_cvt_f32_f16_e32 v98, v222
	v_mfma_f32_16x16x16_f16 a[0:3], v[94:95], v[34:35], a[0:3]
	ds_read_u16 v92, v176 offset:64
	ds_read_u16 v94, v176 offset:592
	;; [unrolled: 1-line block ×4, first 2 shown]
	v_cvt_pk_f16_f32 v201, v201, v237
	s_waitcnt lgkmcnt(2)
	v_perm_b32 v92, v94, v92, s94
	v_cvt_f32_f16_e32 v94, v91
	s_waitcnt lgkmcnt(0)
	v_perm_b32 v93, v95, v93, s94
	v_cvt_f32_f16_sdwa v91, v91 dst_sel:DWORD dst_unused:UNUSED_PAD src0_sel:WORD_1
	v_cvt_f32_f16_e32 v95, v90
	v_cvt_f32_f16_sdwa v90, v90 dst_sel:DWORD dst_unused:UNUSED_PAD src0_sel:WORD_1
	v_accvgpr_read_b32 v236, a0
	v_accvgpr_read_b32 v199, a1
	;; [unrolled: 1-line block ×4, first 2 shown]
	v_accvgpr_write_b32 a0, v94
	v_accvgpr_write_b32 a1, v91
	;; [unrolled: 1-line block ×4, first 2 shown]
	v_cvt_f32_f16_e32 v94, v234
	v_cvt_f32_f16_sdwa v95, v234 dst_sel:DWORD dst_unused:UNUSED_PAD src0_sel:WORD_1
	v_mfma_f32_16x16x16_f16 a[0:3], v[92:93], v[34:35], a[0:3]
	ds_read_u16 v90, v176 offset:96
	ds_read_u16 v92, v176 offset:624
	;; [unrolled: 1-line block ×4, first 2 shown]
	s_waitcnt lgkmcnt(2)
	v_perm_b32 v90, v92, v90, s94
	v_cvt_f32_f16_e32 v92, v89
	s_waitcnt lgkmcnt(0)
	v_perm_b32 v91, v93, v91, s94
	v_cvt_f32_f16_sdwa v89, v89 dst_sel:DWORD dst_unused:UNUSED_PAD src0_sel:WORD_1
	v_cvt_f32_f16_e32 v93, v88
	v_cvt_f32_f16_sdwa v88, v88 dst_sel:DWORD dst_unused:UNUSED_PAD src0_sel:WORD_1
	v_accvgpr_read_b32 v217, a0
	v_accvgpr_read_b32 v214, a1
	;; [unrolled: 1-line block ×4, first 2 shown]
	v_accvgpr_write_b32 a0, v92
	v_accvgpr_write_b32 a1, v89
	;; [unrolled: 1-line block ×4, first 2 shown]
	v_cvt_f32_f16_e32 v92, v87
	v_cvt_f32_f16_sdwa v87, v87 dst_sel:DWORD dst_unused:UNUSED_PAD src0_sel:WORD_1
	v_mfma_f32_16x16x16_f16 a[0:3], v[90:91], v[34:35], a[0:3]
	ds_read_u16 v88, v176 offset:128
	ds_read_u16 v90, v176 offset:656
	;; [unrolled: 1-line block ×4, first 2 shown]
	v_cvt_f32_f16_sdwa v93, v166 dst_sel:DWORD dst_unused:UNUSED_PAD src0_sel:WORD_1
	s_waitcnt lgkmcnt(2)
	v_perm_b32 v88, v90, v88, s94
	v_cvt_f32_f16_e32 v90, v47
	s_waitcnt lgkmcnt(0)
	v_perm_b32 v89, v91, v89, s94
	v_cvt_f32_f16_sdwa v47, v47 dst_sel:DWORD dst_unused:UNUSED_PAD src0_sel:WORD_1
	v_cvt_f32_f16_e32 v91, v39
	v_cvt_f32_f16_sdwa v39, v39 dst_sel:DWORD dst_unused:UNUSED_PAD src0_sel:WORD_1
	v_accvgpr_read_b32 v206, a0
	v_accvgpr_read_b32 v203, a1
	;; [unrolled: 1-line block ×4, first 2 shown]
	v_accvgpr_write_b32 a0, v90
	v_accvgpr_write_b32 a1, v47
	;; [unrolled: 1-line block ×4, first 2 shown]
	v_cvt_pk_f16_f32 v203, v206, v203
	v_cvt_pk_f16_f32 v193, v200, v193
	v_mfma_f32_16x16x16_f16 a[0:3], v[88:89], v[34:35], a[0:3]
	ds_read_u16 v88, v176 offset:160
	ds_read_u16 v90, v176 offset:688
	;; [unrolled: 1-line block ×4, first 2 shown]
	v_cvt_pk_f16_f32 v206, v217, v214
	v_cvt_pk_f16_f32 v200, v211, v208
	s_waitcnt lgkmcnt(2)
	v_perm_b32 v88, v90, v88, s94
	v_cvt_f32_f16_e32 v90, v86
	s_waitcnt lgkmcnt(0)
	v_perm_b32 v89, v91, v89, s94
	v_cvt_f32_f16_sdwa v86, v86 dst_sel:DWORD dst_unused:UNUSED_PAD src0_sel:WORD_1
	v_cvt_f32_f16_e32 v91, v1
	v_cvt_f32_f16_sdwa v1, v1 dst_sel:DWORD dst_unused:UNUSED_PAD src0_sel:WORD_1
	v_accvgpr_read_b32 v39, a0
	v_accvgpr_read_b32 v47, a1
	;; [unrolled: 1-line block ×4, first 2 shown]
	v_accvgpr_write_b32 a0, v90
	v_accvgpr_write_b32 a1, v86
	;; [unrolled: 1-line block ×4, first 2 shown]
	v_cvt_pk_f16_f32 v47, v39, v47
	v_cvt_pk_f16_f32 v39, v190, v233
	v_mfma_f32_16x16x16_f16 a[0:3], v[88:89], v[34:35], a[0:3]
	ds_read_u16 v88, v176 offset:192
	ds_read_u16 v90, v176 offset:720
	;; [unrolled: 1-line block ×4, first 2 shown]
	v_cvt_pk_f16_f32 v208, v236, v199
	v_cvt_pk_f16_f32 v199, v228, v225
	s_waitcnt lgkmcnt(2)
	v_perm_b32 v88, v90, v88, s94
	v_cvt_f32_f16_e32 v90, v191
	s_waitcnt lgkmcnt(0)
	v_perm_b32 v89, v91, v89, s94
	v_cvt_f32_f16_sdwa v91, v191 dst_sel:DWORD dst_unused:UNUSED_PAD src0_sel:WORD_1
	v_accvgpr_read_b32 v1, a0
	v_accvgpr_read_b32 v195, a1
	;; [unrolled: 1-line block ×4, first 2 shown]
	v_accvgpr_write_b32 a0, v90
	v_accvgpr_write_b32 a1, v91
	;; [unrolled: 1-line block ×4, first 2 shown]
	v_cvt_f32_f16_e32 v92, v166
	v_cvt_pk_f16_f32 v1, v1, v195
	v_mfma_f32_16x16x16_f16 a[0:3], v[88:89], v[34:35], a[0:3]
	ds_read_u16 v88, v176 offset:224
	ds_read_u16 v90, v176 offset:752
	;; [unrolled: 1-line block ×4, first 2 shown]
	v_cvt_pk_f16_f32 v195, v170, v86
	v_cvt_pk_f16_f32 v190, v238, v205
	s_waitcnt lgkmcnt(2)
	v_perm_b32 v88, v90, v88, s94
	v_cvt_f32_f16_e32 v90, v167
	s_waitcnt lgkmcnt(0)
	v_perm_b32 v89, v91, v89, s94
	v_cvt_f32_f16_sdwa v91, v167 dst_sel:DWORD dst_unused:UNUSED_PAD src0_sel:WORD_1
	v_accvgpr_read_b32 v87, a0
	v_accvgpr_read_b32 v194, a1
	;; [unrolled: 1-line block ×4, first 2 shown]
	v_accvgpr_write_b32 a0, v90
	v_accvgpr_write_b32 a1, v91
	v_accvgpr_write_b32 a2, v92
	v_accvgpr_write_b32 a3, v93
	ds_read_u16 v90, v176 offset:256
	ds_read_u16 v92, v176 offset:784
	;; [unrolled: 1-line block ×4, first 2 shown]
	v_mfma_f32_16x16x16_f16 a[0:3], v[88:89], v[34:35], a[0:3]
	v_cvt_pk_f16_f32 v194, v87, v194
	s_waitcnt lgkmcnt(2)
	v_perm_b32 v90, v92, v90, s94
	v_cvt_f32_f16_e32 v92, v197
	s_waitcnt lgkmcnt(0)
	v_perm_b32 v91, v93, v91, s94
	v_cvt_f32_f16_sdwa v93, v197 dst_sel:DWORD dst_unused:UNUSED_PAD src0_sel:WORD_1
	s_nop 0
	v_accvgpr_read_b32 v166, a0
	v_accvgpr_read_b32 v167, a1
	;; [unrolled: 1-line block ×4, first 2 shown]
	v_accvgpr_write_b32 a0, v92
	v_accvgpr_write_b32 a1, v93
	;; [unrolled: 1-line block ×4, first 2 shown]
	v_cvt_f32_f16_e32 v95, v196
	s_nop 0
	v_mfma_f32_16x16x16_f16 a[0:3], v[90:91], v[34:35], a[0:3]
	ds_read_u16 v91, v176 offset:288
	ds_read_u16 v92, v176 offset:816
	;; [unrolled: 1-line block ×4, first 2 shown]
	s_waitcnt lgkmcnt(2)
	v_perm_b32 v92, v92, v91, s94
	v_cvt_f32_f16_e32 v91, v235
	s_waitcnt lgkmcnt(0)
	v_perm_b32 v93, v94, v93, s94
	v_cvt_f32_f16_sdwa v94, v235 dst_sel:DWORD dst_unused:UNUSED_PAD src0_sel:WORD_1
	v_accvgpr_read_b32 v197, a1
	v_accvgpr_read_b32 v234, a2
	;; [unrolled: 1-line block ×3, first 2 shown]
	v_accvgpr_write_b32 a1, v94
	v_accvgpr_write_b32 a2, v95
	;; [unrolled: 1-line block ×3, first 2 shown]
	ds_read_u16 v94, v176 offset:320
	ds_read_u16 v96, v176 offset:848
	;; [unrolled: 1-line block ×4, first 2 shown]
	v_accvgpr_read_b32 v169, a0
	v_accvgpr_write_b32 a0, v91
	s_waitcnt lgkmcnt(2)
	v_perm_b32 v94, v96, v94, s94
	v_cvt_f32_f16_e32 v96, v219
	v_mfma_f32_16x16x16_f16 a[0:3], v[92:93], v[34:35], a[0:3]
	s_waitcnt lgkmcnt(0)
	v_perm_b32 v95, v97, v95, s94
	v_cvt_f32_f16_sdwa v97, v219 dst_sel:DWORD dst_unused:UNUSED_PAD src0_sel:WORD_1
	v_cvt_pk_f16_f32 v197, v169, v197
	v_cvt_pk_f16_f32 v234, v234, v90
	;; [unrolled: 1-line block ×5, first 2 shown]
	v_accvgpr_read_b32 v91, a0
	v_accvgpr_read_b32 v196, a1
	;; [unrolled: 1-line block ×4, first 2 shown]
	v_accvgpr_write_b32 a0, v96
	v_accvgpr_write_b32 a1, v97
	;; [unrolled: 1-line block ×4, first 2 shown]
	v_cvt_f32_f16_e32 v99, v202
	s_nop 0
	v_mfma_f32_16x16x16_f16 a[0:3], v[94:95], v[34:35], a[0:3]
	ds_read_u16 v95, v176 offset:352
	ds_read_u16 v96, v176 offset:880
	;; [unrolled: 1-line block ×4, first 2 shown]
	s_waitcnt lgkmcnt(2)
	v_perm_b32 v96, v96, v95, s94
	v_cvt_f32_f16_e32 v95, v198
	s_waitcnt lgkmcnt(0)
	v_perm_b32 v97, v98, v97, s94
	v_cvt_f32_f16_sdwa v98, v198 dst_sel:DWORD dst_unused:UNUSED_PAD src0_sel:WORD_1
	v_accvgpr_read_b32 v219, a0
	v_accvgpr_read_b32 v222, a1
	;; [unrolled: 1-line block ×4, first 2 shown]
	v_accvgpr_write_b32 a0, v95
	v_accvgpr_write_b32 a1, v98
	;; [unrolled: 1-line block ×4, first 2 shown]
	v_cvt_pk_f16_f32 v219, v219, v222
	v_cvt_pk_f16_f32 v222, v235, v94
	v_mfma_f32_16x16x16_f16 a[0:3], v[96:97], v[34:35], a[0:3]
	ds_read_u16 v97, v176 offset:384
	ds_read_u16 v98, v176 offset:912
	;; [unrolled: 1-line block ×4, first 2 shown]
	v_cvt_pk_f16_f32 v235, v91, v196
	v_cvt_pk_f16_f32 v196, v92, v93
	s_waitcnt lgkmcnt(2)
	v_perm_b32 v98, v98, v97, s94
	v_cvt_f32_f16_e32 v97, v204
	s_waitcnt lgkmcnt(0)
	v_perm_b32 v99, v100, v99, s94
	v_cvt_f32_f16_sdwa v100, v204 dst_sel:DWORD dst_unused:UNUSED_PAD src0_sel:WORD_1
	v_accvgpr_read_b32 v95, a0
	v_accvgpr_read_b32 v198, a1
	v_accvgpr_read_b32 v202, a2
	v_accvgpr_read_b32 v96, a3
	v_accvgpr_write_b32 a0, v97
	v_accvgpr_write_b32 a1, v100
	;; [unrolled: 1-line block ×4, first 2 shown]
	v_cvt_pk_f16_f32 v198, v95, v198
	v_cvt_pk_f16_f32 v202, v202, v96
	v_mfma_f32_16x16x16_f16 a[0:3], v[98:99], v[34:35], a[0:3]
	ds_read_u16 v98, v176 offset:416
	ds_read_u16 v103, v176 offset:944
	;; [unrolled: 1-line block ×4, first 2 shown]
	s_waitcnt lgkmcnt(2)
	v_perm_b32 v98, v103, v98, s94
	v_cvt_f32_f16_e32 v103, v207
	s_waitcnt lgkmcnt(0)
	v_perm_b32 v99, v104, v99, s94
	v_cvt_f32_f16_sdwa v104, v207 dst_sel:DWORD dst_unused:UNUSED_PAD src0_sel:WORD_1
	v_accvgpr_read_b32 v97, a0
	v_accvgpr_read_b32 v100, a1
	;; [unrolled: 1-line block ×4, first 2 shown]
	v_accvgpr_write_b32 a0, v103
	v_accvgpr_write_b32 a1, v104
	;; [unrolled: 1-line block ×4, first 2 shown]
	v_cvt_f32_f16_e32 v207, v209
	v_cvt_f32_f16_sdwa v209, v209 dst_sel:DWORD dst_unused:UNUSED_PAD src0_sel:WORD_1
	v_mfma_f32_16x16x16_f16 a[0:3], v[98:99], v[34:35], a[0:3]
	ds_read_u16 v98, v176 offset:448
	ds_read_u16 v107, v176 offset:976
	;; [unrolled: 1-line block ×4, first 2 shown]
	s_waitcnt lgkmcnt(2)
	v_perm_b32 v98, v107, v98, s94
	v_cvt_f32_f16_e32 v107, v240
	s_waitcnt lgkmcnt(0)
	v_perm_b32 v99, v204, v99, s94
	v_cvt_f32_f16_sdwa v204, v240 dst_sel:DWORD dst_unused:UNUSED_PAD src0_sel:WORD_1
	v_accvgpr_read_b32 v103, a0
	v_accvgpr_read_b32 v104, a1
	;; [unrolled: 1-line block ×4, first 2 shown]
	v_accvgpr_write_b32 a0, v107
	v_accvgpr_write_b32 a1, v204
	;; [unrolled: 1-line block ×4, first 2 shown]
	v_cvt_f32_f16_sdwa v240, v241 dst_sel:DWORD dst_unused:UNUSED_PAD src0_sel:WORD_1
	s_nop 0
	v_mfma_f32_16x16x16_f16 a[0:3], v[98:99], v[34:35], a[0:3]
	ds_read_u16 v98, v176 offset:480
	ds_read_u16 v210, v176 offset:1008
	;; [unrolled: 1-line block ×4, first 2 shown]
	s_waitcnt lgkmcnt(0)
	s_barrier
	v_perm_b32 v98, v210, v98, s94
	v_cvt_f32_f16_e32 v210, v213
	v_perm_b32 v99, v239, v99, s94
	v_cvt_f32_f16_sdwa v213, v213 dst_sel:DWORD dst_unused:UNUSED_PAD src0_sel:WORD_1
	v_cvt_f32_f16_e32 v239, v241
	v_accvgpr_read_b32 v107, a0
	v_accvgpr_read_b32 v204, a1
	;; [unrolled: 1-line block ×4, first 2 shown]
	v_accvgpr_write_b32 a0, v210
	v_accvgpr_write_b32 a1, v213
	;; [unrolled: 1-line block ×4, first 2 shown]
	v_cvt_pk_f16_f32 v240, v107, v204
	v_cvt_pk_f16_f32 v209, v207, v209
	v_mfma_f32_16x16x16_f16 a[0:3], v[98:99], v[34:35], a[0:3]
	v_cvt_pk_f16_f32 v207, v103, v104
	v_cvt_pk_f16_f32 v210, v105, v106
	;; [unrolled: 1-line block ×4, first 2 shown]
	s_nop 3
	v_accvgpr_read_b32 v34, a0
	v_accvgpr_read_b32 v35, a1
	;; [unrolled: 1-line block ×4, first 2 shown]
	v_cvt_pk_f16_f32 v213, v34, v35
	v_cvt_pk_f16_f32 v241, v98, v99
	s_cbranch_vccz .LBB30_199
; %bb.197:                              ;   in Loop: Header=BB30_180 Depth=2
	v_mov_b32_e32 v86, v37
	v_mov_b32_e32 v87, v36
	s_and_saveexec_b64 s[8:9], s[4:5]
	s_cbranch_execnz .LBB30_179
	s_branch .LBB30_180
.LBB30_198:                             ;   in Loop: Header=BB30_12 Depth=1
	v_mov_b32_e32 v36, 0xfeffffff
	v_mov_b32_e32 v37, 0
	;; [unrolled: 1-line block ×3, first 2 shown]
	v_mov_b64_e32 v[34:35], 0
	v_mov_b32_e32 v190, 0
	v_mov_b32_e32 v199, 0
	;; [unrolled: 1-line block ×31, first 2 shown]
	s_and_saveexec_b64 s[8:9], s[4:5]
	s_cbranch_execnz .LBB30_200
	s_branch .LBB30_201
.LBB30_199:                             ;   in Loop: Header=BB30_12 Depth=1
	v_lshlrev_b32_e32 v44, 6, v212
	v_mov_b64_e32 v[34:35], v[44:45]
	s_and_saveexec_b64 s[8:9], s[4:5]
	s_cbranch_execz .LBB30_201
.LBB30_200:                             ;   in Loop: Header=BB30_12 Depth=1
	v_lshlrev_b64 v[86:87], 1, v[34:35]
	v_or_b32_e32 v35, v215, v172
	v_mul_hi_u32 v44, s34, v35
	v_add_u32_e32 v44, v35, v44
	v_lshrrev_b32_e32 v44, s35, v44
	v_mul_lo_u32 v44, v44, s36
	v_sub_u32_e32 v35, v35, v44
	v_lshl_add_u64 v[86:87], v[130:131], 0, v[86:87]
	v_mad_i64_i32 v[88:89], s[12:13], v35, s44, 0
	v_lshl_add_u64 v[86:87], v[88:89], 1, v[86:87]
	v_lshlrev_b32_e32 v44, 1, v46
	v_lshl_add_u64 v[86:87], v[86:87], 0, v[44:45]
	global_load_dword v35, v[86:87], off
	s_waitcnt vmcnt(0)
	ds_write_b32 v182, v35 offset:33792
.LBB30_201:                             ;   in Loop: Header=BB30_12 Depth=1
	s_or_b64 exec, exec, s[8:9]
	v_mul_lo_u32 v35, v34, s39
	v_mul_hi_u32 v44, v34, s38
	v_add_u32_e32 v87, v44, v35
	v_mul_lo_u32 v86, v34, s38
	v_lshlrev_b64 v[86:87], 2, v[86:87]
	v_lshl_add_u64 v[86:87], v[128:129], 0, v[86:87]
	v_lshl_add_u64 v[88:89], v[48:49], 2, v[86:87]
	v_lshlrev_b32_e32 v44, 2, v42
	v_lshl_add_u64 v[88:89], v[88:89], 0, v[44:45]
	v_lshl_add_u64 v[90:91], v[50:51], 2, v[86:87]
	;; [unrolled: 1-line block ×9, first 2 shown]
	global_load_dwordx4 v[86:89], v[88:89], off
	v_lshl_add_u64 v[90:91], v[90:91], 0, v[44:45]
	v_lshl_add_u64 v[92:93], v[92:93], 0, v[44:45]
	;; [unrolled: 1-line block ×6, first 2 shown]
	s_waitcnt vmcnt(0)
	ds_write_b128 v173, v[86:89]
	global_load_dwordx4 v[86:89], v[90:91], off
	s_waitcnt vmcnt(0)
	ds_write_b128 v247, v[86:89]
	global_load_dwordx4 v[86:89], v[92:93], off
	;; [unrolled: 3-line block ×7, first 2 shown]
	s_waitcnt vmcnt(0)
	ds_write_b128 v253, v[86:89]
	s_waitcnt lgkmcnt(0)
	s_barrier
	ds_read2_b64 v[86:89], v174 offset1:4
	s_waitcnt lgkmcnt(0)
	v_mfma_f32_16x16x16_f16 a[0:3], v[86:87], v[30:31], 0
	v_mfma_f32_16x16x16_f16 a[0:3], v[88:89], v[32:33], a[0:3]
	ds_read2_b64 v[30:33], v174 offset0:8 offset1:12
	s_waitcnt lgkmcnt(0)
	v_mfma_f32_16x16x16_f16 a[0:3], v[30:31], v[26:27], a[0:3]
	v_mfma_f32_16x16x16_f16 a[0:3], v[32:33], v[28:29], a[0:3]
	ds_read2_b64 v[26:29], v174 offset0:16 offset1:20
	;; [unrolled: 4-line block ×7, first 2 shown]
	s_waitcnt lgkmcnt(0)
	s_barrier
	v_mfma_f32_16x16x16_f16 a[0:3], v[6:7], v[2:3], a[0:3]
                                        ; implicit-def: $vgpr7
	v_mfma_f32_16x16x16_f16 a[0:3], v[8:9], v[4:5], a[0:3]
	s_nop 7
	v_accvgpr_read_b32 v6, a0
	v_cmp_nlt_f32_e64 s[8:9], |v6|, s45
	s_and_saveexec_b64 s[12:13], s[8:9]
	s_xor_b64 s[8:9], exec, s[12:13]
	s_cbranch_execz .LBB30_203
; %bb.202:                              ;   in Loop: Header=BB30_12 Depth=1
	v_add_f32_e64 v2, |v6|, |v6|
	v_mul_f32_e32 v3, 0x3fb8aa3b, v2
	v_rndne_f32_e32 v4, v3
	v_sub_f32_e32 v5, v3, v4
	v_fma_f32 v3, v2, s63, -v3
	v_fmac_f32_e32 v3, 0x32a5705f, v2
	v_add_f32_e32 v3, v5, v3
	v_cvt_i32_f32_e32 v4, v4
	v_exp_f32_e32 v3, v3
	v_cmp_ngt_f32_e32 vcc, s90, v2
	v_ldexp_f32 v3, v3, v4
	s_nop 0
	v_cndmask_b32_e32 v3, 0, v3, vcc
	v_cmp_nlt_f32_e32 vcc, s91, v2
	s_nop 1
	v_cndmask_b32_e32 v2, v243, v3, vcc
	v_add_f32_e32 v2, 1.0, v2
	v_rcp_f32_e32 v2, v2
	s_nop 0
	v_fma_f32 v7, v2, -2.0, 1.0
.LBB30_203:                             ;   in Loop: Header=BB30_12 Depth=1
	s_andn2_saveexec_b64 s[8:9], s[8:9]
; %bb.204:                              ;   in Loop: Header=BB30_12 Depth=1
	v_mul_f32_e32 v2, v6, v6
	v_fmamk_f32 v3, v2, 0xbbbac73d, v218
	v_fmaak_f32 v3, v2, v3, 0xbd5c1c4e
	v_fmaak_f32 v3, v2, v3, 0x3e088382
	;; [unrolled: 1-line block ×3, first 2 shown]
	v_mul_f32_e64 v3, |v6|, v3
	v_fma_f32 v7, v2, v3, |v6|
; %bb.205:                              ;   in Loop: Header=BB30_12 Depth=1
	s_or_b64 exec, exec, s[8:9]
	v_accvgpr_read_b32 v5, a3
	v_accvgpr_read_b32 v3, a1
	;; [unrolled: 1-line block ×4, first 2 shown]
	v_cmp_nlt_f32_e64 s[8:9], |v3|, s45
                                        ; implicit-def: $vgpr2
	s_and_saveexec_b64 s[12:13], s[8:9]
	s_xor_b64 s[8:9], exec, s[12:13]
	s_cbranch_execz .LBB30_207
; %bb.206:                              ;   in Loop: Header=BB30_12 Depth=1
	v_add_f32_e64 v2, |v3|, |v3|
	v_mul_f32_e32 v8, 0x3fb8aa3b, v2
	v_rndne_f32_e32 v9, v8
	v_sub_f32_e32 v10, v8, v9
	v_fma_f32 v8, v2, s63, -v8
	v_fmac_f32_e32 v8, 0x32a5705f, v2
	v_add_f32_e32 v8, v10, v8
	v_cvt_i32_f32_e32 v9, v9
	v_exp_f32_e32 v8, v8
	v_cmp_ngt_f32_e32 vcc, s90, v2
	v_ldexp_f32 v8, v8, v9
	s_nop 0
	v_cndmask_b32_e32 v8, 0, v8, vcc
	v_cmp_nlt_f32_e32 vcc, s91, v2
	s_nop 1
	v_cndmask_b32_e32 v2, v243, v8, vcc
	v_add_f32_e32 v2, 1.0, v2
	v_rcp_f32_e32 v2, v2
	s_nop 0
	v_fma_f32 v2, v2, -2.0, 1.0
.LBB30_207:                             ;   in Loop: Header=BB30_12 Depth=1
	s_andn2_saveexec_b64 s[8:9], s[8:9]
; %bb.208:                              ;   in Loop: Header=BB30_12 Depth=1
	v_mul_f32_e32 v2, v3, v3
	v_fmamk_f32 v8, v2, 0xbbbac73d, v218
	v_fmaak_f32 v8, v2, v8, 0xbd5c1c4e
	v_fmaak_f32 v8, v2, v8, 0x3e088382
	;; [unrolled: 1-line block ×3, first 2 shown]
	v_mul_f32_e64 v8, |v3|, v8
	v_fma_f32 v2, v2, v8, |v3|
; %bb.209:                              ;   in Loop: Header=BB30_12 Depth=1
	s_or_b64 exec, exec, s[8:9]
	v_cmp_nlt_f32_e64 s[8:9], |v4|, s45
                                        ; implicit-def: $vgpr8
	s_and_saveexec_b64 s[12:13], s[8:9]
	s_xor_b64 s[8:9], exec, s[12:13]
	s_cbranch_execz .LBB30_211
; %bb.210:                              ;   in Loop: Header=BB30_12 Depth=1
	v_add_f32_e64 v8, |v4|, |v4|
	v_mul_f32_e32 v9, 0x3fb8aa3b, v8
	v_rndne_f32_e32 v10, v9
	v_sub_f32_e32 v11, v9, v10
	v_fma_f32 v9, v8, s63, -v9
	v_fmac_f32_e32 v9, 0x32a5705f, v8
	v_add_f32_e32 v9, v11, v9
	v_cvt_i32_f32_e32 v10, v10
	v_exp_f32_e32 v9, v9
	v_cmp_ngt_f32_e32 vcc, s90, v8
	v_ldexp_f32 v9, v9, v10
	s_nop 0
	v_cndmask_b32_e32 v9, 0, v9, vcc
	v_cmp_nlt_f32_e32 vcc, s91, v8
	s_nop 1
	v_cndmask_b32_e32 v8, v243, v9, vcc
	v_add_f32_e32 v8, 1.0, v8
	v_rcp_f32_e32 v8, v8
	s_nop 0
	v_fma_f32 v8, v8, -2.0, 1.0
.LBB30_211:                             ;   in Loop: Header=BB30_12 Depth=1
	s_andn2_saveexec_b64 s[8:9], s[8:9]
; %bb.212:                              ;   in Loop: Header=BB30_12 Depth=1
	v_mul_f32_e32 v8, v4, v4
	v_fmamk_f32 v9, v8, 0xbbbac73d, v218
	v_fmaak_f32 v9, v8, v9, 0xbd5c1c4e
	v_fmaak_f32 v9, v8, v9, 0x3e088382
	;; [unrolled: 1-line block ×3, first 2 shown]
	v_mul_f32_e64 v9, |v4|, v9
	v_fma_f32 v8, v8, v9, |v4|
; %bb.213:                              ;   in Loop: Header=BB30_12 Depth=1
	s_or_b64 exec, exec, s[8:9]
	v_cmp_nlt_f32_e64 s[8:9], |v5|, s45
                                        ; implicit-def: $vgpr9
	s_and_saveexec_b64 s[12:13], s[8:9]
	s_xor_b64 s[8:9], exec, s[12:13]
	s_cbranch_execz .LBB30_215
; %bb.214:                              ;   in Loop: Header=BB30_12 Depth=1
	v_add_f32_e64 v9, |v5|, |v5|
	v_mul_f32_e32 v10, 0x3fb8aa3b, v9
	v_rndne_f32_e32 v11, v10
	v_sub_f32_e32 v12, v10, v11
	v_fma_f32 v10, v9, s63, -v10
	v_fmac_f32_e32 v10, 0x32a5705f, v9
	v_add_f32_e32 v10, v12, v10
	v_cvt_i32_f32_e32 v11, v11
	v_exp_f32_e32 v10, v10
	v_cmp_ngt_f32_e32 vcc, s90, v9
	v_ldexp_f32 v10, v10, v11
	s_nop 0
	v_cndmask_b32_e32 v10, 0, v10, vcc
	v_cmp_nlt_f32_e32 vcc, s91, v9
	s_nop 1
	v_cndmask_b32_e32 v9, v243, v10, vcc
	v_add_f32_e32 v9, 1.0, v9
	v_rcp_f32_e32 v9, v9
	s_nop 0
	v_fma_f32 v9, v9, -2.0, 1.0
.LBB30_215:                             ;   in Loop: Header=BB30_12 Depth=1
	s_andn2_saveexec_b64 s[8:9], s[8:9]
; %bb.216:                              ;   in Loop: Header=BB30_12 Depth=1
	v_mul_f32_e32 v9, v5, v5
	v_fmamk_f32 v10, v9, 0xbbbac73d, v218
	v_fmaak_f32 v10, v9, v10, 0xbd5c1c4e
	v_fmaak_f32 v10, v9, v10, 0x3e088382
	;; [unrolled: 1-line block ×3, first 2 shown]
	v_mul_f32_e64 v10, |v5|, v10
	v_fma_f32 v9, v9, v10, |v5|
; %bb.217:                              ;   in Loop: Header=BB30_12 Depth=1
	s_or_b64 exec, exec, s[8:9]
	v_mul_lo_u32 v20, v34, s15
	v_mul_hi_u32 v22, v34, s14
	v_add_u32_e32 v27, v22, v20
	v_mul_lo_u32 v26, v34, s14
	v_lshlrev_b64 v[26:27], 2, v[26:27]
	v_lshl_add_u64 v[26:27], v[126:127], 0, v[26:27]
	v_lshl_add_u64 v[88:89], v[66:67], 2, v[26:27]
	;; [unrolled: 1-line block ×15, first 2 shown]
	global_load_dwordx4 v[86:89], v[86:87], off
	v_bfi_b32 v6, s92, v7, v6
	v_bfi_b32 v7, s92, v2, v3
	v_add_u32_e32 v2, 0x8400, v175
	ds_read2_b32 v[2:3], v2 offset1:1
	v_lshl_add_u64 v[26:27], v[78:79], 2, v[26:27]
	v_lshl_add_u64 v[26:27], v[26:27], 0, v[44:45]
	v_bfi_b32 v4, s92, v8, v4
	v_bfi_b32 v5, s92, v9, v5
	s_waitcnt lgkmcnt(0)
	v_fma_mix_f32 v8, s3, v6, v2 op_sel_hi:[0,0,1]
	v_fma_mix_f32 v9, s3, v7, v2 op_sel:[0,0,1] op_sel_hi:[0,0,1]
	v_fma_mix_f32 v11, s3, v4, v3 op_sel_hi:[0,0,1]
	v_fma_mix_f32 v3, s3, v5, v3 op_sel:[0,0,1] op_sel_hi:[0,0,1]
	v_add_f32_e32 v2, 0x40051340, v8
	v_add_f32_e32 v4, 0x40051340, v9
	v_max3_f32 v2, v36, v2, v4
	v_add_f32_e32 v4, 0x40051340, v11
	v_add_f32_e32 v5, 0x40051340, v3
	v_max3_f32 v2, v2, v4, v5
	v_and_b32_e32 v4, 64, v81
	v_add_u32_e32 v4, 64, v4
	v_xor_b32_e32 v5, 32, v81
	v_cmp_lt_i32_e32 vcc, v5, v4
	s_waitcnt vmcnt(0)
	ds_write_b128 v173, v[86:89]
	global_load_dwordx4 v[86:89], v[90:91], off
	v_cndmask_b32_e32 v5, v81, v5, vcc
	v_lshlrev_b32_e32 v6, 2, v5
	ds_bpermute_b32 v5, v6, v2
	s_waitcnt lgkmcnt(0)
	v_max_f32_e32 v5, v5, v5
	v_max_f32_e32 v2, v2, v5
	v_xor_b32_e32 v5, 16, v81
	v_cmp_lt_i32_e32 vcc, v5, v4
	s_waitcnt vmcnt(0)
	ds_write_b128 v247, v[86:89]
	global_load_dwordx4 v[86:89], v[92:93], off
	v_cndmask_b32_e32 v4, v81, v5, vcc
	v_lshlrev_b32_e32 v7, 2, v4
	ds_bpermute_b32 v4, v7, v2
	s_waitcnt lgkmcnt(0)
	v_max_f32_e32 v4, v4, v4
	v_max_f32_e32 v2, v2, v4
	v_sub_f32_e32 v4, v8, v2
	v_mul_f32_e32 v5, 0x3fb8aa3b, v4
	v_fma_f32 v8, v4, s63, -v5
	v_rndne_f32_e32 v10, v5
	v_fmac_f32_e32 v8, 0x32a5705f, v4
	v_sub_f32_e32 v5, v5, v10
	v_add_f32_e32 v5, v5, v8
	v_exp_f32_e32 v5, v5
	v_cvt_i32_f32_e32 v8, v10
	v_cmp_ngt_f32_e32 vcc, s90, v4
	v_sub_f32_e32 v3, v3, v2
	v_ldexp_f32 v5, v5, v8
	v_cndmask_b32_e32 v5, 0, v5, vcc
	v_cmp_nlt_f32_e32 vcc, s91, v4
	s_waitcnt vmcnt(0)
	ds_write_b128 v248, v[86:89]
	global_load_dwordx4 v[86:89], v[94:95], off
	v_cndmask_b32_e32 v4, v243, v5, vcc
	v_sub_f32_e32 v5, v9, v2
	v_mul_f32_e32 v8, 0x3fb8aa3b, v5
	v_fma_f32 v9, v5, s63, -v8
	v_rndne_f32_e32 v10, v8
	v_fmac_f32_e32 v9, 0x32a5705f, v5
	v_sub_f32_e32 v8, v8, v10
	v_add_f32_e32 v8, v8, v9
	v_exp_f32_e32 v8, v8
	v_cvt_i32_f32_e32 v9, v10
	v_cmp_ngt_f32_e32 vcc, s90, v5
	v_ldexp_f32 v8, v8, v9
	s_nop 0
	v_cndmask_b32_e32 v8, 0, v8, vcc
	v_cmp_nlt_f32_e32 vcc, s91, v5
	v_sub_f32_e32 v5, v11, v2
	v_mul_f32_e32 v9, 0x3fb8aa3b, v5
	v_fma_f32 v11, v5, s63, -v9
	v_rndne_f32_e32 v12, v9
	v_fmac_f32_e32 v11, 0x32a5705f, v5
	v_sub_f32_e32 v9, v9, v12
	v_add_f32_e32 v9, v9, v11
	v_exp_f32_e32 v9, v9
	v_cvt_i32_f32_e32 v11, v12
	v_cndmask_b32_e32 v10, v243, v8, vcc
	v_cmp_ngt_f32_e32 vcc, s90, v5
	v_add_f32_e32 v8, v4, v10
	v_ldexp_f32 v9, v9, v11
	v_cndmask_b32_e32 v9, 0, v9, vcc
	v_cmp_nlt_f32_e32 vcc, s91, v5
	v_cvt_pk_f16_f32 v4, v4, v10
	s_waitcnt vmcnt(0)
	ds_write_b128 v249, v[86:89]
	global_load_dwordx4 v[86:89], v[96:97], off
	v_cndmask_b32_e32 v5, v243, v9, vcc
	v_mul_f32_e32 v9, 0x3fb8aa3b, v3
	v_fma_f32 v11, v3, s63, -v9
	v_rndne_f32_e32 v12, v9
	v_fmac_f32_e32 v11, 0x32a5705f, v3
	v_sub_f32_e32 v9, v9, v12
	v_add_f32_e32 v9, v9, v11
	v_exp_f32_e32 v9, v9
	v_cvt_i32_f32_e32 v11, v12
	v_cmp_ngt_f32_e32 vcc, s90, v3
	v_add_f32_e32 v8, v5, v8
	v_ldexp_f32 v9, v9, v11
	v_cndmask_b32_e32 v9, 0, v9, vcc
	v_cmp_nlt_f32_e32 vcc, s91, v3
	s_waitcnt vmcnt(0)
	ds_write_b128 v250, v[86:89]
	global_load_dwordx4 v[86:89], v[98:99], off
	v_cndmask_b32_e32 v14, v243, v9, vcc
	v_add_f32_e32 v3, v14, v8
	v_sub_f32_e32 v8, v36, v2
	v_mul_f32_e32 v9, 0x3fb8aa3b, v8
	v_fma_f32 v11, v8, s63, -v9
	v_rndne_f32_e32 v12, v9
	v_fmac_f32_e32 v11, 0x32a5705f, v8
	v_sub_f32_e32 v9, v9, v12
	v_add_f32_e32 v9, v9, v11
	v_exp_f32_e32 v9, v9
	v_cvt_i32_f32_e32 v11, v12
	v_cmp_ngt_f32_e32 vcc, s90, v8
	v_cvt_pk_f16_f32 v5, v5, v14
	v_ldexp_f32 v9, v9, v11
	v_cndmask_b32_e32 v9, 0, v9, vcc
	v_cmp_nlt_f32_e32 vcc, s91, v8
	s_waitcnt vmcnt(0)
	ds_write_b128 v251, v[86:89]
	global_load_dwordx4 v[86:89], v[100:101], off
	v_cndmask_b32_e32 v9, v243, v9, vcc
	v_cmp_le_f32_e32 vcc, s93, v8
	s_waitcnt vmcnt(0)
	ds_write_b128 v252, v[86:89]
	global_load_dwordx4 v[86:89], v[26:27], off
	v_cndmask_b32_e32 v8, 0, v9, vcc
	v_fmac_f32_e32 v3, v37, v8
	v_cvt_f16_f32_e32 v8, v8
	v_cmp_ne_u64_e32 vcc, 0, v[124:125]
	s_and_b64 s[12:13], s[0:1], vcc
	v_mul_u32_u24_e32 v8, 0x10001, v8
	v_pk_mul_f16 v19, v190, v8
	v_pk_mul_f16 v15, v201, v8
	;; [unrolled: 1-line block ×19, first 2 shown]
	v_cvt_f32_f16_sdwa v90, v142 dst_sel:DWORD dst_unused:UNUSED_PAD src0_sel:WORD_1
	v_pk_mul_f16 v136, v196, v8
	v_pk_mul_f16 v131, v219, v8
	v_cvt_f32_f16_sdwa v91, v136 dst_sel:DWORD dst_unused:UNUSED_PAD src0_sel:WORD_1
	v_pk_mul_f16 v130, v222, v8
	v_pk_mul_f16 v128, v198, v8
	;; [unrolled: 3-line block ×3, first 2 shown]
	v_pk_mul_f16 v30, v239, v8
	v_pk_mul_f16 v24, v207, v8
	;; [unrolled: 1-line block ×7, first 2 shown]
	s_waitcnt vmcnt(0)
	ds_write_b128 v253, v[86:89]
	s_waitcnt lgkmcnt(0)
	s_barrier
	ds_read_u16 v10, v176 offset:528
	ds_read_u16 v14, v176 offset:1056
	ds_read_u16 v20, v177
	ds_read_u16 v22, v177 offset:32
	s_waitcnt lgkmcnt(1)
	v_perm_b32 v27, v20, v14, s94
	ds_read_u16 v14, v176
	ds_read_u16 v29, v176 offset:32
	s_waitcnt lgkmcnt(1)
	v_perm_b32 v26, v10, v14, s94
	v_cvt_f32_f16_e32 v10, v19
	v_cvt_f32_f16_sdwa v14, v19 dst_sel:DWORD dst_unused:UNUSED_PAD src0_sel:WORD_1
	v_cvt_f32_f16_e32 v19, v15
	v_cvt_f32_f16_sdwa v15, v15 dst_sel:DWORD dst_unused:UNUSED_PAD src0_sel:WORD_1
	v_accvgpr_write_b32 a0, v10
	v_accvgpr_write_b32 a1, v14
	;; [unrolled: 1-line block ×4, first 2 shown]
	s_nop 1
	v_mfma_f32_16x16x16_f16 a[0:3], v[26:27], v[4:5], a[0:3]
	s_nop 7
	v_accvgpr_read_b32 v10, a2
	v_accvgpr_read_b32 v26, a3
	v_cvt_f16_f32_e32 v10, v10
	v_cvt_f16_f32_e32 v26, v26
	v_accvgpr_read_b32 v14, a0
	v_accvgpr_read_b32 v15, a1
	v_cvt_f16_f32_e32 v19, v14
	v_perm_b32 v10, v26, v10, s94
	ds_read_u16 v26, v176 offset:560
	ds_read_u16 v27, v176 offset:1088
	v_cvt_f16_f32_e32 v20, v15
	s_waitcnt lgkmcnt(1)
	v_perm_b32 v26, v26, v29, s94
	s_waitcnt lgkmcnt(0)
	v_perm_b32 v27, v22, v27, s94
	v_cvt_f32_f16_e32 v22, v21
	v_cvt_f32_f16_sdwa v21, v21 dst_sel:DWORD dst_unused:UNUSED_PAD src0_sel:WORD_1
	v_cvt_f32_f16_e32 v29, v11
	v_cvt_f32_f16_sdwa v11, v11 dst_sel:DWORD dst_unused:UNUSED_PAD src0_sel:WORD_1
	v_accvgpr_write_b32 a0, v22
	v_accvgpr_write_b32 a1, v21
	v_accvgpr_write_b32 a2, v29
	v_accvgpr_write_b32 a3, v11
	v_perm_b32 v19, v20, v19, s94
	s_nop 0
	v_mfma_f32_16x16x16_f16 a[0:3], v[26:27], v[4:5], a[0:3]
	s_nop 7
	v_accvgpr_read_b32 v11, a2
	v_accvgpr_read_b32 v29, a3
	v_cvt_f16_f32_e32 v11, v11
	v_cvt_f16_f32_e32 v29, v29
	v_accvgpr_read_b32 v21, a0
	v_accvgpr_read_b32 v22, a1
	v_cvt_f16_f32_e32 v26, v21
	v_perm_b32 v11, v29, v11, s94
	ds_read_u16 v29, v176 offset:64
	ds_read_u16 v33, v176 offset:592
	ds_read_u16 v34, v176 offset:1120
	ds_read_u16 v36, v177 offset:64
	v_cvt_f16_f32_e32 v27, v22
	s_waitcnt lgkmcnt(2)
	v_perm_b32 v86, v33, v29, s94
	v_cvt_f32_f16_e32 v29, v28
	s_waitcnt lgkmcnt(0)
	v_perm_b32 v87, v36, v34, s94
	v_cvt_f32_f16_sdwa v28, v28 dst_sel:DWORD dst_unused:UNUSED_PAD src0_sel:WORD_1
	v_cvt_f32_f16_e32 v33, v12
	v_cvt_f32_f16_sdwa v12, v12 dst_sel:DWORD dst_unused:UNUSED_PAD src0_sel:WORD_1
	v_accvgpr_write_b32 a0, v29
	v_accvgpr_write_b32 a1, v28
	;; [unrolled: 1-line block ×4, first 2 shown]
	v_perm_b32 v26, v27, v26, s94
	s_nop 0
	v_mfma_f32_16x16x16_f16 a[0:3], v[86:87], v[4:5], a[0:3]
	s_nop 7
	v_accvgpr_read_b32 v12, a2
	v_accvgpr_read_b32 v36, a3
	v_cvt_f16_f32_e32 v12, v12
	v_cvt_f16_f32_e32 v36, v36
	v_accvgpr_read_b32 v28, a0
	v_accvgpr_read_b32 v29, a1
	v_cvt_f16_f32_e32 v33, v28
	v_perm_b32 v12, v36, v12, s94
	ds_read_u16 v36, v176 offset:96
	ds_read_u16 v44, v176 offset:624
	;; [unrolled: 1-line block ×4, first 2 shown]
	v_cvt_f16_f32_e32 v34, v29
	s_waitcnt lgkmcnt(0)
	v_perm_b32 v87, v87, v86, s94
	v_perm_b32 v86, v44, v36, s94
	v_cvt_f32_f16_e32 v36, v35
	v_cvt_f32_f16_sdwa v35, v35 dst_sel:DWORD dst_unused:UNUSED_PAD src0_sel:WORD_1
	v_cvt_f32_f16_e32 v44, v13
	v_cvt_f32_f16_sdwa v13, v13 dst_sel:DWORD dst_unused:UNUSED_PAD src0_sel:WORD_1
	v_accvgpr_write_b32 a0, v36
	v_accvgpr_write_b32 a1, v35
	;; [unrolled: 1-line block ×4, first 2 shown]
	v_perm_b32 v33, v34, v33, s94
	s_nop 0
	v_mfma_f32_16x16x16_f16 a[0:3], v[86:87], v[4:5], a[0:3]
	s_nop 7
	v_accvgpr_read_b32 v13, a2
	v_accvgpr_read_b32 v86, a3
	v_cvt_f16_f32_e32 v13, v13
	v_cvt_f16_f32_e32 v86, v86
	v_accvgpr_read_b32 v35, a0
	v_accvgpr_read_b32 v36, a1
	v_cvt_f16_f32_e32 v44, v35
	v_perm_b32 v13, v86, v13, s94
	ds_read_u16 v86, v176 offset:128
	ds_read_u16 v88, v176 offset:656
	;; [unrolled: 1-line block ×4, first 2 shown]
	v_cvt_f16_f32_e32 v126, v36
	s_waitcnt lgkmcnt(2)
	v_perm_b32 v86, v88, v86, s94
	v_cvt_f32_f16_e32 v88, v47
	s_waitcnt lgkmcnt(0)
	v_perm_b32 v87, v89, v87, s94
	v_cvt_f32_f16_sdwa v47, v47 dst_sel:DWORD dst_unused:UNUSED_PAD src0_sel:WORD_1
	v_cvt_f32_f16_e32 v89, v18
	v_cvt_f32_f16_sdwa v18, v18 dst_sel:DWORD dst_unused:UNUSED_PAD src0_sel:WORD_1
	v_accvgpr_write_b32 a0, v88
	v_accvgpr_write_b32 a1, v47
	;; [unrolled: 1-line block ×4, first 2 shown]
	v_perm_b32 v44, v126, v44, s94
	s_nop 0
	v_mfma_f32_16x16x16_f16 a[0:3], v[86:87], v[4:5], a[0:3]
	s_nop 7
	v_accvgpr_read_b32 v18, a2
	v_accvgpr_read_b32 v47, a3
	v_cvt_f16_f32_e32 v18, v18
	v_cvt_f16_f32_e32 v47, v47
	v_accvgpr_read_b32 v127, a0
	v_accvgpr_read_b32 v129, a1
	v_cvt_f16_f32_e32 v132, v127
	v_perm_b32 v18, v47, v18, s94
	ds_read_u16 v47, v176 offset:160
	ds_read_u16 v86, v176 offset:688
	;; [unrolled: 1-line block ×4, first 2 shown]
	v_cvt_f16_f32_e32 v133, v129
	s_waitcnt lgkmcnt(2)
	v_perm_b32 v86, v86, v47, s94
	v_cvt_f32_f16_e32 v47, v39
	s_waitcnt lgkmcnt(0)
	v_perm_b32 v87, v88, v87, s94
	v_cvt_f32_f16_sdwa v39, v39 dst_sel:DWORD dst_unused:UNUSED_PAD src0_sel:WORD_1
	v_cvt_f32_f16_e32 v88, v25
	v_cvt_f32_f16_sdwa v25, v25 dst_sel:DWORD dst_unused:UNUSED_PAD src0_sel:WORD_1
	v_accvgpr_write_b32 a0, v47
	v_accvgpr_write_b32 a1, v39
	;; [unrolled: 1-line block ×4, first 2 shown]
	v_cvt_f32_f16_sdwa v88, v144 dst_sel:DWORD dst_unused:UNUSED_PAD src0_sel:WORD_1
	v_perm_b32 v132, v133, v132, s94
	v_mfma_f32_16x16x16_f16 a[0:3], v[86:87], v[4:5], a[0:3]
	s_nop 7
	v_accvgpr_read_b32 v25, a2
	v_accvgpr_read_b32 v39, a3
	v_cvt_f16_f32_e32 v25, v25
	v_cvt_f16_f32_e32 v39, v39
	v_accvgpr_read_b32 v134, a0
	v_accvgpr_read_b32 v135, a1
	v_cvt_f16_f32_e32 v138, v134
	v_perm_b32 v25, v39, v25, s94
	ds_read_u16 v39, v176 offset:192
	ds_read_u16 v47, v176 offset:720
	;; [unrolled: 1-line block ×4, first 2 shown]
	v_cvt_f16_f32_e32 v139, v135
	s_waitcnt lgkmcnt(0)
	v_perm_b32 v87, v87, v86, s94
	v_perm_b32 v86, v47, v39, s94
	v_cvt_f32_f16_e32 v39, v32
	v_cvt_f32_f16_sdwa v32, v32 dst_sel:DWORD dst_unused:UNUSED_PAD src0_sel:WORD_1
	v_cvt_f32_f16_e32 v47, v1
	v_cvt_f32_f16_sdwa v1, v1 dst_sel:DWORD dst_unused:UNUSED_PAD src0_sel:WORD_1
	v_accvgpr_write_b32 a0, v39
	v_accvgpr_write_b32 a1, v32
	;; [unrolled: 1-line block ×4, first 2 shown]
	v_perm_b32 v138, v139, v138, s94
	s_nop 0
	v_mfma_f32_16x16x16_f16 a[0:3], v[86:87], v[4:5], a[0:3]
	s_nop 7
	v_accvgpr_read_b32 v1, a2
	v_accvgpr_read_b32 v32, a3
	v_cvt_f16_f32_e32 v1, v1
	v_cvt_f16_f32_e32 v32, v32
	v_accvgpr_read_b32 v140, a0
	v_accvgpr_read_b32 v141, a1
	v_accvgpr_write_b32 a3, v88
	v_perm_b32 v32, v32, v1, s94
	ds_read_u16 v1, v176 offset:224
	ds_read_u16 v39, v176 offset:752
	;; [unrolled: 1-line block ×4, first 2 shown]
	v_cvt_f16_f32_e32 v146, v140
	v_cvt_f16_f32_e32 v147, v141
	s_waitcnt lgkmcnt(0)
	v_perm_b32 v87, v86, v47, s94
	v_perm_b32 v86, v39, v1, s94
	v_cvt_f32_f16_e32 v1, v145
	v_cvt_f32_f16_sdwa v39, v145 dst_sel:DWORD dst_unused:UNUSED_PAD src0_sel:WORD_1
	v_cvt_f32_f16_e32 v47, v144
	v_perm_b32 v146, v147, v146, s94
	v_accvgpr_write_b32 a0, v1
	v_accvgpr_write_b32 a1, v39
	;; [unrolled: 1-line block ×3, first 2 shown]
	s_nop 1
	v_mfma_f32_16x16x16_f16 a[0:3], v[86:87], v[4:5], a[0:3]
	s_nop 7
	v_accvgpr_read_b32 v1, a2
	v_accvgpr_read_b32 v39, a3
	v_cvt_f16_f32_e32 v1, v1
	v_cvt_f16_f32_e32 v39, v39
	v_accvgpr_read_b32 v47, a0
	v_accvgpr_read_b32 v86, a1
	v_accvgpr_write_b32 a3, v90
	v_perm_b32 v144, v39, v1, s94
	ds_read_u16 v1, v176 offset:256
	ds_read_u16 v39, v176 offset:784
	;; [unrolled: 1-line block ×4, first 2 shown]
	v_cvt_f32_f16_e32 v90, v136
	v_cvt_f16_f32_e32 v145, v47
	v_cvt_f16_f32_e32 v148, v86
	s_waitcnt lgkmcnt(0)
	v_perm_b32 v89, v88, v87, s94
	v_perm_b32 v88, v39, v1, s94
	v_cvt_f32_f16_e32 v1, v143
	v_cvt_f32_f16_sdwa v39, v143 dst_sel:DWORD dst_unused:UNUSED_PAD src0_sel:WORD_1
	v_cvt_f32_f16_e32 v87, v142
	v_perm_b32 v145, v148, v145, s94
	v_accvgpr_write_b32 a0, v1
	v_accvgpr_write_b32 a1, v39
	;; [unrolled: 1-line block ×3, first 2 shown]
	s_nop 1
	v_mfma_f32_16x16x16_f16 a[0:3], v[88:89], v[4:5], a[0:3]
	s_nop 7
	v_accvgpr_read_b32 v1, a2
	v_accvgpr_read_b32 v39, a3
	v_cvt_f16_f32_e32 v1, v1
	v_cvt_f16_f32_e32 v39, v39
	v_accvgpr_read_b32 v87, a0
	v_accvgpr_read_b32 v143, a1
	v_accvgpr_write_b32 a2, v90
	v_perm_b32 v142, v39, v1, s94
	ds_read_u16 v1, v176 offset:288
	ds_read_u16 v39, v176 offset:816
	;; [unrolled: 1-line block ×4, first 2 shown]
	v_accvgpr_write_b32 a3, v91
	v_cvt_f32_f16_e32 v91, v130
	v_cvt_f16_f32_e32 v149, v87
	v_cvt_f16_f32_e32 v150, v143
	s_waitcnt lgkmcnt(0)
	v_perm_b32 v89, v89, v88, s94
	v_perm_b32 v88, v39, v1, s94
	v_cvt_f32_f16_e32 v1, v137
	v_cvt_f32_f16_sdwa v39, v137 dst_sel:DWORD dst_unused:UNUSED_PAD src0_sel:WORD_1
	v_accvgpr_write_b32 a0, v1
	v_accvgpr_write_b32 a1, v39
	s_nop 1
	v_mfma_f32_16x16x16_f16 a[0:3], v[88:89], v[4:5], a[0:3]
	s_nop 7
	v_accvgpr_read_b32 v1, a2
	v_accvgpr_read_b32 v39, a3
	v_cvt_f16_f32_e32 v1, v1
	v_cvt_f16_f32_e32 v39, v39
	v_accvgpr_read_b32 v136, a0
	v_accvgpr_read_b32 v137, a1
	v_accvgpr_write_b32 a2, v91
	v_perm_b32 v1, v39, v1, s94
	ds_read_u16 v39, v176 offset:320
	ds_read_u16 v88, v176 offset:848
	;; [unrolled: 1-line block ×4, first 2 shown]
	v_accvgpr_write_b32 a3, v92
	v_cvt_f32_f16_e32 v92, v37
	s_waitcnt lgkmcnt(2)
	v_perm_b32 v88, v88, v39, s94
	v_cvt_f32_f16_e32 v39, v131
	s_waitcnt lgkmcnt(0)
	v_perm_b32 v89, v90, v89, s94
	v_cvt_f32_f16_sdwa v90, v131 dst_sel:DWORD dst_unused:UNUSED_PAD src0_sel:WORD_1
	v_cvt_f32_f16_sdwa v37, v37 dst_sel:DWORD dst_unused:UNUSED_PAD src0_sel:WORD_1
	v_accvgpr_write_b32 a0, v39
	v_cvt_f16_f32_e32 v151, v136
	v_accvgpr_write_b32 a1, v90
	v_cvt_f16_f32_e32 v152, v137
	s_nop 0
	v_mfma_f32_16x16x16_f16 a[0:3], v[88:89], v[4:5], a[0:3]
	s_nop 7
	v_accvgpr_read_b32 v39, a2
	v_accvgpr_read_b32 v88, a3
	v_cvt_f16_f32_e32 v39, v39
	v_cvt_f16_f32_e32 v88, v88
	v_accvgpr_read_b32 v130, a0
	v_accvgpr_read_b32 v131, a1
	v_accvgpr_write_b32 a2, v92
	v_perm_b32 v39, v88, v39, s94
	ds_read_u16 v88, v176 offset:352
	ds_read_u16 v90, v176 offset:880
	;; [unrolled: 1-line block ×4, first 2 shown]
	v_accvgpr_write_b32 a3, v37
	v_cvt_f16_f32_e32 v154, v130
	s_waitcnt lgkmcnt(2)
	v_perm_b32 v88, v90, v88, s94
	v_cvt_f32_f16_e32 v90, v128
	s_waitcnt lgkmcnt(0)
	v_perm_b32 v89, v91, v89, s94
	v_cvt_f32_f16_sdwa v91, v128 dst_sel:DWORD dst_unused:UNUSED_PAD src0_sel:WORD_1
	v_cvt_f16_f32_e32 v155, v131
	v_accvgpr_write_b32 a0, v90
	v_accvgpr_write_b32 a1, v91
	s_nop 1
	v_mfma_f32_16x16x16_f16 a[0:3], v[88:89], v[4:5], a[0:3]
	s_nop 7
	v_accvgpr_read_b32 v37, a2
	v_accvgpr_read_b32 v88, a3
	v_cvt_f16_f32_e32 v37, v37
	v_cvt_f16_f32_e32 v88, v88
	v_accvgpr_read_b32 v128, a0
	v_accvgpr_read_b32 v153, a1
	v_cvt_f16_f32_e32 v89, v128
	v_perm_b32 v37, v88, v37, s94
	ds_read_u16 v88, v176 offset:384
	ds_read_u16 v91, v176 offset:912
	;; [unrolled: 1-line block ×4, first 2 shown]
	v_cvt_f16_f32_e32 v90, v153
	s_waitcnt lgkmcnt(0)
	v_perm_b32 v93, v93, v92, s94
	v_perm_b32 v92, v91, v88, s94
	v_cvt_f32_f16_e32 v88, v31
	v_cvt_f32_f16_sdwa v31, v31 dst_sel:DWORD dst_unused:UNUSED_PAD src0_sel:WORD_1
	v_cvt_f32_f16_e32 v91, v30
	v_cvt_f32_f16_sdwa v30, v30 dst_sel:DWORD dst_unused:UNUSED_PAD src0_sel:WORD_1
	v_accvgpr_write_b32 a0, v88
	v_accvgpr_write_b32 a1, v31
	;; [unrolled: 1-line block ×4, first 2 shown]
	v_perm_b32 v89, v90, v89, s94
	v_perm_b32 v90, v155, v154, s94
	v_mfma_f32_16x16x16_f16 a[0:3], v[92:93], v[4:5], a[0:3]
	s_nop 7
	v_accvgpr_read_b32 v30, a2
	v_accvgpr_read_b32 v91, a3
	v_cvt_f16_f32_e32 v30, v30
	v_cvt_f16_f32_e32 v91, v91
	v_accvgpr_read_b32 v31, a0
	v_accvgpr_read_b32 v88, a1
	v_cvt_f16_f32_e32 v93, v31
	v_perm_b32 v30, v91, v30, s94
	ds_read_u16 v91, v176 offset:416
	ds_read_u16 v92, v176 offset:944
	;; [unrolled: 1-line block ×4, first 2 shown]
	v_cvt_f16_f32_e32 v156, v88
	s_waitcnt lgkmcnt(0)
	v_perm_b32 v95, v95, v94, s94
	v_perm_b32 v94, v92, v91, s94
	v_cvt_f32_f16_e32 v91, v24
	v_cvt_f32_f16_sdwa v24, v24 dst_sel:DWORD dst_unused:UNUSED_PAD src0_sel:WORD_1
	v_cvt_f32_f16_e32 v92, v23
	v_cvt_f32_f16_sdwa v23, v23 dst_sel:DWORD dst_unused:UNUSED_PAD src0_sel:WORD_1
	v_accvgpr_write_b32 a0, v91
	v_accvgpr_write_b32 a1, v24
	;; [unrolled: 1-line block ×4, first 2 shown]
	v_perm_b32 v93, v156, v93, s94
	s_nop 0
	v_mfma_f32_16x16x16_f16 a[0:3], v[94:95], v[4:5], a[0:3]
	s_nop 7
	v_accvgpr_read_b32 v23, a2
	v_accvgpr_read_b32 v92, a3
	v_cvt_f16_f32_e32 v23, v23
	v_cvt_f16_f32_e32 v92, v92
	v_accvgpr_read_b32 v24, a0
	v_accvgpr_read_b32 v91, a1
	v_cvt_f16_f32_e32 v94, v24
	v_perm_b32 v23, v92, v23, s94
	ds_read_u16 v92, v176 offset:448
	ds_read_u16 v96, v176 offset:976
	;; [unrolled: 1-line block ×4, first 2 shown]
	v_cvt_f16_f32_e32 v95, v91
	s_waitcnt lgkmcnt(2)
	v_perm_b32 v96, v96, v92, s94
	v_cvt_f32_f16_e32 v92, v17
	s_waitcnt lgkmcnt(0)
	v_perm_b32 v97, v98, v97, s94
	v_cvt_f32_f16_sdwa v17, v17 dst_sel:DWORD dst_unused:UNUSED_PAD src0_sel:WORD_1
	v_cvt_f32_f16_e32 v98, v16
	v_cvt_f32_f16_sdwa v16, v16 dst_sel:DWORD dst_unused:UNUSED_PAD src0_sel:WORD_1
	v_accvgpr_write_b32 a0, v92
	v_accvgpr_write_b32 a1, v17
	;; [unrolled: 1-line block ×4, first 2 shown]
	v_perm_b32 v94, v95, v94, s94
	v_perm_b32 v95, v152, v151, s94
	v_mfma_f32_16x16x16_f16 a[0:3], v[96:97], v[4:5], a[0:3]
	s_nop 7
	v_accvgpr_read_b32 v16, a2
	v_accvgpr_read_b32 v96, a3
	v_cvt_f16_f32_e32 v16, v16
	v_cvt_f16_f32_e32 v96, v96
	v_accvgpr_read_b32 v17, a0
	v_accvgpr_read_b32 v92, a1
	v_cvt_f16_f32_e32 v98, v17
	v_perm_b32 v16, v96, v16, s94
	ds_read_u16 v96, v176 offset:480
	ds_read_u16 v100, v176 offset:1008
	;; [unrolled: 1-line block ×4, first 2 shown]
	v_cvt_f16_f32_e32 v99, v92
	s_waitcnt lgkmcnt(0)
	v_perm_b32 v96, v100, v96, s94
	v_cvt_f32_f16_e32 v100, v9
	v_perm_b32 v97, v101, v97, s94
	v_cvt_f32_f16_sdwa v9, v9 dst_sel:DWORD dst_unused:UNUSED_PAD src0_sel:WORD_1
	v_cvt_f32_f16_e32 v101, v8
	v_cvt_f32_f16_sdwa v8, v8 dst_sel:DWORD dst_unused:UNUSED_PAD src0_sel:WORD_1
	v_accvgpr_write_b32 a0, v100
	v_accvgpr_write_b32 a1, v9
	;; [unrolled: 1-line block ×4, first 2 shown]
	s_barrier
	s_nop 0
	v_mfma_f32_16x16x16_f16 a[0:3], v[96:97], v[4:5], a[0:3]
	s_nop 7
	v_accvgpr_read_b32 v4, a2
	v_accvgpr_read_b32 v97, a3
	v_cvt_f16_f32_e32 v4, v4
	v_cvt_f16_f32_e32 v97, v97
	v_accvgpr_read_b32 v5, a0
	v_accvgpr_read_b32 v8, a1
	v_cvt_f16_f32_e32 v9, v5
	v_perm_b32 v4, v97, v4, s94
	ds_bpermute_b32 v97, v6, v3
	v_cvt_f16_f32_e32 v96, v8
	s_waitcnt lgkmcnt(0)
	v_add_f32_e32 v3, v3, v97
	ds_bpermute_b32 v97, v7, v3
	v_perm_b32 v9, v96, v9, s94
	v_perm_b32 v96, v99, v98, s94
	s_waitcnt lgkmcnt(0)
	v_add_f32_e32 v3, v3, v97
	v_perm_b32 v97, v150, v149, s94
	s_and_saveexec_b64 s[8:9], s[12:13]
	s_cbranch_execz .LBB30_219
; %bb.218:                              ;   in Loop: Header=BB30_12 Depth=1
	v_lshlrev_b32_e32 v9, 2, v84
	v_readfirstlane_b32 s12, v124
	v_readfirstlane_b32 s13, v125
	v_cvt_pk_f16_f32 v19, v14, v15
	v_max_f32_e32 v14, v2, v2
	v_cvt_pk_f16_f32 v20, v21, v22
	v_cvt_pk_f16_f32 v22, v35, v36
	;; [unrolled: 1-line block ×3, first 2 shown]
	global_load_dword v9, v9, s[12:13]
	v_cvt_pk_f16_f32 v31, v31, v88
	v_cvt_pk_f16_f32 v5, v5, v8
	;; [unrolled: 1-line block ×12, first 2 shown]
	s_waitcnt vmcnt(0)
	v_max_f32_e32 v15, v9, v9
	v_max_f32_e32 v14, v14, v15
	v_sub_f32_e32 v2, v2, v14
	v_sub_f32_e32 v9, v9, v14
	v_mul_f32_e32 v15, 0x3fb8aa3b, v2
	v_mul_f32_e32 v26, 0x3fb8aa3b, v9
	v_fma_f32 v33, v2, s63, -v15
	v_rndne_f32_e32 v44, v15
	v_fma_f32 v87, v9, s63, -v26
	v_rndne_f32_e32 v88, v26
	v_fmac_f32_e32 v33, 0x32a5705f, v2
	v_sub_f32_e32 v15, v15, v44
	v_fmac_f32_e32 v87, 0x32a5705f, v9
	v_sub_f32_e32 v26, v26, v88
	v_add_f32_e32 v15, v15, v33
	v_cvt_i32_f32_e32 v44, v44
	v_add_f32_e32 v26, v26, v87
	v_exp_f32_e32 v15, v15
	v_cvt_i32_f32_e32 v88, v88
	v_exp_f32_e32 v26, v26
	v_cmp_ngt_f32_e32 vcc, s90, v2
	v_ldexp_f32 v8, v15, v44
	v_ldexp_f32 v15, v26, v88
	v_cndmask_b32_e32 v8, 0, v8, vcc
	v_cmp_ngt_f32_e32 vcc, s90, v9
	s_nop 1
	v_cndmask_b32_e32 v15, 0, v15, vcc
	v_cmp_nlt_f32_e32 vcc, s91, v2
	s_nop 1
	v_cndmask_b32_e32 v8, v243, v8, vcc
	v_cmp_le_f32_e32 vcc, s93, v2
	s_nop 1
	v_cndmask_b32_e32 v2, 0, v8, vcc
	v_cvt_f16_f32_e32 v8, v2
	v_cmp_nlt_f32_e32 vcc, s91, v9
	s_nop 1
	v_cndmask_b32_e32 v15, v243, v15, vcc
	v_fmac_f32_e32 v15, v3, v2
	v_mul_u32_u24_e32 v2, 0x10001, v8
	v_pk_mul_f16 v19, v19, v2
	v_pk_mul_f16 v10, v10, v2
	;; [unrolled: 1-line block ×32, first 2 shown]
	v_mov_b64_e32 v[2:3], v[14:15]
.LBB30_219:                             ;   in Loop: Header=BB30_12 Depth=1
	s_or_b64 exec, exec, s[8:9]
	s_and_saveexec_b64 s[8:9], s[6:7]
; %bb.220:                              ;   in Loop: Header=BB30_12 Depth=1
	v_add_u32_e32 v5, 0, v183
	ds_write2_b32 v5, v2, v3 offset0:128 offset1:129
; %bb.221:                              ;   in Loop: Header=BB30_12 Depth=1
	s_or_b64 exec, exec, s[8:9]
	s_waitcnt lgkmcnt(0)
	s_barrier
	s_and_saveexec_b64 s[8:9], s[10:11]
	s_xor_b64 s[8:9], exec, s[8:9]
	s_cbranch_execz .LBB30_223
; %bb.222:                              ;   in Loop: Header=BB30_12 Depth=1
	s_barrier
                                        ; implicit-def: $vgpr6
                                        ; implicit-def: $vgpr7
.LBB30_223:                             ;   in Loop: Header=BB30_12 Depth=1
	s_andn2_saveexec_b64 s[8:9], s[8:9]
	s_cbranch_execz .LBB30_225
; %bb.224:                              ;   in Loop: Header=BB30_12 Depth=1
	v_add_u32_e32 v5, 0, v183
	ds_read_b64 v[2:3], v5 offset:512
	s_waitcnt lgkmcnt(0)
	s_barrier
	ds_bpermute_b32 v8, v6, v2
	v_max_f32_e32 v14, v2, v2
	s_waitcnt lgkmcnt(0)
	v_max_f32_e32 v8, v8, v8
	v_max_f32_e32 v8, v14, v8
	ds_bpermute_b32 v14, v7, v8
	s_waitcnt lgkmcnt(0)
	v_max_f32_e32 v14, v14, v14
	v_max_f32_e32 v8, v8, v14
	v_sub_f32_e32 v2, v2, v8
	v_mul_f32_e32 v8, 0x3fb8aa3b, v2
	v_fma_f32 v14, v2, s63, -v8
	v_rndne_f32_e32 v15, v8
	v_fmac_f32_e32 v14, 0x32a5705f, v2
	v_sub_f32_e32 v8, v8, v15
	v_add_f32_e32 v8, v8, v14
	v_cvt_i32_f32_e32 v15, v15
	v_exp_f32_e32 v8, v8
	v_cmp_ngt_f32_e32 vcc, s90, v2
	v_ldexp_f32 v8, v8, v15
	s_nop 0
	v_cndmask_b32_e32 v8, 0, v8, vcc
	v_cmp_nlt_f32_e32 vcc, s91, v2
	s_nop 1
	v_cndmask_b32_e32 v2, v243, v8, vcc
	v_mul_f32_e32 v8, v3, v2
	ds_bpermute_b32 v6, v6, v8
	s_waitcnt lgkmcnt(0)
	v_fmac_f32_e32 v6, v3, v2
	ds_bpermute_b32 v3, v7, v6
	s_waitcnt lgkmcnt(0)
	v_add_f32_e32 v3, v6, v3
	ds_write_b64 v5, v[2:3] offset:512
.LBB30_225:                             ;   in Loop: Header=BB30_12 Depth=1
	s_or_b64 exec, exec, s[8:9]
	v_add_u32_e32 v2, v184, v185
	ds_write2_b32 v2, v19, v10 offset1:1
	ds_write2_b32 v2, v26, v11 offset0:8 offset1:9
	ds_write2_b32 v2, v33, v12 offset0:16 offset1:17
	;; [unrolled: 1-line block ×15, first 2 shown]
	s_waitcnt lgkmcnt(0)
	s_barrier
	s_and_saveexec_b64 s[70:71], s[0:1]
	s_cbranch_execz .LBB30_10
; %bb.226:                              ;   in Loop: Header=BB30_12 Depth=1
	v_add_u32_e32 v2, v221, v215
	v_or_b32_e32 v1, v244, v43
	v_cmp_gt_i32_e32 vcc, s36, v2
	v_cmp_gt_i32_e64 s[8:9], s74, v1
	s_and_b64 s[72:73], vcc, s[8:9]
	v_mov_b32_e32 v1, 0x47
	s_and_saveexec_b64 s[12:13], s[72:73]
	s_cbranch_execz .LBB30_228
; %bb.227:                              ;   in Loop: Header=BB30_12 Depth=1
	ds_read2_b32 v[4:5], v186 offset0:128 offset1:129
	ds_read2st64_b32 v[6:7], v230 offset1:1
	v_mul_lo_u32 v1, v2, s37
	ds_read2st64_b32 v[2:3], v230 offset0:33 offset1:34
	ds_read2st64_b32 v[8:9], v230 offset0:66 offset1:67
	;; [unrolled: 1-line block ×4, first 2 shown]
	ds_read_b32 v16, v186 offset:25856
	s_waitcnt lgkmcnt(4)
	v_cvt_f32_f16_sdwa v19, v2 dst_sel:DWORD dst_unused:UNUSED_PAD src0_sel:WORD_1
	v_cvt_f32_f16_sdwa v13, v6 dst_sel:DWORD dst_unused:UNUSED_PAD src0_sel:WORD_1
	v_cvt_f32_f16_e32 v12, v6
	v_cvt_f32_f16_e32 v18, v2
	s_waitcnt lgkmcnt(3)
	v_cvt_f32_f16_sdwa v21, v8 dst_sel:DWORD dst_unused:UNUSED_PAD src0_sel:WORD_1
	v_cvt_f32_f16_e32 v20, v8
	s_waitcnt lgkmcnt(2)
	v_cvt_f32_f16_sdwa v23, v10 dst_sel:DWORD dst_unused:UNUSED_PAD src0_sel:WORD_1
	v_cvt_f32_f16_e32 v22, v10
	v_pk_fma_f32 v[12:13], v[4:5], v[12:13], 0 op_sel_hi:[0,1,0]
	s_waitcnt lgkmcnt(1)
	v_pk_fma_f32 v[12:13], v[14:15], v[18:19], v[12:13] op_sel_hi:[0,1,1]
	v_mov_b32_e32 v2, v15
	v_pk_fma_f32 v[12:13], v[2:3], v[20:21], v[12:13] op_sel_hi:[0,1,1]
	s_waitcnt lgkmcnt(0)
	v_pk_fma_f32 v[12:13], v[16:17], v[22:23], v[12:13] op_sel_hi:[0,1,1]
	v_add_lshl_u32 v6, v1, v244, 7
	v_div_scale_f32 v1, s[72:73], v5, v5, v13
	v_rcp_f32_e32 v8, v1
	v_add_u32_e32 v18, v40, v6
	v_ashrrev_i32_e32 v19, 31, v18
	v_lshl_add_u64 v[18:19], v[18:19], 3, v[122:123]
	v_fma_f32 v10, -v1, v8, 1.0
	v_fmac_f32_e32 v8, v10, v8
	v_div_scale_f32 v10, vcc, v13, v5, v13
	v_mul_f32_e32 v15, v10, v8
	v_fma_f32 v17, -v1, v15, v10
	v_fmac_f32_e32 v15, v17, v8
	v_fma_f32 v1, -v1, v15, v10
	v_div_scale_f32 v10, s[72:73], v5, v5, v12
	v_rcp_f32_e32 v17, v10
	v_div_fmas_f32 v1, v1, v8, v15
	v_div_fixup_f32 v13, v1, v5, v13
	v_cvt_f32_f16_sdwa v21, v9 dst_sel:DWORD dst_unused:UNUSED_PAD src0_sel:WORD_1
	v_fma_f32 v1, -v10, v17, 1.0
	v_fmac_f32_e32 v17, v1, v17
	v_div_scale_f32 v1, vcc, v12, v5, v12
	v_mul_f32_e32 v8, v1, v17
	v_fma_f32 v15, -v10, v8, v1
	v_fmac_f32_e32 v8, v15, v17
	v_fma_f32 v1, -v10, v8, v1
	v_div_fmas_f32 v1, v1, v17, v8
	v_div_fixup_f32 v12, v1, v5, v12
	global_store_dwordx2 v[18:19], v[12:13], off
	v_cvt_f32_f16_sdwa v13, v7 dst_sel:DWORD dst_unused:UNUSED_PAD src0_sel:WORD_1
	v_cvt_f32_f16_e32 v12, v7
	v_cvt_f32_f16_sdwa v19, v3 dst_sel:DWORD dst_unused:UNUSED_PAD src0_sel:WORD_1
	v_cvt_f32_f16_e32 v18, v3
	v_cvt_f32_f16_e32 v20, v9
	v_cvt_f32_f16_sdwa v9, v11 dst_sel:DWORD dst_unused:UNUSED_PAD src0_sel:WORD_1
	v_cvt_f32_f16_e32 v8, v11
	v_pk_fma_f32 v[10:11], v[4:5], v[12:13], 0 op_sel_hi:[0,1,0]
	v_pk_fma_f32 v[10:11], v[14:15], v[18:19], v[10:11] op_sel_hi:[0,1,1]
	;; [unrolled: 1-line block ×4, first 2 shown]
	v_div_scale_f32 v1, s[72:73], v5, v5, v3
	v_rcp_f32_e32 v4, v1
	v_ashrrev_i32_e32 v7, 31, v6
	v_lshl_add_u64 v[6:7], v[40:41], 0, v[6:7]
	v_lshl_add_u64 v[6:7], v[6:7], 3, v[122:123]
	v_fma_f32 v8, -v1, v4, 1.0
	v_fmac_f32_e32 v4, v8, v4
	v_div_scale_f32 v8, vcc, v3, v5, v3
	v_mul_f32_e32 v9, v8, v4
	v_fma_f32 v10, -v1, v9, v8
	v_fmac_f32_e32 v9, v10, v4
	v_fma_f32 v1, -v1, v9, v8
	v_div_scale_f32 v8, s[72:73], v5, v5, v2
	v_rcp_f32_e32 v10, v8
	v_div_fmas_f32 v1, v1, v4, v9
	v_div_fixup_f32 v3, v1, v5, v3
	v_fma_f32 v1, -v8, v10, 1.0
	v_fmac_f32_e32 v10, v1, v10
	v_div_scale_f32 v1, vcc, v2, v5, v2
	v_mul_f32_e32 v4, v1, v10
	v_fma_f32 v9, -v8, v4, v1
	v_fmac_f32_e32 v4, v9, v10
	v_fma_f32 v1, -v8, v4, v1
	v_div_fmas_f32 v1, v1, v10, v4
	v_div_fixup_f32 v2, v1, v5, v2
	v_mov_b32_e32 v1, 0
	global_store_dwordx2 v[6:7], v[2:3], off offset:512
.LBB30_228:                             ;   in Loop: Header=BB30_12 Depth=1
	s_or_b64 exec, exec, s[12:13]
	v_cmp_gt_i32_e32 vcc, s95, v1
	s_mov_b64 s[12:13], -1
	s_and_saveexec_b64 s[72:73], vcc
; %bb.229:                              ;   in Loop: Header=BB30_12 Depth=1
	v_cmp_eq_u32_e32 vcc, 0, v1
	s_orn2_b64 s[12:13], vcc, exec
; %bb.230:                              ;   in Loop: Header=BB30_12 Depth=1
	s_or_b64 exec, exec, s[72:73]
	s_and_b64 exec, exec, s[12:13]
	s_cbranch_execz .LBB30_10
; %bb.231:                              ;   in Loop: Header=BB30_12 Depth=1
	v_add_u32_e32 v2, v187, v215
	v_or_b32_e32 v1, v188, v43
	v_cmp_gt_i32_e32 vcc, s36, v2
	v_cmp_gt_i32_e64 s[12:13], s74, v1
	s_and_b64 s[72:73], vcc, s[12:13]
	v_mov_b32_e32 v1, 0x47
	s_and_saveexec_b64 s[12:13], s[72:73]
	s_cbranch_execz .LBB30_233
; %bb.232:                              ;   in Loop: Header=BB30_12 Depth=1
	ds_read2_b32 v[4:5], v189 offset0:128 offset1:129
	ds_read2st64_b32 v[6:7], v231 offset1:1
	v_mul_lo_u32 v1, v2, s37
	ds_read2st64_b32 v[2:3], v231 offset0:33 offset1:34
	ds_read2st64_b32 v[8:9], v231 offset0:66 offset1:67
	;; [unrolled: 1-line block ×4, first 2 shown]
	ds_read_b32 v16, v189 offset:25856
	s_waitcnt lgkmcnt(4)
	v_cvt_f32_f16_sdwa v19, v2 dst_sel:DWORD dst_unused:UNUSED_PAD src0_sel:WORD_1
	v_cvt_f32_f16_sdwa v13, v6 dst_sel:DWORD dst_unused:UNUSED_PAD src0_sel:WORD_1
	v_cvt_f32_f16_e32 v12, v6
	v_cvt_f32_f16_e32 v18, v2
	s_waitcnt lgkmcnt(3)
	v_cvt_f32_f16_sdwa v21, v8 dst_sel:DWORD dst_unused:UNUSED_PAD src0_sel:WORD_1
	v_cvt_f32_f16_e32 v20, v8
	s_waitcnt lgkmcnt(2)
	v_cvt_f32_f16_sdwa v23, v10 dst_sel:DWORD dst_unused:UNUSED_PAD src0_sel:WORD_1
	v_cvt_f32_f16_e32 v22, v10
	v_pk_fma_f32 v[12:13], v[4:5], v[12:13], 0 op_sel_hi:[0,1,0]
	s_waitcnt lgkmcnt(1)
	v_pk_fma_f32 v[12:13], v[14:15], v[18:19], v[12:13] op_sel_hi:[0,1,1]
	v_mov_b32_e32 v2, v15
	v_pk_fma_f32 v[12:13], v[2:3], v[20:21], v[12:13] op_sel_hi:[0,1,1]
	s_waitcnt lgkmcnt(0)
	v_pk_fma_f32 v[12:13], v[16:17], v[22:23], v[12:13] op_sel_hi:[0,1,1]
	v_add_lshl_u32 v6, v1, v188, 7
	v_div_scale_f32 v1, s[72:73], v5, v5, v13
	v_rcp_f32_e32 v8, v1
	v_add_u32_e32 v18, v40, v6
	v_ashrrev_i32_e32 v19, 31, v18
	v_lshl_add_u64 v[18:19], v[18:19], 3, v[122:123]
	v_fma_f32 v10, -v1, v8, 1.0
	v_fmac_f32_e32 v8, v10, v8
	v_div_scale_f32 v10, vcc, v13, v5, v13
	v_mul_f32_e32 v15, v10, v8
	v_fma_f32 v17, -v1, v15, v10
	v_fmac_f32_e32 v15, v17, v8
	v_fma_f32 v1, -v1, v15, v10
	v_div_scale_f32 v10, s[72:73], v5, v5, v12
	v_rcp_f32_e32 v17, v10
	v_div_fmas_f32 v1, v1, v8, v15
	v_div_fixup_f32 v13, v1, v5, v13
	v_cvt_f32_f16_sdwa v21, v9 dst_sel:DWORD dst_unused:UNUSED_PAD src0_sel:WORD_1
	v_fma_f32 v1, -v10, v17, 1.0
	v_fmac_f32_e32 v17, v1, v17
	v_div_scale_f32 v1, vcc, v12, v5, v12
	v_mul_f32_e32 v8, v1, v17
	v_fma_f32 v15, -v10, v8, v1
	v_fmac_f32_e32 v8, v15, v17
	v_fma_f32 v1, -v10, v8, v1
	v_div_fmas_f32 v1, v1, v17, v8
	v_div_fixup_f32 v12, v1, v5, v12
	global_store_dwordx2 v[18:19], v[12:13], off
	v_cvt_f32_f16_sdwa v13, v7 dst_sel:DWORD dst_unused:UNUSED_PAD src0_sel:WORD_1
	v_cvt_f32_f16_e32 v12, v7
	v_cvt_f32_f16_sdwa v19, v3 dst_sel:DWORD dst_unused:UNUSED_PAD src0_sel:WORD_1
	v_cvt_f32_f16_e32 v18, v3
	v_cvt_f32_f16_e32 v20, v9
	v_cvt_f32_f16_sdwa v9, v11 dst_sel:DWORD dst_unused:UNUSED_PAD src0_sel:WORD_1
	v_cvt_f32_f16_e32 v8, v11
	v_pk_fma_f32 v[10:11], v[4:5], v[12:13], 0 op_sel_hi:[0,1,0]
	v_pk_fma_f32 v[10:11], v[14:15], v[18:19], v[10:11] op_sel_hi:[0,1,1]
	;; [unrolled: 1-line block ×4, first 2 shown]
	v_div_scale_f32 v1, s[72:73], v5, v5, v3
	v_rcp_f32_e32 v4, v1
	v_ashrrev_i32_e32 v7, 31, v6
	v_lshl_add_u64 v[6:7], v[40:41], 0, v[6:7]
	v_lshl_add_u64 v[6:7], v[6:7], 3, v[122:123]
	v_fma_f32 v8, -v1, v4, 1.0
	v_fmac_f32_e32 v4, v8, v4
	v_div_scale_f32 v8, vcc, v3, v5, v3
	v_mul_f32_e32 v9, v8, v4
	v_fma_f32 v10, -v1, v9, v8
	v_fmac_f32_e32 v9, v10, v4
	v_fma_f32 v1, -v1, v9, v8
	v_div_scale_f32 v8, s[72:73], v5, v5, v2
	v_rcp_f32_e32 v10, v8
	v_div_fmas_f32 v1, v1, v4, v9
	v_div_fixup_f32 v3, v1, v5, v3
	v_fma_f32 v1, -v8, v10, 1.0
	v_fmac_f32_e32 v10, v1, v10
	v_div_scale_f32 v1, vcc, v2, v5, v2
	v_mul_f32_e32 v4, v1, v10
	v_fma_f32 v9, -v8, v4, v1
	v_fmac_f32_e32 v4, v9, v10
	v_fma_f32 v1, -v8, v4, v1
	v_div_fmas_f32 v1, v1, v10, v4
	v_div_fixup_f32 v2, v1, v5, v2
	v_mov_b32_e32 v1, 0
	global_store_dwordx2 v[6:7], v[2:3], off offset:512
.LBB30_233:                             ;   in Loop: Header=BB30_12 Depth=1
	s_or_b64 exec, exec, s[12:13]
	v_cmp_gt_i32_e32 vcc, s95, v1
	s_mov_b64 s[12:13], -1
	s_and_saveexec_b64 s[72:73], vcc
; %bb.234:                              ;   in Loop: Header=BB30_12 Depth=1
	v_cmp_eq_u32_e32 vcc, 0, v1
	s_orn2_b64 s[12:13], vcc, exec
; %bb.235:                              ;   in Loop: Header=BB30_12 Depth=1
	s_or_b64 exec, exec, s[72:73]
	s_and_b64 exec, exec, s[12:13]
	s_cbranch_execz .LBB30_10
; %bb.236:                              ;   in Loop: Header=BB30_12 Depth=1
	v_accvgpr_read_b32 v1, a11
	v_add_u32_e32 v2, v1, v215
	v_accvgpr_read_b32 v1, a12
	v_or_b32_e32 v1, v1, v43
	v_cmp_gt_i32_e32 vcc, s36, v2
	v_cmp_gt_i32_e64 s[12:13], s74, v1
	s_and_b64 s[72:73], vcc, s[12:13]
	v_mov_b32_e32 v1, 0x47
	s_and_saveexec_b64 s[12:13], s[72:73]
	s_cbranch_execz .LBB30_238
; %bb.237:                              ;   in Loop: Header=BB30_12 Depth=1
	v_accvgpr_read_b32 v16, a13
	ds_read2_b32 v[4:5], v16 offset0:128 offset1:129
	ds_read2st64_b32 v[6:7], v232 offset1:1
	v_mul_lo_u32 v1, v2, s37
	ds_read2st64_b32 v[2:3], v232 offset0:33 offset1:34
	ds_read2st64_b32 v[8:9], v232 offset0:66 offset1:67
	;; [unrolled: 1-line block ×4, first 2 shown]
	ds_read_b32 v16, v16 offset:25856
	s_waitcnt lgkmcnt(4)
	v_cvt_f32_f16_sdwa v19, v2 dst_sel:DWORD dst_unused:UNUSED_PAD src0_sel:WORD_1
	v_cvt_f32_f16_sdwa v13, v6 dst_sel:DWORD dst_unused:UNUSED_PAD src0_sel:WORD_1
	v_cvt_f32_f16_e32 v12, v6
	v_cvt_f32_f16_e32 v18, v2
	s_waitcnt lgkmcnt(3)
	v_cvt_f32_f16_sdwa v21, v8 dst_sel:DWORD dst_unused:UNUSED_PAD src0_sel:WORD_1
	v_cvt_f32_f16_e32 v20, v8
	s_waitcnt lgkmcnt(2)
	v_cvt_f32_f16_sdwa v23, v10 dst_sel:DWORD dst_unused:UNUSED_PAD src0_sel:WORD_1
	v_cvt_f32_f16_e32 v22, v10
	v_pk_fma_f32 v[12:13], v[4:5], v[12:13], 0 op_sel_hi:[0,1,0]
	s_waitcnt lgkmcnt(1)
	v_pk_fma_f32 v[12:13], v[14:15], v[18:19], v[12:13] op_sel_hi:[0,1,1]
	v_mov_b32_e32 v2, v15
	v_pk_fma_f32 v[12:13], v[2:3], v[20:21], v[12:13] op_sel_hi:[0,1,1]
	v_accvgpr_read_b32 v6, a12
	s_waitcnt lgkmcnt(0)
	v_pk_fma_f32 v[12:13], v[16:17], v[22:23], v[12:13] op_sel_hi:[0,1,1]
	v_add_lshl_u32 v6, v1, v6, 7
	v_div_scale_f32 v1, s[72:73], v5, v5, v13
	v_rcp_f32_e32 v8, v1
	v_add_u32_e32 v18, v40, v6
	v_ashrrev_i32_e32 v19, 31, v18
	v_lshl_add_u64 v[18:19], v[18:19], 3, v[122:123]
	v_fma_f32 v10, -v1, v8, 1.0
	v_fmac_f32_e32 v8, v10, v8
	v_div_scale_f32 v10, vcc, v13, v5, v13
	v_mul_f32_e32 v15, v10, v8
	v_fma_f32 v17, -v1, v15, v10
	v_fmac_f32_e32 v15, v17, v8
	v_fma_f32 v1, -v1, v15, v10
	v_div_scale_f32 v10, s[72:73], v5, v5, v12
	v_rcp_f32_e32 v17, v10
	v_div_fmas_f32 v1, v1, v8, v15
	v_div_fixup_f32 v13, v1, v5, v13
	v_cvt_f32_f16_sdwa v21, v9 dst_sel:DWORD dst_unused:UNUSED_PAD src0_sel:WORD_1
	v_fma_f32 v1, -v10, v17, 1.0
	v_fmac_f32_e32 v17, v1, v17
	v_div_scale_f32 v1, vcc, v12, v5, v12
	v_mul_f32_e32 v8, v1, v17
	v_fma_f32 v15, -v10, v8, v1
	v_fmac_f32_e32 v8, v15, v17
	v_fma_f32 v1, -v10, v8, v1
	v_div_fmas_f32 v1, v1, v17, v8
	v_div_fixup_f32 v12, v1, v5, v12
	global_store_dwordx2 v[18:19], v[12:13], off
	v_cvt_f32_f16_sdwa v13, v7 dst_sel:DWORD dst_unused:UNUSED_PAD src0_sel:WORD_1
	v_cvt_f32_f16_e32 v12, v7
	v_cvt_f32_f16_sdwa v19, v3 dst_sel:DWORD dst_unused:UNUSED_PAD src0_sel:WORD_1
	v_cvt_f32_f16_e32 v18, v3
	v_cvt_f32_f16_e32 v20, v9
	v_cvt_f32_f16_sdwa v9, v11 dst_sel:DWORD dst_unused:UNUSED_PAD src0_sel:WORD_1
	v_cvt_f32_f16_e32 v8, v11
	v_pk_fma_f32 v[10:11], v[4:5], v[12:13], 0 op_sel_hi:[0,1,0]
	v_pk_fma_f32 v[10:11], v[14:15], v[18:19], v[10:11] op_sel_hi:[0,1,1]
	;; [unrolled: 1-line block ×4, first 2 shown]
	v_div_scale_f32 v1, s[72:73], v5, v5, v3
	v_rcp_f32_e32 v4, v1
	v_ashrrev_i32_e32 v7, 31, v6
	v_lshl_add_u64 v[6:7], v[40:41], 0, v[6:7]
	v_lshl_add_u64 v[6:7], v[6:7], 3, v[122:123]
	v_fma_f32 v8, -v1, v4, 1.0
	v_fmac_f32_e32 v4, v8, v4
	v_div_scale_f32 v8, vcc, v3, v5, v3
	v_mul_f32_e32 v9, v8, v4
	v_fma_f32 v10, -v1, v9, v8
	v_fmac_f32_e32 v9, v10, v4
	v_fma_f32 v1, -v1, v9, v8
	v_div_scale_f32 v8, s[72:73], v5, v5, v2
	v_rcp_f32_e32 v10, v8
	v_div_fmas_f32 v1, v1, v4, v9
	v_div_fixup_f32 v3, v1, v5, v3
	v_fma_f32 v1, -v8, v10, 1.0
	v_fmac_f32_e32 v10, v1, v10
	v_div_scale_f32 v1, vcc, v2, v5, v2
	v_mul_f32_e32 v4, v1, v10
	v_fma_f32 v9, -v8, v4, v1
	v_fmac_f32_e32 v4, v9, v10
	v_fma_f32 v1, -v8, v4, v1
	v_div_fmas_f32 v1, v1, v10, v4
	v_div_fixup_f32 v2, v1, v5, v2
	v_mov_b32_e32 v1, 0
	global_store_dwordx2 v[6:7], v[2:3], off offset:512
.LBB30_238:                             ;   in Loop: Header=BB30_12 Depth=1
	s_or_b64 exec, exec, s[12:13]
	v_cmp_gt_i32_e32 vcc, s95, v1
	s_mov_b64 s[12:13], -1
	s_and_saveexec_b64 s[72:73], vcc
; %bb.239:                              ;   in Loop: Header=BB30_12 Depth=1
	v_cmp_eq_u32_e32 vcc, 0, v1
	s_orn2_b64 s[12:13], vcc, exec
; %bb.240:                              ;   in Loop: Header=BB30_12 Depth=1
	s_or_b64 exec, exec, s[72:73]
	s_and_b64 exec, exec, s[12:13]
	s_cbranch_execz .LBB30_10
; %bb.241:                              ;   in Loop: Header=BB30_12 Depth=1
	v_accvgpr_read_b32 v1, a14
	v_add_u32_e32 v2, v1, v215
	v_accvgpr_read_b32 v1, a15
	v_or_b32_e32 v1, v1, v43
	v_cmp_gt_i32_e32 vcc, s36, v2
	v_cmp_gt_i32_e64 s[12:13], s74, v1
	s_and_b64 s[72:73], vcc, s[12:13]
	v_mov_b32_e32 v1, 0x47
	s_and_saveexec_b64 s[12:13], s[72:73]
	s_cbranch_execz .LBB30_243
; %bb.242:                              ;   in Loop: Header=BB30_12 Depth=1
	v_accvgpr_read_b32 v10, a50
	ds_read2st64_b32 v[6:7], v10 offset1:1
	v_accvgpr_read_b32 v16, a16
	ds_read2_b32 v[4:5], v16 offset0:128 offset1:129
	v_mul_lo_u32 v1, v2, s37
	ds_read2st64_b32 v[2:3], v10 offset0:33 offset1:34
	ds_read2st64_b32 v[8:9], v10 offset0:66 offset1:67
	;; [unrolled: 1-line block ×3, first 2 shown]
	s_waitcnt lgkmcnt(4)
	v_cvt_f32_f16_sdwa v13, v6 dst_sel:DWORD dst_unused:UNUSED_PAD src0_sel:WORD_1
	v_cvt_f32_f16_e32 v12, v6
	ds_read2st64_b32 v[14:15], v16 offset0:35 offset1:68
	ds_read_b32 v16, v16 offset:25856
	s_waitcnt lgkmcnt(4)
	v_cvt_f32_f16_sdwa v19, v2 dst_sel:DWORD dst_unused:UNUSED_PAD src0_sel:WORD_1
	v_cvt_f32_f16_e32 v18, v2
	s_waitcnt lgkmcnt(3)
	v_cvt_f32_f16_sdwa v21, v8 dst_sel:DWORD dst_unused:UNUSED_PAD src0_sel:WORD_1
	v_cvt_f32_f16_e32 v20, v8
	;; [unrolled: 3-line block ×3, first 2 shown]
	v_pk_fma_f32 v[12:13], v[4:5], v[12:13], 0 op_sel_hi:[0,1,0]
	s_waitcnt lgkmcnt(1)
	v_pk_fma_f32 v[12:13], v[14:15], v[18:19], v[12:13] op_sel_hi:[0,1,1]
	v_mov_b32_e32 v2, v15
	v_pk_fma_f32 v[12:13], v[2:3], v[20:21], v[12:13] op_sel_hi:[0,1,1]
	v_accvgpr_read_b32 v6, a15
	s_waitcnt lgkmcnt(0)
	v_pk_fma_f32 v[12:13], v[16:17], v[22:23], v[12:13] op_sel_hi:[0,1,1]
	v_add_lshl_u32 v6, v1, v6, 7
	v_div_scale_f32 v1, s[72:73], v5, v5, v13
	v_rcp_f32_e32 v8, v1
	v_add_u32_e32 v18, v40, v6
	v_ashrrev_i32_e32 v19, 31, v18
	v_lshl_add_u64 v[18:19], v[18:19], 3, v[122:123]
	v_fma_f32 v10, -v1, v8, 1.0
	v_fmac_f32_e32 v8, v10, v8
	v_div_scale_f32 v10, vcc, v13, v5, v13
	v_mul_f32_e32 v15, v10, v8
	v_fma_f32 v17, -v1, v15, v10
	v_fmac_f32_e32 v15, v17, v8
	v_fma_f32 v1, -v1, v15, v10
	v_div_scale_f32 v10, s[72:73], v5, v5, v12
	v_rcp_f32_e32 v17, v10
	v_div_fmas_f32 v1, v1, v8, v15
	v_div_fixup_f32 v13, v1, v5, v13
	v_cvt_f32_f16_sdwa v21, v9 dst_sel:DWORD dst_unused:UNUSED_PAD src0_sel:WORD_1
	v_fma_f32 v1, -v10, v17, 1.0
	v_fmac_f32_e32 v17, v1, v17
	v_div_scale_f32 v1, vcc, v12, v5, v12
	v_mul_f32_e32 v8, v1, v17
	v_fma_f32 v15, -v10, v8, v1
	v_fmac_f32_e32 v8, v15, v17
	v_fma_f32 v1, -v10, v8, v1
	v_div_fmas_f32 v1, v1, v17, v8
	v_div_fixup_f32 v12, v1, v5, v12
	global_store_dwordx2 v[18:19], v[12:13], off
	v_cvt_f32_f16_sdwa v13, v7 dst_sel:DWORD dst_unused:UNUSED_PAD src0_sel:WORD_1
	v_cvt_f32_f16_e32 v12, v7
	v_cvt_f32_f16_sdwa v19, v3 dst_sel:DWORD dst_unused:UNUSED_PAD src0_sel:WORD_1
	v_cvt_f32_f16_e32 v18, v3
	v_cvt_f32_f16_e32 v20, v9
	v_cvt_f32_f16_sdwa v9, v11 dst_sel:DWORD dst_unused:UNUSED_PAD src0_sel:WORD_1
	v_cvt_f32_f16_e32 v8, v11
	v_pk_fma_f32 v[10:11], v[4:5], v[12:13], 0 op_sel_hi:[0,1,0]
	v_pk_fma_f32 v[10:11], v[14:15], v[18:19], v[10:11] op_sel_hi:[0,1,1]
	;; [unrolled: 1-line block ×4, first 2 shown]
	v_div_scale_f32 v1, s[72:73], v5, v5, v3
	v_rcp_f32_e32 v4, v1
	v_ashrrev_i32_e32 v7, 31, v6
	v_lshl_add_u64 v[6:7], v[40:41], 0, v[6:7]
	v_lshl_add_u64 v[6:7], v[6:7], 3, v[122:123]
	v_fma_f32 v8, -v1, v4, 1.0
	v_fmac_f32_e32 v4, v8, v4
	v_div_scale_f32 v8, vcc, v3, v5, v3
	v_mul_f32_e32 v9, v8, v4
	v_fma_f32 v10, -v1, v9, v8
	v_fmac_f32_e32 v9, v10, v4
	v_fma_f32 v1, -v1, v9, v8
	v_div_scale_f32 v8, s[72:73], v5, v5, v2
	v_rcp_f32_e32 v10, v8
	v_div_fmas_f32 v1, v1, v4, v9
	v_div_fixup_f32 v3, v1, v5, v3
	v_fma_f32 v1, -v8, v10, 1.0
	v_fmac_f32_e32 v10, v1, v10
	v_div_scale_f32 v1, vcc, v2, v5, v2
	v_mul_f32_e32 v4, v1, v10
	v_fma_f32 v9, -v8, v4, v1
	v_fmac_f32_e32 v4, v9, v10
	v_fma_f32 v1, -v8, v4, v1
	v_div_fmas_f32 v1, v1, v10, v4
	v_div_fixup_f32 v2, v1, v5, v2
	v_mov_b32_e32 v1, 0
	global_store_dwordx2 v[6:7], v[2:3], off offset:512
.LBB30_243:                             ;   in Loop: Header=BB30_12 Depth=1
	s_or_b64 exec, exec, s[12:13]
	v_cmp_gt_i32_e32 vcc, s95, v1
	s_mov_b64 s[12:13], -1
	s_and_saveexec_b64 s[72:73], vcc
; %bb.244:                              ;   in Loop: Header=BB30_12 Depth=1
	v_cmp_eq_u32_e32 vcc, 0, v1
	s_orn2_b64 s[12:13], vcc, exec
; %bb.245:                              ;   in Loop: Header=BB30_12 Depth=1
	s_or_b64 exec, exec, s[72:73]
	s_and_b64 exec, exec, s[12:13]
	s_cbranch_execz .LBB30_10
; %bb.246:                              ;   in Loop: Header=BB30_12 Depth=1
	v_accvgpr_read_b32 v1, a17
	v_add_u32_e32 v2, v1, v215
	v_cmp_gt_i32_e32 vcc, s36, v2
	s_and_b64 s[72:73], vcc, s[8:9]
	v_mov_b32_e32 v1, 0x47
	s_and_saveexec_b64 s[12:13], s[72:73]
	s_cbranch_execz .LBB30_248
; %bb.247:                              ;   in Loop: Header=BB30_12 Depth=1
	v_accvgpr_read_b32 v10, a51
	ds_read2st64_b32 v[6:7], v10 offset1:1
	v_accvgpr_read_b32 v16, a18
	ds_read2_b32 v[4:5], v16 offset0:128 offset1:129
	v_mul_lo_u32 v1, v2, s37
	ds_read2st64_b32 v[2:3], v10 offset0:33 offset1:34
	ds_read2st64_b32 v[8:9], v10 offset0:66 offset1:67
	;; [unrolled: 1-line block ×3, first 2 shown]
	s_waitcnt lgkmcnt(4)
	v_cvt_f32_f16_sdwa v13, v6 dst_sel:DWORD dst_unused:UNUSED_PAD src0_sel:WORD_1
	v_cvt_f32_f16_e32 v12, v6
	ds_read2st64_b32 v[14:15], v16 offset0:35 offset1:68
	ds_read_b32 v16, v16 offset:25856
	s_waitcnt lgkmcnt(4)
	v_cvt_f32_f16_sdwa v19, v2 dst_sel:DWORD dst_unused:UNUSED_PAD src0_sel:WORD_1
	v_cvt_f32_f16_e32 v18, v2
	s_waitcnt lgkmcnt(3)
	v_cvt_f32_f16_sdwa v21, v8 dst_sel:DWORD dst_unused:UNUSED_PAD src0_sel:WORD_1
	v_cvt_f32_f16_e32 v20, v8
	;; [unrolled: 3-line block ×3, first 2 shown]
	v_pk_fma_f32 v[12:13], v[4:5], v[12:13], 0 op_sel_hi:[0,1,0]
	s_waitcnt lgkmcnt(1)
	v_pk_fma_f32 v[12:13], v[14:15], v[18:19], v[12:13] op_sel_hi:[0,1,1]
	v_mov_b32_e32 v2, v15
	v_pk_fma_f32 v[12:13], v[2:3], v[20:21], v[12:13] op_sel_hi:[0,1,1]
	s_waitcnt lgkmcnt(0)
	v_pk_fma_f32 v[12:13], v[16:17], v[22:23], v[12:13] op_sel_hi:[0,1,1]
	v_add_lshl_u32 v6, v1, v244, 7
	v_div_scale_f32 v1, s[72:73], v5, v5, v13
	v_rcp_f32_e32 v8, v1
	v_add_u32_e32 v18, v40, v6
	v_ashrrev_i32_e32 v19, 31, v18
	v_lshl_add_u64 v[18:19], v[18:19], 3, v[122:123]
	v_fma_f32 v10, -v1, v8, 1.0
	v_fmac_f32_e32 v8, v10, v8
	v_div_scale_f32 v10, vcc, v13, v5, v13
	v_mul_f32_e32 v15, v10, v8
	v_fma_f32 v17, -v1, v15, v10
	v_fmac_f32_e32 v15, v17, v8
	v_fma_f32 v1, -v1, v15, v10
	v_div_scale_f32 v10, s[72:73], v5, v5, v12
	v_rcp_f32_e32 v17, v10
	v_div_fmas_f32 v1, v1, v8, v15
	v_div_fixup_f32 v13, v1, v5, v13
	v_cvt_f32_f16_sdwa v21, v9 dst_sel:DWORD dst_unused:UNUSED_PAD src0_sel:WORD_1
	v_fma_f32 v1, -v10, v17, 1.0
	v_fmac_f32_e32 v17, v1, v17
	v_div_scale_f32 v1, vcc, v12, v5, v12
	v_mul_f32_e32 v8, v1, v17
	v_fma_f32 v15, -v10, v8, v1
	v_fmac_f32_e32 v8, v15, v17
	v_fma_f32 v1, -v10, v8, v1
	v_div_fmas_f32 v1, v1, v17, v8
	v_div_fixup_f32 v12, v1, v5, v12
	global_store_dwordx2 v[18:19], v[12:13], off
	v_cvt_f32_f16_sdwa v13, v7 dst_sel:DWORD dst_unused:UNUSED_PAD src0_sel:WORD_1
	v_cvt_f32_f16_e32 v12, v7
	v_cvt_f32_f16_sdwa v19, v3 dst_sel:DWORD dst_unused:UNUSED_PAD src0_sel:WORD_1
	v_cvt_f32_f16_e32 v18, v3
	v_cvt_f32_f16_e32 v20, v9
	v_cvt_f32_f16_sdwa v9, v11 dst_sel:DWORD dst_unused:UNUSED_PAD src0_sel:WORD_1
	v_cvt_f32_f16_e32 v8, v11
	v_pk_fma_f32 v[10:11], v[4:5], v[12:13], 0 op_sel_hi:[0,1,0]
	v_pk_fma_f32 v[10:11], v[14:15], v[18:19], v[10:11] op_sel_hi:[0,1,1]
	;; [unrolled: 1-line block ×4, first 2 shown]
	v_div_scale_f32 v1, s[72:73], v5, v5, v3
	v_rcp_f32_e32 v4, v1
	v_ashrrev_i32_e32 v7, 31, v6
	v_lshl_add_u64 v[6:7], v[40:41], 0, v[6:7]
	v_lshl_add_u64 v[6:7], v[6:7], 3, v[122:123]
	v_fma_f32 v8, -v1, v4, 1.0
	v_fmac_f32_e32 v4, v8, v4
	v_div_scale_f32 v8, vcc, v3, v5, v3
	v_mul_f32_e32 v9, v8, v4
	v_fma_f32 v10, -v1, v9, v8
	v_fmac_f32_e32 v9, v10, v4
	v_fma_f32 v1, -v1, v9, v8
	v_div_scale_f32 v8, s[72:73], v5, v5, v2
	v_rcp_f32_e32 v10, v8
	v_div_fmas_f32 v1, v1, v4, v9
	v_div_fixup_f32 v3, v1, v5, v3
	v_fma_f32 v1, -v8, v10, 1.0
	v_fmac_f32_e32 v10, v1, v10
	v_div_scale_f32 v1, vcc, v2, v5, v2
	v_mul_f32_e32 v4, v1, v10
	v_fma_f32 v9, -v8, v4, v1
	v_fmac_f32_e32 v4, v9, v10
	v_fma_f32 v1, -v8, v4, v1
	v_div_fmas_f32 v1, v1, v10, v4
	v_div_fixup_f32 v2, v1, v5, v2
	v_mov_b32_e32 v1, 0
	global_store_dwordx2 v[6:7], v[2:3], off offset:512
.LBB30_248:                             ;   in Loop: Header=BB30_12 Depth=1
	s_or_b64 exec, exec, s[12:13]
	v_cmp_gt_i32_e32 vcc, s95, v1
	s_mov_b64 s[12:13], -1
	s_and_saveexec_b64 s[72:73], vcc
; %bb.249:                              ;   in Loop: Header=BB30_12 Depth=1
	v_cmp_eq_u32_e32 vcc, 0, v1
	s_orn2_b64 s[12:13], vcc, exec
; %bb.250:                              ;   in Loop: Header=BB30_12 Depth=1
	s_or_b64 exec, exec, s[72:73]
	s_and_b64 exec, exec, s[12:13]
	s_cbranch_execz .LBB30_10
; %bb.251:                              ;   in Loop: Header=BB30_12 Depth=1
	v_accvgpr_read_b32 v1, a19
	v_add_u32_e32 v2, v1, v215
	v_accvgpr_read_b32 v1, a20
	v_or_b32_e32 v1, v1, v43
	v_cmp_gt_i32_e32 vcc, s36, v2
	v_cmp_gt_i32_e64 s[12:13], s74, v1
	s_and_b64 s[72:73], vcc, s[12:13]
	v_mov_b32_e32 v1, 0x47
	s_and_saveexec_b64 s[12:13], s[72:73]
	s_cbranch_execz .LBB30_253
; %bb.252:                              ;   in Loop: Header=BB30_12 Depth=1
	v_accvgpr_read_b32 v10, a52
	ds_read2st64_b32 v[6:7], v10 offset1:1
	v_accvgpr_read_b32 v16, a21
	ds_read2_b32 v[4:5], v16 offset0:128 offset1:129
	v_mul_lo_u32 v1, v2, s37
	ds_read2st64_b32 v[2:3], v10 offset0:33 offset1:34
	ds_read2st64_b32 v[8:9], v10 offset0:66 offset1:67
	;; [unrolled: 1-line block ×3, first 2 shown]
	s_waitcnt lgkmcnt(4)
	v_cvt_f32_f16_sdwa v13, v6 dst_sel:DWORD dst_unused:UNUSED_PAD src0_sel:WORD_1
	v_cvt_f32_f16_e32 v12, v6
	ds_read2st64_b32 v[14:15], v16 offset0:35 offset1:68
	ds_read_b32 v16, v16 offset:25856
	s_waitcnt lgkmcnt(4)
	v_cvt_f32_f16_sdwa v19, v2 dst_sel:DWORD dst_unused:UNUSED_PAD src0_sel:WORD_1
	v_cvt_f32_f16_e32 v18, v2
	s_waitcnt lgkmcnt(3)
	v_cvt_f32_f16_sdwa v21, v8 dst_sel:DWORD dst_unused:UNUSED_PAD src0_sel:WORD_1
	v_cvt_f32_f16_e32 v20, v8
	;; [unrolled: 3-line block ×3, first 2 shown]
	v_pk_fma_f32 v[12:13], v[4:5], v[12:13], 0 op_sel_hi:[0,1,0]
	s_waitcnt lgkmcnt(1)
	v_pk_fma_f32 v[12:13], v[14:15], v[18:19], v[12:13] op_sel_hi:[0,1,1]
	v_mov_b32_e32 v2, v15
	v_pk_fma_f32 v[12:13], v[2:3], v[20:21], v[12:13] op_sel_hi:[0,1,1]
	v_accvgpr_read_b32 v6, a20
	s_waitcnt lgkmcnt(0)
	v_pk_fma_f32 v[12:13], v[16:17], v[22:23], v[12:13] op_sel_hi:[0,1,1]
	v_add_lshl_u32 v6, v1, v6, 7
	v_div_scale_f32 v1, s[72:73], v5, v5, v13
	v_rcp_f32_e32 v8, v1
	v_add_u32_e32 v18, v40, v6
	v_ashrrev_i32_e32 v19, 31, v18
	v_lshl_add_u64 v[18:19], v[18:19], 3, v[122:123]
	v_fma_f32 v10, -v1, v8, 1.0
	v_fmac_f32_e32 v8, v10, v8
	v_div_scale_f32 v10, vcc, v13, v5, v13
	v_mul_f32_e32 v15, v10, v8
	v_fma_f32 v17, -v1, v15, v10
	v_fmac_f32_e32 v15, v17, v8
	v_fma_f32 v1, -v1, v15, v10
	v_div_scale_f32 v10, s[72:73], v5, v5, v12
	v_rcp_f32_e32 v17, v10
	v_div_fmas_f32 v1, v1, v8, v15
	v_div_fixup_f32 v13, v1, v5, v13
	v_cvt_f32_f16_sdwa v21, v9 dst_sel:DWORD dst_unused:UNUSED_PAD src0_sel:WORD_1
	v_fma_f32 v1, -v10, v17, 1.0
	v_fmac_f32_e32 v17, v1, v17
	v_div_scale_f32 v1, vcc, v12, v5, v12
	v_mul_f32_e32 v8, v1, v17
	v_fma_f32 v15, -v10, v8, v1
	v_fmac_f32_e32 v8, v15, v17
	v_fma_f32 v1, -v10, v8, v1
	v_div_fmas_f32 v1, v1, v17, v8
	v_div_fixup_f32 v12, v1, v5, v12
	global_store_dwordx2 v[18:19], v[12:13], off
	v_cvt_f32_f16_sdwa v13, v7 dst_sel:DWORD dst_unused:UNUSED_PAD src0_sel:WORD_1
	v_cvt_f32_f16_e32 v12, v7
	v_cvt_f32_f16_sdwa v19, v3 dst_sel:DWORD dst_unused:UNUSED_PAD src0_sel:WORD_1
	v_cvt_f32_f16_e32 v18, v3
	v_cvt_f32_f16_e32 v20, v9
	v_cvt_f32_f16_sdwa v9, v11 dst_sel:DWORD dst_unused:UNUSED_PAD src0_sel:WORD_1
	v_cvt_f32_f16_e32 v8, v11
	v_pk_fma_f32 v[10:11], v[4:5], v[12:13], 0 op_sel_hi:[0,1,0]
	v_pk_fma_f32 v[10:11], v[14:15], v[18:19], v[10:11] op_sel_hi:[0,1,1]
	;; [unrolled: 1-line block ×4, first 2 shown]
	v_div_scale_f32 v1, s[72:73], v5, v5, v3
	v_rcp_f32_e32 v4, v1
	v_ashrrev_i32_e32 v7, 31, v6
	v_lshl_add_u64 v[6:7], v[40:41], 0, v[6:7]
	v_lshl_add_u64 v[6:7], v[6:7], 3, v[122:123]
	v_fma_f32 v8, -v1, v4, 1.0
	v_fmac_f32_e32 v4, v8, v4
	v_div_scale_f32 v8, vcc, v3, v5, v3
	v_mul_f32_e32 v9, v8, v4
	v_fma_f32 v10, -v1, v9, v8
	v_fmac_f32_e32 v9, v10, v4
	v_fma_f32 v1, -v1, v9, v8
	v_div_scale_f32 v8, s[72:73], v5, v5, v2
	v_rcp_f32_e32 v10, v8
	v_div_fmas_f32 v1, v1, v4, v9
	v_div_fixup_f32 v3, v1, v5, v3
	v_fma_f32 v1, -v8, v10, 1.0
	v_fmac_f32_e32 v10, v1, v10
	v_div_scale_f32 v1, vcc, v2, v5, v2
	v_mul_f32_e32 v4, v1, v10
	v_fma_f32 v9, -v8, v4, v1
	v_fmac_f32_e32 v4, v9, v10
	v_fma_f32 v1, -v8, v4, v1
	v_div_fmas_f32 v1, v1, v10, v4
	v_div_fixup_f32 v2, v1, v5, v2
	v_mov_b32_e32 v1, 0
	global_store_dwordx2 v[6:7], v[2:3], off offset:512
.LBB30_253:                             ;   in Loop: Header=BB30_12 Depth=1
	s_or_b64 exec, exec, s[12:13]
	v_cmp_gt_i32_e32 vcc, s95, v1
	s_mov_b64 s[12:13], -1
	s_and_saveexec_b64 s[72:73], vcc
; %bb.254:                              ;   in Loop: Header=BB30_12 Depth=1
	v_cmp_eq_u32_e32 vcc, 0, v1
	s_orn2_b64 s[12:13], vcc, exec
; %bb.255:                              ;   in Loop: Header=BB30_12 Depth=1
	s_or_b64 exec, exec, s[72:73]
	s_and_b64 exec, exec, s[12:13]
	s_cbranch_execz .LBB30_10
; %bb.256:                              ;   in Loop: Header=BB30_12 Depth=1
	v_accvgpr_read_b32 v1, a22
	v_add_u32_e32 v2, v1, v215
	v_accvgpr_read_b32 v1, a23
	v_or_b32_e32 v1, v1, v43
	v_cmp_gt_i32_e32 vcc, s36, v2
	v_cmp_gt_i32_e64 s[12:13], s74, v1
	s_and_b64 s[72:73], vcc, s[12:13]
	v_mov_b32_e32 v1, 0x47
	s_and_saveexec_b64 s[12:13], s[72:73]
	s_cbranch_execz .LBB30_258
; %bb.257:                              ;   in Loop: Header=BB30_12 Depth=1
	v_accvgpr_read_b32 v10, a53
	ds_read2st64_b32 v[6:7], v10 offset1:1
	v_accvgpr_read_b32 v16, a24
	ds_read2_b32 v[4:5], v16 offset0:128 offset1:129
	v_mul_lo_u32 v1, v2, s37
	ds_read2st64_b32 v[2:3], v10 offset0:33 offset1:34
	ds_read2st64_b32 v[8:9], v10 offset0:66 offset1:67
	;; [unrolled: 1-line block ×3, first 2 shown]
	s_waitcnt lgkmcnt(4)
	v_cvt_f32_f16_sdwa v13, v6 dst_sel:DWORD dst_unused:UNUSED_PAD src0_sel:WORD_1
	v_cvt_f32_f16_e32 v12, v6
	ds_read2st64_b32 v[14:15], v16 offset0:35 offset1:68
	ds_read_b32 v16, v16 offset:25856
	s_waitcnt lgkmcnt(4)
	v_cvt_f32_f16_sdwa v19, v2 dst_sel:DWORD dst_unused:UNUSED_PAD src0_sel:WORD_1
	v_cvt_f32_f16_e32 v18, v2
	s_waitcnt lgkmcnt(3)
	v_cvt_f32_f16_sdwa v21, v8 dst_sel:DWORD dst_unused:UNUSED_PAD src0_sel:WORD_1
	v_cvt_f32_f16_e32 v20, v8
	;; [unrolled: 3-line block ×3, first 2 shown]
	v_pk_fma_f32 v[12:13], v[4:5], v[12:13], 0 op_sel_hi:[0,1,0]
	s_waitcnt lgkmcnt(1)
	v_pk_fma_f32 v[12:13], v[14:15], v[18:19], v[12:13] op_sel_hi:[0,1,1]
	v_mov_b32_e32 v2, v15
	v_pk_fma_f32 v[12:13], v[2:3], v[20:21], v[12:13] op_sel_hi:[0,1,1]
	v_accvgpr_read_b32 v6, a23
	s_waitcnt lgkmcnt(0)
	v_pk_fma_f32 v[12:13], v[16:17], v[22:23], v[12:13] op_sel_hi:[0,1,1]
	v_add_lshl_u32 v6, v1, v6, 7
	v_div_scale_f32 v1, s[72:73], v5, v5, v13
	v_rcp_f32_e32 v8, v1
	v_add_u32_e32 v18, v40, v6
	v_ashrrev_i32_e32 v19, 31, v18
	v_lshl_add_u64 v[18:19], v[18:19], 3, v[122:123]
	v_fma_f32 v10, -v1, v8, 1.0
	v_fmac_f32_e32 v8, v10, v8
	v_div_scale_f32 v10, vcc, v13, v5, v13
	v_mul_f32_e32 v15, v10, v8
	v_fma_f32 v17, -v1, v15, v10
	v_fmac_f32_e32 v15, v17, v8
	v_fma_f32 v1, -v1, v15, v10
	v_div_scale_f32 v10, s[72:73], v5, v5, v12
	v_rcp_f32_e32 v17, v10
	v_div_fmas_f32 v1, v1, v8, v15
	v_div_fixup_f32 v13, v1, v5, v13
	v_cvt_f32_f16_sdwa v21, v9 dst_sel:DWORD dst_unused:UNUSED_PAD src0_sel:WORD_1
	v_fma_f32 v1, -v10, v17, 1.0
	v_fmac_f32_e32 v17, v1, v17
	v_div_scale_f32 v1, vcc, v12, v5, v12
	v_mul_f32_e32 v8, v1, v17
	v_fma_f32 v15, -v10, v8, v1
	v_fmac_f32_e32 v8, v15, v17
	v_fma_f32 v1, -v10, v8, v1
	v_div_fmas_f32 v1, v1, v17, v8
	v_div_fixup_f32 v12, v1, v5, v12
	global_store_dwordx2 v[18:19], v[12:13], off
	v_cvt_f32_f16_sdwa v13, v7 dst_sel:DWORD dst_unused:UNUSED_PAD src0_sel:WORD_1
	v_cvt_f32_f16_e32 v12, v7
	v_cvt_f32_f16_sdwa v19, v3 dst_sel:DWORD dst_unused:UNUSED_PAD src0_sel:WORD_1
	v_cvt_f32_f16_e32 v18, v3
	v_cvt_f32_f16_e32 v20, v9
	v_cvt_f32_f16_sdwa v9, v11 dst_sel:DWORD dst_unused:UNUSED_PAD src0_sel:WORD_1
	v_cvt_f32_f16_e32 v8, v11
	v_pk_fma_f32 v[10:11], v[4:5], v[12:13], 0 op_sel_hi:[0,1,0]
	v_pk_fma_f32 v[10:11], v[14:15], v[18:19], v[10:11] op_sel_hi:[0,1,1]
	v_pk_fma_f32 v[2:3], v[2:3], v[20:21], v[10:11] op_sel_hi:[0,1,1]
	v_pk_fma_f32 v[2:3], v[16:17], v[8:9], v[2:3] op_sel_hi:[0,1,1]
	v_div_scale_f32 v1, s[72:73], v5, v5, v3
	v_rcp_f32_e32 v4, v1
	v_ashrrev_i32_e32 v7, 31, v6
	v_lshl_add_u64 v[6:7], v[40:41], 0, v[6:7]
	v_lshl_add_u64 v[6:7], v[6:7], 3, v[122:123]
	v_fma_f32 v8, -v1, v4, 1.0
	v_fmac_f32_e32 v4, v8, v4
	v_div_scale_f32 v8, vcc, v3, v5, v3
	v_mul_f32_e32 v9, v8, v4
	v_fma_f32 v10, -v1, v9, v8
	v_fmac_f32_e32 v9, v10, v4
	v_fma_f32 v1, -v1, v9, v8
	v_div_scale_f32 v8, s[72:73], v5, v5, v2
	v_rcp_f32_e32 v10, v8
	v_div_fmas_f32 v1, v1, v4, v9
	v_div_fixup_f32 v3, v1, v5, v3
	v_fma_f32 v1, -v8, v10, 1.0
	v_fmac_f32_e32 v10, v1, v10
	v_div_scale_f32 v1, vcc, v2, v5, v2
	v_mul_f32_e32 v4, v1, v10
	v_fma_f32 v9, -v8, v4, v1
	v_fmac_f32_e32 v4, v9, v10
	v_fma_f32 v1, -v8, v4, v1
	v_div_fmas_f32 v1, v1, v10, v4
	v_div_fixup_f32 v2, v1, v5, v2
	v_mov_b32_e32 v1, 0
	global_store_dwordx2 v[6:7], v[2:3], off offset:512
.LBB30_258:                             ;   in Loop: Header=BB30_12 Depth=1
	s_or_b64 exec, exec, s[12:13]
	v_cmp_gt_i32_e32 vcc, s95, v1
	s_mov_b64 s[12:13], -1
	s_and_saveexec_b64 s[72:73], vcc
; %bb.259:                              ;   in Loop: Header=BB30_12 Depth=1
	v_cmp_eq_u32_e32 vcc, 0, v1
	s_orn2_b64 s[12:13], vcc, exec
; %bb.260:                              ;   in Loop: Header=BB30_12 Depth=1
	s_or_b64 exec, exec, s[72:73]
	s_and_b64 exec, exec, s[12:13]
	s_cbranch_execz .LBB30_10
; %bb.261:                              ;   in Loop: Header=BB30_12 Depth=1
	v_accvgpr_read_b32 v1, a25
	v_add_u32_e32 v2, v1, v215
	v_accvgpr_read_b32 v1, a26
	v_or_b32_e32 v1, v1, v43
	v_cmp_gt_i32_e32 vcc, s36, v2
	v_cmp_gt_i32_e64 s[12:13], s74, v1
	s_and_b64 s[72:73], vcc, s[12:13]
	v_mov_b32_e32 v1, 0x47
	s_and_saveexec_b64 s[12:13], s[72:73]
	s_cbranch_execz .LBB30_263
; %bb.262:                              ;   in Loop: Header=BB30_12 Depth=1
	v_accvgpr_read_b32 v10, a54
	ds_read2st64_b32 v[6:7], v10 offset1:1
	v_accvgpr_read_b32 v16, a27
	ds_read2_b32 v[4:5], v16 offset0:128 offset1:129
	v_mul_lo_u32 v1, v2, s37
	ds_read2st64_b32 v[2:3], v10 offset0:33 offset1:34
	ds_read2st64_b32 v[8:9], v10 offset0:66 offset1:67
	;; [unrolled: 1-line block ×3, first 2 shown]
	s_waitcnt lgkmcnt(4)
	v_cvt_f32_f16_sdwa v13, v6 dst_sel:DWORD dst_unused:UNUSED_PAD src0_sel:WORD_1
	v_cvt_f32_f16_e32 v12, v6
	ds_read2st64_b32 v[14:15], v16 offset0:35 offset1:68
	ds_read_b32 v16, v16 offset:25856
	s_waitcnt lgkmcnt(4)
	v_cvt_f32_f16_sdwa v19, v2 dst_sel:DWORD dst_unused:UNUSED_PAD src0_sel:WORD_1
	v_cvt_f32_f16_e32 v18, v2
	s_waitcnt lgkmcnt(3)
	v_cvt_f32_f16_sdwa v21, v8 dst_sel:DWORD dst_unused:UNUSED_PAD src0_sel:WORD_1
	v_cvt_f32_f16_e32 v20, v8
	;; [unrolled: 3-line block ×3, first 2 shown]
	v_pk_fma_f32 v[12:13], v[4:5], v[12:13], 0 op_sel_hi:[0,1,0]
	s_waitcnt lgkmcnt(1)
	v_pk_fma_f32 v[12:13], v[14:15], v[18:19], v[12:13] op_sel_hi:[0,1,1]
	v_mov_b32_e32 v2, v15
	v_pk_fma_f32 v[12:13], v[2:3], v[20:21], v[12:13] op_sel_hi:[0,1,1]
	v_accvgpr_read_b32 v6, a26
	s_waitcnt lgkmcnt(0)
	v_pk_fma_f32 v[12:13], v[16:17], v[22:23], v[12:13] op_sel_hi:[0,1,1]
	v_add_lshl_u32 v6, v1, v6, 7
	v_div_scale_f32 v1, s[72:73], v5, v5, v13
	v_rcp_f32_e32 v8, v1
	v_add_u32_e32 v18, v40, v6
	v_ashrrev_i32_e32 v19, 31, v18
	v_lshl_add_u64 v[18:19], v[18:19], 3, v[122:123]
	v_fma_f32 v10, -v1, v8, 1.0
	v_fmac_f32_e32 v8, v10, v8
	v_div_scale_f32 v10, vcc, v13, v5, v13
	v_mul_f32_e32 v15, v10, v8
	v_fma_f32 v17, -v1, v15, v10
	v_fmac_f32_e32 v15, v17, v8
	v_fma_f32 v1, -v1, v15, v10
	v_div_scale_f32 v10, s[72:73], v5, v5, v12
	v_rcp_f32_e32 v17, v10
	v_div_fmas_f32 v1, v1, v8, v15
	v_div_fixup_f32 v13, v1, v5, v13
	v_cvt_f32_f16_sdwa v21, v9 dst_sel:DWORD dst_unused:UNUSED_PAD src0_sel:WORD_1
	v_fma_f32 v1, -v10, v17, 1.0
	v_fmac_f32_e32 v17, v1, v17
	v_div_scale_f32 v1, vcc, v12, v5, v12
	v_mul_f32_e32 v8, v1, v17
	v_fma_f32 v15, -v10, v8, v1
	v_fmac_f32_e32 v8, v15, v17
	v_fma_f32 v1, -v10, v8, v1
	v_div_fmas_f32 v1, v1, v17, v8
	v_div_fixup_f32 v12, v1, v5, v12
	global_store_dwordx2 v[18:19], v[12:13], off
	v_cvt_f32_f16_sdwa v13, v7 dst_sel:DWORD dst_unused:UNUSED_PAD src0_sel:WORD_1
	v_cvt_f32_f16_e32 v12, v7
	v_cvt_f32_f16_sdwa v19, v3 dst_sel:DWORD dst_unused:UNUSED_PAD src0_sel:WORD_1
	v_cvt_f32_f16_e32 v18, v3
	v_cvt_f32_f16_e32 v20, v9
	v_cvt_f32_f16_sdwa v9, v11 dst_sel:DWORD dst_unused:UNUSED_PAD src0_sel:WORD_1
	v_cvt_f32_f16_e32 v8, v11
	v_pk_fma_f32 v[10:11], v[4:5], v[12:13], 0 op_sel_hi:[0,1,0]
	v_pk_fma_f32 v[10:11], v[14:15], v[18:19], v[10:11] op_sel_hi:[0,1,1]
	;; [unrolled: 1-line block ×4, first 2 shown]
	v_div_scale_f32 v1, s[72:73], v5, v5, v3
	v_rcp_f32_e32 v4, v1
	v_ashrrev_i32_e32 v7, 31, v6
	v_lshl_add_u64 v[6:7], v[40:41], 0, v[6:7]
	v_lshl_add_u64 v[6:7], v[6:7], 3, v[122:123]
	v_fma_f32 v8, -v1, v4, 1.0
	v_fmac_f32_e32 v4, v8, v4
	v_div_scale_f32 v8, vcc, v3, v5, v3
	v_mul_f32_e32 v9, v8, v4
	v_fma_f32 v10, -v1, v9, v8
	v_fmac_f32_e32 v9, v10, v4
	v_fma_f32 v1, -v1, v9, v8
	v_div_scale_f32 v8, s[72:73], v5, v5, v2
	v_rcp_f32_e32 v10, v8
	v_div_fmas_f32 v1, v1, v4, v9
	v_div_fixup_f32 v3, v1, v5, v3
	v_fma_f32 v1, -v8, v10, 1.0
	v_fmac_f32_e32 v10, v1, v10
	v_div_scale_f32 v1, vcc, v2, v5, v2
	v_mul_f32_e32 v4, v1, v10
	v_fma_f32 v9, -v8, v4, v1
	v_fmac_f32_e32 v4, v9, v10
	v_fma_f32 v1, -v8, v4, v1
	v_div_fmas_f32 v1, v1, v10, v4
	v_div_fixup_f32 v2, v1, v5, v2
	v_mov_b32_e32 v1, 0
	global_store_dwordx2 v[6:7], v[2:3], off offset:512
.LBB30_263:                             ;   in Loop: Header=BB30_12 Depth=1
	s_or_b64 exec, exec, s[12:13]
	v_cmp_gt_i32_e32 vcc, s95, v1
	s_mov_b64 s[12:13], -1
	s_and_saveexec_b64 s[72:73], vcc
; %bb.264:                              ;   in Loop: Header=BB30_12 Depth=1
	v_cmp_eq_u32_e32 vcc, 0, v1
	s_orn2_b64 s[12:13], vcc, exec
; %bb.265:                              ;   in Loop: Header=BB30_12 Depth=1
	s_or_b64 exec, exec, s[72:73]
	s_and_b64 exec, exec, s[12:13]
	s_cbranch_execz .LBB30_10
; %bb.266:                              ;   in Loop: Header=BB30_12 Depth=1
	v_accvgpr_read_b32 v1, a28
	v_add_u32_e32 v2, v1, v215
	v_cmp_gt_i32_e32 vcc, s36, v2
	s_and_b64 s[72:73], vcc, s[8:9]
	v_mov_b32_e32 v1, 0x47
	s_and_saveexec_b64 s[12:13], s[72:73]
	s_cbranch_execz .LBB30_268
; %bb.267:                              ;   in Loop: Header=BB30_12 Depth=1
	v_accvgpr_read_b32 v10, a55
	ds_read2st64_b32 v[6:7], v10 offset1:1
	v_accvgpr_read_b32 v16, a29
	ds_read2_b32 v[4:5], v16 offset0:128 offset1:129
	v_mul_lo_u32 v1, v2, s37
	ds_read2st64_b32 v[2:3], v10 offset0:33 offset1:34
	ds_read2st64_b32 v[8:9], v10 offset0:66 offset1:67
	;; [unrolled: 1-line block ×3, first 2 shown]
	s_waitcnt lgkmcnt(4)
	v_cvt_f32_f16_sdwa v13, v6 dst_sel:DWORD dst_unused:UNUSED_PAD src0_sel:WORD_1
	v_cvt_f32_f16_e32 v12, v6
	ds_read2st64_b32 v[14:15], v16 offset0:35 offset1:68
	ds_read_b32 v16, v16 offset:25856
	s_waitcnt lgkmcnt(4)
	v_cvt_f32_f16_sdwa v19, v2 dst_sel:DWORD dst_unused:UNUSED_PAD src0_sel:WORD_1
	v_cvt_f32_f16_e32 v18, v2
	s_waitcnt lgkmcnt(3)
	v_cvt_f32_f16_sdwa v21, v8 dst_sel:DWORD dst_unused:UNUSED_PAD src0_sel:WORD_1
	v_cvt_f32_f16_e32 v20, v8
	;; [unrolled: 3-line block ×3, first 2 shown]
	v_pk_fma_f32 v[12:13], v[4:5], v[12:13], 0 op_sel_hi:[0,1,0]
	s_waitcnt lgkmcnt(1)
	v_pk_fma_f32 v[12:13], v[14:15], v[18:19], v[12:13] op_sel_hi:[0,1,1]
	v_mov_b32_e32 v2, v15
	v_pk_fma_f32 v[12:13], v[2:3], v[20:21], v[12:13] op_sel_hi:[0,1,1]
	s_waitcnt lgkmcnt(0)
	v_pk_fma_f32 v[12:13], v[16:17], v[22:23], v[12:13] op_sel_hi:[0,1,1]
	v_add_lshl_u32 v6, v1, v244, 7
	v_div_scale_f32 v1, s[72:73], v5, v5, v13
	v_rcp_f32_e32 v8, v1
	v_add_u32_e32 v18, v40, v6
	v_ashrrev_i32_e32 v19, 31, v18
	v_lshl_add_u64 v[18:19], v[18:19], 3, v[122:123]
	v_fma_f32 v10, -v1, v8, 1.0
	v_fmac_f32_e32 v8, v10, v8
	v_div_scale_f32 v10, vcc, v13, v5, v13
	v_mul_f32_e32 v15, v10, v8
	v_fma_f32 v17, -v1, v15, v10
	v_fmac_f32_e32 v15, v17, v8
	v_fma_f32 v1, -v1, v15, v10
	v_div_scale_f32 v10, s[72:73], v5, v5, v12
	v_rcp_f32_e32 v17, v10
	v_div_fmas_f32 v1, v1, v8, v15
	v_div_fixup_f32 v13, v1, v5, v13
	v_cvt_f32_f16_sdwa v21, v9 dst_sel:DWORD dst_unused:UNUSED_PAD src0_sel:WORD_1
	v_fma_f32 v1, -v10, v17, 1.0
	v_fmac_f32_e32 v17, v1, v17
	v_div_scale_f32 v1, vcc, v12, v5, v12
	v_mul_f32_e32 v8, v1, v17
	v_fma_f32 v15, -v10, v8, v1
	v_fmac_f32_e32 v8, v15, v17
	v_fma_f32 v1, -v10, v8, v1
	v_div_fmas_f32 v1, v1, v17, v8
	v_div_fixup_f32 v12, v1, v5, v12
	global_store_dwordx2 v[18:19], v[12:13], off
	v_cvt_f32_f16_sdwa v13, v7 dst_sel:DWORD dst_unused:UNUSED_PAD src0_sel:WORD_1
	v_cvt_f32_f16_e32 v12, v7
	v_cvt_f32_f16_sdwa v19, v3 dst_sel:DWORD dst_unused:UNUSED_PAD src0_sel:WORD_1
	v_cvt_f32_f16_e32 v18, v3
	v_cvt_f32_f16_e32 v20, v9
	v_cvt_f32_f16_sdwa v9, v11 dst_sel:DWORD dst_unused:UNUSED_PAD src0_sel:WORD_1
	v_cvt_f32_f16_e32 v8, v11
	v_pk_fma_f32 v[10:11], v[4:5], v[12:13], 0 op_sel_hi:[0,1,0]
	v_pk_fma_f32 v[10:11], v[14:15], v[18:19], v[10:11] op_sel_hi:[0,1,1]
	;; [unrolled: 1-line block ×4, first 2 shown]
	v_div_scale_f32 v1, s[72:73], v5, v5, v3
	v_rcp_f32_e32 v4, v1
	v_ashrrev_i32_e32 v7, 31, v6
	v_lshl_add_u64 v[6:7], v[40:41], 0, v[6:7]
	v_lshl_add_u64 v[6:7], v[6:7], 3, v[122:123]
	v_fma_f32 v8, -v1, v4, 1.0
	v_fmac_f32_e32 v4, v8, v4
	v_div_scale_f32 v8, vcc, v3, v5, v3
	v_mul_f32_e32 v9, v8, v4
	v_fma_f32 v10, -v1, v9, v8
	v_fmac_f32_e32 v9, v10, v4
	v_fma_f32 v1, -v1, v9, v8
	v_div_scale_f32 v8, s[72:73], v5, v5, v2
	v_rcp_f32_e32 v10, v8
	v_div_fmas_f32 v1, v1, v4, v9
	v_div_fixup_f32 v3, v1, v5, v3
	v_fma_f32 v1, -v8, v10, 1.0
	v_fmac_f32_e32 v10, v1, v10
	v_div_scale_f32 v1, vcc, v2, v5, v2
	v_mul_f32_e32 v4, v1, v10
	v_fma_f32 v9, -v8, v4, v1
	v_fmac_f32_e32 v4, v9, v10
	v_fma_f32 v1, -v8, v4, v1
	v_div_fmas_f32 v1, v1, v10, v4
	v_div_fixup_f32 v2, v1, v5, v2
	v_mov_b32_e32 v1, 0
	global_store_dwordx2 v[6:7], v[2:3], off offset:512
.LBB30_268:                             ;   in Loop: Header=BB30_12 Depth=1
	s_or_b64 exec, exec, s[12:13]
	v_cmp_gt_i32_e32 vcc, s95, v1
	s_mov_b64 s[12:13], -1
	s_and_saveexec_b64 s[72:73], vcc
; %bb.269:                              ;   in Loop: Header=BB30_12 Depth=1
	v_cmp_eq_u32_e32 vcc, 0, v1
	s_orn2_b64 s[12:13], vcc, exec
; %bb.270:                              ;   in Loop: Header=BB30_12 Depth=1
	s_or_b64 exec, exec, s[72:73]
	s_and_b64 exec, exec, s[12:13]
	s_cbranch_execz .LBB30_10
; %bb.271:                              ;   in Loop: Header=BB30_12 Depth=1
	v_accvgpr_read_b32 v1, a30
	v_add_u32_e32 v2, v1, v215
	v_accvgpr_read_b32 v1, a31
	v_or_b32_e32 v1, v1, v43
	v_cmp_gt_i32_e32 vcc, s36, v2
	v_cmp_gt_i32_e64 s[12:13], s74, v1
	s_and_b64 s[72:73], vcc, s[12:13]
	v_mov_b32_e32 v1, 0x47
	s_and_saveexec_b64 s[12:13], s[72:73]
	s_cbranch_execz .LBB30_273
; %bb.272:                              ;   in Loop: Header=BB30_12 Depth=1
	v_accvgpr_read_b32 v10, a56
	ds_read2st64_b32 v[6:7], v10 offset1:1
	v_accvgpr_read_b32 v16, a32
	ds_read2_b32 v[4:5], v16 offset0:128 offset1:129
	v_mul_lo_u32 v1, v2, s37
	ds_read2st64_b32 v[2:3], v10 offset0:33 offset1:34
	ds_read2st64_b32 v[8:9], v10 offset0:66 offset1:67
	;; [unrolled: 1-line block ×3, first 2 shown]
	s_waitcnt lgkmcnt(4)
	v_cvt_f32_f16_sdwa v13, v6 dst_sel:DWORD dst_unused:UNUSED_PAD src0_sel:WORD_1
	v_cvt_f32_f16_e32 v12, v6
	ds_read2st64_b32 v[14:15], v16 offset0:35 offset1:68
	ds_read_b32 v16, v16 offset:25856
	s_waitcnt lgkmcnt(4)
	v_cvt_f32_f16_sdwa v19, v2 dst_sel:DWORD dst_unused:UNUSED_PAD src0_sel:WORD_1
	v_cvt_f32_f16_e32 v18, v2
	s_waitcnt lgkmcnt(3)
	v_cvt_f32_f16_sdwa v21, v8 dst_sel:DWORD dst_unused:UNUSED_PAD src0_sel:WORD_1
	v_cvt_f32_f16_e32 v20, v8
	;; [unrolled: 3-line block ×3, first 2 shown]
	v_pk_fma_f32 v[12:13], v[4:5], v[12:13], 0 op_sel_hi:[0,1,0]
	s_waitcnt lgkmcnt(1)
	v_pk_fma_f32 v[12:13], v[14:15], v[18:19], v[12:13] op_sel_hi:[0,1,1]
	v_mov_b32_e32 v2, v15
	v_pk_fma_f32 v[12:13], v[2:3], v[20:21], v[12:13] op_sel_hi:[0,1,1]
	v_accvgpr_read_b32 v6, a31
	s_waitcnt lgkmcnt(0)
	v_pk_fma_f32 v[12:13], v[16:17], v[22:23], v[12:13] op_sel_hi:[0,1,1]
	v_add_lshl_u32 v6, v1, v6, 7
	v_div_scale_f32 v1, s[72:73], v5, v5, v13
	v_rcp_f32_e32 v8, v1
	v_add_u32_e32 v18, v40, v6
	v_ashrrev_i32_e32 v19, 31, v18
	v_lshl_add_u64 v[18:19], v[18:19], 3, v[122:123]
	v_fma_f32 v10, -v1, v8, 1.0
	v_fmac_f32_e32 v8, v10, v8
	v_div_scale_f32 v10, vcc, v13, v5, v13
	v_mul_f32_e32 v15, v10, v8
	v_fma_f32 v17, -v1, v15, v10
	v_fmac_f32_e32 v15, v17, v8
	v_fma_f32 v1, -v1, v15, v10
	v_div_scale_f32 v10, s[72:73], v5, v5, v12
	v_rcp_f32_e32 v17, v10
	v_div_fmas_f32 v1, v1, v8, v15
	v_div_fixup_f32 v13, v1, v5, v13
	v_cvt_f32_f16_sdwa v21, v9 dst_sel:DWORD dst_unused:UNUSED_PAD src0_sel:WORD_1
	v_fma_f32 v1, -v10, v17, 1.0
	v_fmac_f32_e32 v17, v1, v17
	v_div_scale_f32 v1, vcc, v12, v5, v12
	v_mul_f32_e32 v8, v1, v17
	v_fma_f32 v15, -v10, v8, v1
	v_fmac_f32_e32 v8, v15, v17
	v_fma_f32 v1, -v10, v8, v1
	v_div_fmas_f32 v1, v1, v17, v8
	v_div_fixup_f32 v12, v1, v5, v12
	global_store_dwordx2 v[18:19], v[12:13], off
	v_cvt_f32_f16_sdwa v13, v7 dst_sel:DWORD dst_unused:UNUSED_PAD src0_sel:WORD_1
	v_cvt_f32_f16_e32 v12, v7
	v_cvt_f32_f16_sdwa v19, v3 dst_sel:DWORD dst_unused:UNUSED_PAD src0_sel:WORD_1
	v_cvt_f32_f16_e32 v18, v3
	v_cvt_f32_f16_e32 v20, v9
	v_cvt_f32_f16_sdwa v9, v11 dst_sel:DWORD dst_unused:UNUSED_PAD src0_sel:WORD_1
	v_cvt_f32_f16_e32 v8, v11
	v_pk_fma_f32 v[10:11], v[4:5], v[12:13], 0 op_sel_hi:[0,1,0]
	v_pk_fma_f32 v[10:11], v[14:15], v[18:19], v[10:11] op_sel_hi:[0,1,1]
	;; [unrolled: 1-line block ×4, first 2 shown]
	v_div_scale_f32 v1, s[72:73], v5, v5, v3
	v_rcp_f32_e32 v4, v1
	v_ashrrev_i32_e32 v7, 31, v6
	v_lshl_add_u64 v[6:7], v[40:41], 0, v[6:7]
	v_lshl_add_u64 v[6:7], v[6:7], 3, v[122:123]
	v_fma_f32 v8, -v1, v4, 1.0
	v_fmac_f32_e32 v4, v8, v4
	v_div_scale_f32 v8, vcc, v3, v5, v3
	v_mul_f32_e32 v9, v8, v4
	v_fma_f32 v10, -v1, v9, v8
	v_fmac_f32_e32 v9, v10, v4
	v_fma_f32 v1, -v1, v9, v8
	v_div_scale_f32 v8, s[72:73], v5, v5, v2
	v_rcp_f32_e32 v10, v8
	v_div_fmas_f32 v1, v1, v4, v9
	v_div_fixup_f32 v3, v1, v5, v3
	v_fma_f32 v1, -v8, v10, 1.0
	v_fmac_f32_e32 v10, v1, v10
	v_div_scale_f32 v1, vcc, v2, v5, v2
	v_mul_f32_e32 v4, v1, v10
	v_fma_f32 v9, -v8, v4, v1
	v_fmac_f32_e32 v4, v9, v10
	v_fma_f32 v1, -v8, v4, v1
	v_div_fmas_f32 v1, v1, v10, v4
	v_div_fixup_f32 v2, v1, v5, v2
	v_mov_b32_e32 v1, 0
	global_store_dwordx2 v[6:7], v[2:3], off offset:512
.LBB30_273:                             ;   in Loop: Header=BB30_12 Depth=1
	s_or_b64 exec, exec, s[12:13]
	v_cmp_gt_i32_e32 vcc, s95, v1
	s_mov_b64 s[12:13], -1
	s_and_saveexec_b64 s[72:73], vcc
; %bb.274:                              ;   in Loop: Header=BB30_12 Depth=1
	v_cmp_eq_u32_e32 vcc, 0, v1
	s_orn2_b64 s[12:13], vcc, exec
; %bb.275:                              ;   in Loop: Header=BB30_12 Depth=1
	s_or_b64 exec, exec, s[72:73]
	s_and_b64 exec, exec, s[12:13]
	s_cbranch_execz .LBB30_10
; %bb.276:                              ;   in Loop: Header=BB30_12 Depth=1
	v_accvgpr_read_b32 v1, a33
	v_add_u32_e32 v2, v1, v215
	v_accvgpr_read_b32 v1, a34
	v_or_b32_e32 v1, v1, v43
	v_cmp_gt_i32_e32 vcc, s36, v2
	v_cmp_gt_i32_e64 s[12:13], s74, v1
	s_and_b64 s[72:73], vcc, s[12:13]
	v_mov_b32_e32 v1, 0x47
	s_and_saveexec_b64 s[12:13], s[72:73]
	s_cbranch_execz .LBB30_278
; %bb.277:                              ;   in Loop: Header=BB30_12 Depth=1
	v_accvgpr_read_b32 v10, a57
	ds_read2st64_b32 v[6:7], v10 offset1:1
	v_accvgpr_read_b32 v16, a35
	ds_read2_b32 v[4:5], v16 offset0:128 offset1:129
	v_mul_lo_u32 v1, v2, s37
	ds_read2st64_b32 v[2:3], v10 offset0:33 offset1:34
	ds_read2st64_b32 v[8:9], v10 offset0:66 offset1:67
	;; [unrolled: 1-line block ×3, first 2 shown]
	s_waitcnt lgkmcnt(4)
	v_cvt_f32_f16_sdwa v13, v6 dst_sel:DWORD dst_unused:UNUSED_PAD src0_sel:WORD_1
	v_cvt_f32_f16_e32 v12, v6
	ds_read2st64_b32 v[14:15], v16 offset0:35 offset1:68
	ds_read_b32 v16, v16 offset:25856
	s_waitcnt lgkmcnt(4)
	v_cvt_f32_f16_sdwa v19, v2 dst_sel:DWORD dst_unused:UNUSED_PAD src0_sel:WORD_1
	v_cvt_f32_f16_e32 v18, v2
	s_waitcnt lgkmcnt(3)
	v_cvt_f32_f16_sdwa v21, v8 dst_sel:DWORD dst_unused:UNUSED_PAD src0_sel:WORD_1
	v_cvt_f32_f16_e32 v20, v8
	;; [unrolled: 3-line block ×3, first 2 shown]
	v_pk_fma_f32 v[12:13], v[4:5], v[12:13], 0 op_sel_hi:[0,1,0]
	s_waitcnt lgkmcnt(1)
	v_pk_fma_f32 v[12:13], v[14:15], v[18:19], v[12:13] op_sel_hi:[0,1,1]
	v_mov_b32_e32 v2, v15
	v_pk_fma_f32 v[12:13], v[2:3], v[20:21], v[12:13] op_sel_hi:[0,1,1]
	v_accvgpr_read_b32 v6, a34
	s_waitcnt lgkmcnt(0)
	v_pk_fma_f32 v[12:13], v[16:17], v[22:23], v[12:13] op_sel_hi:[0,1,1]
	v_add_lshl_u32 v6, v1, v6, 7
	v_div_scale_f32 v1, s[72:73], v5, v5, v13
	v_rcp_f32_e32 v8, v1
	v_add_u32_e32 v18, v40, v6
	v_ashrrev_i32_e32 v19, 31, v18
	v_lshl_add_u64 v[18:19], v[18:19], 3, v[122:123]
	v_fma_f32 v10, -v1, v8, 1.0
	v_fmac_f32_e32 v8, v10, v8
	v_div_scale_f32 v10, vcc, v13, v5, v13
	v_mul_f32_e32 v15, v10, v8
	v_fma_f32 v17, -v1, v15, v10
	v_fmac_f32_e32 v15, v17, v8
	v_fma_f32 v1, -v1, v15, v10
	v_div_scale_f32 v10, s[72:73], v5, v5, v12
	v_rcp_f32_e32 v17, v10
	v_div_fmas_f32 v1, v1, v8, v15
	v_div_fixup_f32 v13, v1, v5, v13
	v_cvt_f32_f16_sdwa v21, v9 dst_sel:DWORD dst_unused:UNUSED_PAD src0_sel:WORD_1
	v_fma_f32 v1, -v10, v17, 1.0
	v_fmac_f32_e32 v17, v1, v17
	v_div_scale_f32 v1, vcc, v12, v5, v12
	v_mul_f32_e32 v8, v1, v17
	v_fma_f32 v15, -v10, v8, v1
	v_fmac_f32_e32 v8, v15, v17
	v_fma_f32 v1, -v10, v8, v1
	v_div_fmas_f32 v1, v1, v17, v8
	v_div_fixup_f32 v12, v1, v5, v12
	global_store_dwordx2 v[18:19], v[12:13], off
	v_cvt_f32_f16_sdwa v13, v7 dst_sel:DWORD dst_unused:UNUSED_PAD src0_sel:WORD_1
	v_cvt_f32_f16_e32 v12, v7
	v_cvt_f32_f16_sdwa v19, v3 dst_sel:DWORD dst_unused:UNUSED_PAD src0_sel:WORD_1
	v_cvt_f32_f16_e32 v18, v3
	v_cvt_f32_f16_e32 v20, v9
	v_cvt_f32_f16_sdwa v9, v11 dst_sel:DWORD dst_unused:UNUSED_PAD src0_sel:WORD_1
	v_cvt_f32_f16_e32 v8, v11
	v_pk_fma_f32 v[10:11], v[4:5], v[12:13], 0 op_sel_hi:[0,1,0]
	v_pk_fma_f32 v[10:11], v[14:15], v[18:19], v[10:11] op_sel_hi:[0,1,1]
	;; [unrolled: 1-line block ×4, first 2 shown]
	v_div_scale_f32 v1, s[72:73], v5, v5, v3
	v_rcp_f32_e32 v4, v1
	v_ashrrev_i32_e32 v7, 31, v6
	v_lshl_add_u64 v[6:7], v[40:41], 0, v[6:7]
	v_lshl_add_u64 v[6:7], v[6:7], 3, v[122:123]
	v_fma_f32 v8, -v1, v4, 1.0
	v_fmac_f32_e32 v4, v8, v4
	v_div_scale_f32 v8, vcc, v3, v5, v3
	v_mul_f32_e32 v9, v8, v4
	v_fma_f32 v10, -v1, v9, v8
	v_fmac_f32_e32 v9, v10, v4
	v_fma_f32 v1, -v1, v9, v8
	v_div_scale_f32 v8, s[72:73], v5, v5, v2
	v_rcp_f32_e32 v10, v8
	v_div_fmas_f32 v1, v1, v4, v9
	v_div_fixup_f32 v3, v1, v5, v3
	v_fma_f32 v1, -v8, v10, 1.0
	v_fmac_f32_e32 v10, v1, v10
	v_div_scale_f32 v1, vcc, v2, v5, v2
	v_mul_f32_e32 v4, v1, v10
	v_fma_f32 v9, -v8, v4, v1
	v_fmac_f32_e32 v4, v9, v10
	v_fma_f32 v1, -v8, v4, v1
	v_div_fmas_f32 v1, v1, v10, v4
	v_div_fixup_f32 v2, v1, v5, v2
	v_mov_b32_e32 v1, 0
	global_store_dwordx2 v[6:7], v[2:3], off offset:512
.LBB30_278:                             ;   in Loop: Header=BB30_12 Depth=1
	s_or_b64 exec, exec, s[12:13]
	v_cmp_gt_i32_e32 vcc, s95, v1
	s_mov_b64 s[12:13], -1
	s_and_saveexec_b64 s[72:73], vcc
; %bb.279:                              ;   in Loop: Header=BB30_12 Depth=1
	v_cmp_eq_u32_e32 vcc, 0, v1
	s_orn2_b64 s[12:13], vcc, exec
; %bb.280:                              ;   in Loop: Header=BB30_12 Depth=1
	s_or_b64 exec, exec, s[72:73]
	s_and_b64 exec, exec, s[12:13]
	s_cbranch_execz .LBB30_10
; %bb.281:                              ;   in Loop: Header=BB30_12 Depth=1
	v_accvgpr_read_b32 v1, a36
	v_add_u32_e32 v2, v1, v215
	v_accvgpr_read_b32 v1, a37
	v_or_b32_e32 v1, v1, v43
	v_cmp_gt_i32_e32 vcc, s36, v2
	v_cmp_gt_i32_e64 s[12:13], s74, v1
	s_and_b64 s[72:73], vcc, s[12:13]
	v_mov_b32_e32 v1, 0x47
	s_and_saveexec_b64 s[12:13], s[72:73]
	s_cbranch_execz .LBB30_283
; %bb.282:                              ;   in Loop: Header=BB30_12 Depth=1
	v_accvgpr_read_b32 v10, a58
	ds_read2st64_b32 v[6:7], v10 offset1:1
	v_accvgpr_read_b32 v16, a38
	ds_read2_b32 v[4:5], v16 offset0:128 offset1:129
	v_mul_lo_u32 v1, v2, s37
	ds_read2st64_b32 v[2:3], v10 offset0:33 offset1:34
	ds_read2st64_b32 v[8:9], v10 offset0:66 offset1:67
	;; [unrolled: 1-line block ×3, first 2 shown]
	s_waitcnt lgkmcnt(4)
	v_cvt_f32_f16_sdwa v13, v6 dst_sel:DWORD dst_unused:UNUSED_PAD src0_sel:WORD_1
	v_cvt_f32_f16_e32 v12, v6
	ds_read2st64_b32 v[14:15], v16 offset0:35 offset1:68
	ds_read_b32 v16, v16 offset:25856
	s_waitcnt lgkmcnt(4)
	v_cvt_f32_f16_sdwa v19, v2 dst_sel:DWORD dst_unused:UNUSED_PAD src0_sel:WORD_1
	v_cvt_f32_f16_e32 v18, v2
	s_waitcnt lgkmcnt(3)
	v_cvt_f32_f16_sdwa v21, v8 dst_sel:DWORD dst_unused:UNUSED_PAD src0_sel:WORD_1
	v_cvt_f32_f16_e32 v20, v8
	;; [unrolled: 3-line block ×3, first 2 shown]
	v_pk_fma_f32 v[12:13], v[4:5], v[12:13], 0 op_sel_hi:[0,1,0]
	s_waitcnt lgkmcnt(1)
	v_pk_fma_f32 v[12:13], v[14:15], v[18:19], v[12:13] op_sel_hi:[0,1,1]
	v_mov_b32_e32 v2, v15
	v_pk_fma_f32 v[12:13], v[2:3], v[20:21], v[12:13] op_sel_hi:[0,1,1]
	v_accvgpr_read_b32 v6, a37
	s_waitcnt lgkmcnt(0)
	v_pk_fma_f32 v[12:13], v[16:17], v[22:23], v[12:13] op_sel_hi:[0,1,1]
	v_add_lshl_u32 v6, v1, v6, 7
	v_div_scale_f32 v1, s[72:73], v5, v5, v13
	v_rcp_f32_e32 v8, v1
	v_add_u32_e32 v18, v40, v6
	v_ashrrev_i32_e32 v19, 31, v18
	v_lshl_add_u64 v[18:19], v[18:19], 3, v[122:123]
	v_fma_f32 v10, -v1, v8, 1.0
	v_fmac_f32_e32 v8, v10, v8
	v_div_scale_f32 v10, vcc, v13, v5, v13
	v_mul_f32_e32 v15, v10, v8
	v_fma_f32 v17, -v1, v15, v10
	v_fmac_f32_e32 v15, v17, v8
	v_fma_f32 v1, -v1, v15, v10
	v_div_scale_f32 v10, s[72:73], v5, v5, v12
	v_rcp_f32_e32 v17, v10
	v_div_fmas_f32 v1, v1, v8, v15
	v_div_fixup_f32 v13, v1, v5, v13
	v_cvt_f32_f16_sdwa v21, v9 dst_sel:DWORD dst_unused:UNUSED_PAD src0_sel:WORD_1
	v_fma_f32 v1, -v10, v17, 1.0
	v_fmac_f32_e32 v17, v1, v17
	v_div_scale_f32 v1, vcc, v12, v5, v12
	v_mul_f32_e32 v8, v1, v17
	v_fma_f32 v15, -v10, v8, v1
	v_fmac_f32_e32 v8, v15, v17
	v_fma_f32 v1, -v10, v8, v1
	v_div_fmas_f32 v1, v1, v17, v8
	v_div_fixup_f32 v12, v1, v5, v12
	global_store_dwordx2 v[18:19], v[12:13], off
	v_cvt_f32_f16_sdwa v13, v7 dst_sel:DWORD dst_unused:UNUSED_PAD src0_sel:WORD_1
	v_cvt_f32_f16_e32 v12, v7
	v_cvt_f32_f16_sdwa v19, v3 dst_sel:DWORD dst_unused:UNUSED_PAD src0_sel:WORD_1
	v_cvt_f32_f16_e32 v18, v3
	v_cvt_f32_f16_e32 v20, v9
	v_cvt_f32_f16_sdwa v9, v11 dst_sel:DWORD dst_unused:UNUSED_PAD src0_sel:WORD_1
	v_cvt_f32_f16_e32 v8, v11
	v_pk_fma_f32 v[10:11], v[4:5], v[12:13], 0 op_sel_hi:[0,1,0]
	v_pk_fma_f32 v[10:11], v[14:15], v[18:19], v[10:11] op_sel_hi:[0,1,1]
	;; [unrolled: 1-line block ×4, first 2 shown]
	v_div_scale_f32 v1, s[72:73], v5, v5, v3
	v_rcp_f32_e32 v4, v1
	v_ashrrev_i32_e32 v7, 31, v6
	v_lshl_add_u64 v[6:7], v[40:41], 0, v[6:7]
	v_lshl_add_u64 v[6:7], v[6:7], 3, v[122:123]
	v_fma_f32 v8, -v1, v4, 1.0
	v_fmac_f32_e32 v4, v8, v4
	v_div_scale_f32 v8, vcc, v3, v5, v3
	v_mul_f32_e32 v9, v8, v4
	v_fma_f32 v10, -v1, v9, v8
	v_fmac_f32_e32 v9, v10, v4
	v_fma_f32 v1, -v1, v9, v8
	v_div_scale_f32 v8, s[72:73], v5, v5, v2
	v_rcp_f32_e32 v10, v8
	v_div_fmas_f32 v1, v1, v4, v9
	v_div_fixup_f32 v3, v1, v5, v3
	v_fma_f32 v1, -v8, v10, 1.0
	v_fmac_f32_e32 v10, v1, v10
	v_div_scale_f32 v1, vcc, v2, v5, v2
	v_mul_f32_e32 v4, v1, v10
	v_fma_f32 v9, -v8, v4, v1
	v_fmac_f32_e32 v4, v9, v10
	v_fma_f32 v1, -v8, v4, v1
	v_div_fmas_f32 v1, v1, v10, v4
	v_div_fixup_f32 v2, v1, v5, v2
	v_mov_b32_e32 v1, 0
	global_store_dwordx2 v[6:7], v[2:3], off offset:512
.LBB30_283:                             ;   in Loop: Header=BB30_12 Depth=1
	s_or_b64 exec, exec, s[12:13]
	v_cmp_gt_i32_e32 vcc, s95, v1
	s_mov_b64 s[12:13], -1
	s_and_saveexec_b64 s[72:73], vcc
; %bb.284:                              ;   in Loop: Header=BB30_12 Depth=1
	v_cmp_eq_u32_e32 vcc, 0, v1
	s_orn2_b64 s[12:13], vcc, exec
; %bb.285:                              ;   in Loop: Header=BB30_12 Depth=1
	s_or_b64 exec, exec, s[72:73]
	s_and_b64 exec, exec, s[12:13]
	s_cbranch_execz .LBB30_10
; %bb.286:                              ;   in Loop: Header=BB30_12 Depth=1
	v_accvgpr_read_b32 v1, a39
	v_add_u32_e32 v2, v1, v215
	v_cmp_gt_i32_e32 vcc, s36, v2
	s_and_b64 s[12:13], vcc, s[8:9]
	v_mov_b32_e32 v1, 0x47
	s_and_saveexec_b64 s[8:9], s[12:13]
	s_cbranch_execz .LBB30_288
; %bb.287:                              ;   in Loop: Header=BB30_12 Depth=1
	v_accvgpr_read_b32 v10, a59
	ds_read2st64_b32 v[6:7], v10 offset1:1
	v_accvgpr_read_b32 v16, a40
	ds_read2_b32 v[4:5], v16 offset0:128 offset1:129
	v_mul_lo_u32 v1, v2, s37
	ds_read2st64_b32 v[2:3], v10 offset0:33 offset1:34
	ds_read2st64_b32 v[8:9], v10 offset0:66 offset1:67
	;; [unrolled: 1-line block ×3, first 2 shown]
	s_waitcnt lgkmcnt(4)
	v_cvt_f32_f16_sdwa v13, v6 dst_sel:DWORD dst_unused:UNUSED_PAD src0_sel:WORD_1
	v_cvt_f32_f16_e32 v12, v6
	ds_read2st64_b32 v[14:15], v16 offset0:35 offset1:68
	ds_read_b32 v16, v16 offset:25856
	s_waitcnt lgkmcnt(4)
	v_cvt_f32_f16_sdwa v19, v2 dst_sel:DWORD dst_unused:UNUSED_PAD src0_sel:WORD_1
	v_cvt_f32_f16_e32 v18, v2
	s_waitcnt lgkmcnt(3)
	v_cvt_f32_f16_sdwa v21, v8 dst_sel:DWORD dst_unused:UNUSED_PAD src0_sel:WORD_1
	v_cvt_f32_f16_e32 v20, v8
	;; [unrolled: 3-line block ×3, first 2 shown]
	v_pk_fma_f32 v[12:13], v[4:5], v[12:13], 0 op_sel_hi:[0,1,0]
	s_waitcnt lgkmcnt(1)
	v_pk_fma_f32 v[12:13], v[14:15], v[18:19], v[12:13] op_sel_hi:[0,1,1]
	v_mov_b32_e32 v2, v15
	v_pk_fma_f32 v[12:13], v[2:3], v[20:21], v[12:13] op_sel_hi:[0,1,1]
	s_waitcnt lgkmcnt(0)
	v_pk_fma_f32 v[12:13], v[16:17], v[22:23], v[12:13] op_sel_hi:[0,1,1]
	v_add_lshl_u32 v6, v1, v244, 7
	v_div_scale_f32 v1, s[12:13], v5, v5, v13
	v_rcp_f32_e32 v8, v1
	v_add_u32_e32 v18, v40, v6
	v_ashrrev_i32_e32 v19, 31, v18
	v_lshl_add_u64 v[18:19], v[18:19], 3, v[122:123]
	v_fma_f32 v10, -v1, v8, 1.0
	v_fmac_f32_e32 v8, v10, v8
	v_div_scale_f32 v10, vcc, v13, v5, v13
	v_mul_f32_e32 v15, v10, v8
	v_fma_f32 v17, -v1, v15, v10
	v_fmac_f32_e32 v15, v17, v8
	v_fma_f32 v1, -v1, v15, v10
	v_div_scale_f32 v10, s[12:13], v5, v5, v12
	v_rcp_f32_e32 v17, v10
	v_div_fmas_f32 v1, v1, v8, v15
	v_div_fixup_f32 v13, v1, v5, v13
	v_cvt_f32_f16_sdwa v21, v9 dst_sel:DWORD dst_unused:UNUSED_PAD src0_sel:WORD_1
	v_fma_f32 v1, -v10, v17, 1.0
	v_fmac_f32_e32 v17, v1, v17
	v_div_scale_f32 v1, vcc, v12, v5, v12
	v_mul_f32_e32 v8, v1, v17
	v_fma_f32 v15, -v10, v8, v1
	v_fmac_f32_e32 v8, v15, v17
	v_fma_f32 v1, -v10, v8, v1
	v_div_fmas_f32 v1, v1, v17, v8
	v_div_fixup_f32 v12, v1, v5, v12
	global_store_dwordx2 v[18:19], v[12:13], off
	v_cvt_f32_f16_sdwa v13, v7 dst_sel:DWORD dst_unused:UNUSED_PAD src0_sel:WORD_1
	v_cvt_f32_f16_e32 v12, v7
	v_cvt_f32_f16_sdwa v19, v3 dst_sel:DWORD dst_unused:UNUSED_PAD src0_sel:WORD_1
	v_cvt_f32_f16_e32 v18, v3
	v_cvt_f32_f16_e32 v20, v9
	v_cvt_f32_f16_sdwa v9, v11 dst_sel:DWORD dst_unused:UNUSED_PAD src0_sel:WORD_1
	v_cvt_f32_f16_e32 v8, v11
	v_pk_fma_f32 v[10:11], v[4:5], v[12:13], 0 op_sel_hi:[0,1,0]
	v_pk_fma_f32 v[10:11], v[14:15], v[18:19], v[10:11] op_sel_hi:[0,1,1]
	;; [unrolled: 1-line block ×4, first 2 shown]
	v_div_scale_f32 v1, s[12:13], v5, v5, v3
	v_rcp_f32_e32 v4, v1
	v_ashrrev_i32_e32 v7, 31, v6
	v_lshl_add_u64 v[6:7], v[40:41], 0, v[6:7]
	v_lshl_add_u64 v[6:7], v[6:7], 3, v[122:123]
	v_fma_f32 v8, -v1, v4, 1.0
	v_fmac_f32_e32 v4, v8, v4
	v_div_scale_f32 v8, vcc, v3, v5, v3
	v_mul_f32_e32 v9, v8, v4
	v_fma_f32 v10, -v1, v9, v8
	v_fmac_f32_e32 v9, v10, v4
	v_fma_f32 v1, -v1, v9, v8
	v_div_scale_f32 v8, s[12:13], v5, v5, v2
	v_rcp_f32_e32 v10, v8
	v_div_fmas_f32 v1, v1, v4, v9
	v_div_fixup_f32 v3, v1, v5, v3
	v_fma_f32 v1, -v8, v10, 1.0
	v_fmac_f32_e32 v10, v1, v10
	v_div_scale_f32 v1, vcc, v2, v5, v2
	v_mul_f32_e32 v4, v1, v10
	v_fma_f32 v9, -v8, v4, v1
	v_fmac_f32_e32 v4, v9, v10
	v_fma_f32 v1, -v8, v4, v1
	v_div_fmas_f32 v1, v1, v10, v4
	v_div_fixup_f32 v2, v1, v5, v2
	v_mov_b32_e32 v1, 0
	global_store_dwordx2 v[6:7], v[2:3], off offset:512
.LBB30_288:                             ;   in Loop: Header=BB30_12 Depth=1
	s_or_b64 exec, exec, s[8:9]
	v_cmp_gt_i32_e32 vcc, s95, v1
	s_mov_b64 s[8:9], -1
	s_and_saveexec_b64 s[12:13], vcc
; %bb.289:                              ;   in Loop: Header=BB30_12 Depth=1
	v_cmp_eq_u32_e32 vcc, 0, v1
	s_orn2_b64 s[8:9], vcc, exec
; %bb.290:                              ;   in Loop: Header=BB30_12 Depth=1
	s_or_b64 exec, exec, s[12:13]
	s_and_b64 exec, exec, s[8:9]
	s_cbranch_execz .LBB30_10
; %bb.291:                              ;   in Loop: Header=BB30_12 Depth=1
	v_accvgpr_read_b32 v1, a41
	v_add_u32_e32 v2, v1, v215
	v_accvgpr_read_b32 v1, a42
	v_or_b32_e32 v1, v1, v43
	v_cmp_gt_i32_e32 vcc, s36, v2
	v_cmp_gt_i32_e64 s[8:9], s74, v1
	s_and_b64 s[12:13], vcc, s[8:9]
	v_mov_b32_e32 v1, 0x47
	s_and_saveexec_b64 s[8:9], s[12:13]
	s_cbranch_execz .LBB30_293
; %bb.292:                              ;   in Loop: Header=BB30_12 Depth=1
	v_accvgpr_read_b32 v10, a60
	ds_read2st64_b32 v[6:7], v10 offset1:1
	v_accvgpr_read_b32 v16, a43
	ds_read2_b32 v[4:5], v16 offset0:128 offset1:129
	v_mul_lo_u32 v1, v2, s37
	ds_read2st64_b32 v[2:3], v10 offset0:33 offset1:34
	ds_read2st64_b32 v[8:9], v10 offset0:66 offset1:67
	;; [unrolled: 1-line block ×3, first 2 shown]
	s_waitcnt lgkmcnt(4)
	v_cvt_f32_f16_sdwa v13, v6 dst_sel:DWORD dst_unused:UNUSED_PAD src0_sel:WORD_1
	v_cvt_f32_f16_e32 v12, v6
	ds_read2st64_b32 v[14:15], v16 offset0:35 offset1:68
	ds_read_b32 v16, v16 offset:25856
	s_waitcnt lgkmcnt(4)
	v_cvt_f32_f16_sdwa v19, v2 dst_sel:DWORD dst_unused:UNUSED_PAD src0_sel:WORD_1
	v_cvt_f32_f16_e32 v18, v2
	s_waitcnt lgkmcnt(3)
	v_cvt_f32_f16_sdwa v21, v8 dst_sel:DWORD dst_unused:UNUSED_PAD src0_sel:WORD_1
	v_cvt_f32_f16_e32 v20, v8
	;; [unrolled: 3-line block ×3, first 2 shown]
	v_pk_fma_f32 v[12:13], v[4:5], v[12:13], 0 op_sel_hi:[0,1,0]
	s_waitcnt lgkmcnt(1)
	v_pk_fma_f32 v[12:13], v[14:15], v[18:19], v[12:13] op_sel_hi:[0,1,1]
	v_mov_b32_e32 v2, v15
	v_pk_fma_f32 v[12:13], v[2:3], v[20:21], v[12:13] op_sel_hi:[0,1,1]
	v_accvgpr_read_b32 v6, a42
	s_waitcnt lgkmcnt(0)
	v_pk_fma_f32 v[12:13], v[16:17], v[22:23], v[12:13] op_sel_hi:[0,1,1]
	v_add_lshl_u32 v6, v1, v6, 7
	v_div_scale_f32 v1, s[12:13], v5, v5, v13
	v_rcp_f32_e32 v8, v1
	v_add_u32_e32 v18, v40, v6
	v_ashrrev_i32_e32 v19, 31, v18
	v_lshl_add_u64 v[18:19], v[18:19], 3, v[122:123]
	v_fma_f32 v10, -v1, v8, 1.0
	v_fmac_f32_e32 v8, v10, v8
	v_div_scale_f32 v10, vcc, v13, v5, v13
	v_mul_f32_e32 v15, v10, v8
	v_fma_f32 v17, -v1, v15, v10
	v_fmac_f32_e32 v15, v17, v8
	v_fma_f32 v1, -v1, v15, v10
	v_div_scale_f32 v10, s[12:13], v5, v5, v12
	v_rcp_f32_e32 v17, v10
	v_div_fmas_f32 v1, v1, v8, v15
	v_div_fixup_f32 v13, v1, v5, v13
	v_cvt_f32_f16_sdwa v21, v9 dst_sel:DWORD dst_unused:UNUSED_PAD src0_sel:WORD_1
	v_fma_f32 v1, -v10, v17, 1.0
	v_fmac_f32_e32 v17, v1, v17
	v_div_scale_f32 v1, vcc, v12, v5, v12
	v_mul_f32_e32 v8, v1, v17
	v_fma_f32 v15, -v10, v8, v1
	v_fmac_f32_e32 v8, v15, v17
	v_fma_f32 v1, -v10, v8, v1
	v_div_fmas_f32 v1, v1, v17, v8
	v_div_fixup_f32 v12, v1, v5, v12
	global_store_dwordx2 v[18:19], v[12:13], off
	v_cvt_f32_f16_sdwa v13, v7 dst_sel:DWORD dst_unused:UNUSED_PAD src0_sel:WORD_1
	v_cvt_f32_f16_e32 v12, v7
	v_cvt_f32_f16_sdwa v19, v3 dst_sel:DWORD dst_unused:UNUSED_PAD src0_sel:WORD_1
	v_cvt_f32_f16_e32 v18, v3
	v_cvt_f32_f16_e32 v20, v9
	v_cvt_f32_f16_sdwa v9, v11 dst_sel:DWORD dst_unused:UNUSED_PAD src0_sel:WORD_1
	v_cvt_f32_f16_e32 v8, v11
	v_pk_fma_f32 v[10:11], v[4:5], v[12:13], 0 op_sel_hi:[0,1,0]
	v_pk_fma_f32 v[10:11], v[14:15], v[18:19], v[10:11] op_sel_hi:[0,1,1]
	;; [unrolled: 1-line block ×4, first 2 shown]
	v_div_scale_f32 v1, s[12:13], v5, v5, v3
	v_rcp_f32_e32 v4, v1
	v_ashrrev_i32_e32 v7, 31, v6
	v_lshl_add_u64 v[6:7], v[40:41], 0, v[6:7]
	v_lshl_add_u64 v[6:7], v[6:7], 3, v[122:123]
	v_fma_f32 v8, -v1, v4, 1.0
	v_fmac_f32_e32 v4, v8, v4
	v_div_scale_f32 v8, vcc, v3, v5, v3
	v_mul_f32_e32 v9, v8, v4
	v_fma_f32 v10, -v1, v9, v8
	v_fmac_f32_e32 v9, v10, v4
	v_fma_f32 v1, -v1, v9, v8
	v_div_scale_f32 v8, s[12:13], v5, v5, v2
	v_rcp_f32_e32 v10, v8
	v_div_fmas_f32 v1, v1, v4, v9
	v_div_fixup_f32 v3, v1, v5, v3
	v_fma_f32 v1, -v8, v10, 1.0
	v_fmac_f32_e32 v10, v1, v10
	v_div_scale_f32 v1, vcc, v2, v5, v2
	v_mul_f32_e32 v4, v1, v10
	v_fma_f32 v9, -v8, v4, v1
	v_fmac_f32_e32 v4, v9, v10
	v_fma_f32 v1, -v8, v4, v1
	v_div_fmas_f32 v1, v1, v10, v4
	v_div_fixup_f32 v2, v1, v5, v2
	v_mov_b32_e32 v1, 0
	global_store_dwordx2 v[6:7], v[2:3], off offset:512
.LBB30_293:                             ;   in Loop: Header=BB30_12 Depth=1
	s_or_b64 exec, exec, s[8:9]
	v_cmp_gt_i32_e32 vcc, s95, v1
	s_mov_b64 s[8:9], -1
	s_and_saveexec_b64 s[12:13], vcc
; %bb.294:                              ;   in Loop: Header=BB30_12 Depth=1
	v_cmp_eq_u32_e32 vcc, 0, v1
	s_orn2_b64 s[8:9], vcc, exec
; %bb.295:                              ;   in Loop: Header=BB30_12 Depth=1
	s_or_b64 exec, exec, s[12:13]
	s_and_b64 exec, exec, s[8:9]
	s_cbranch_execz .LBB30_10
; %bb.296:                              ;   in Loop: Header=BB30_12 Depth=1
	v_accvgpr_read_b32 v1, a44
	v_add_u32_e32 v2, v1, v215
	v_accvgpr_read_b32 v1, a45
	v_or_b32_e32 v1, v1, v43
	v_cmp_gt_i32_e32 vcc, s36, v2
	v_cmp_gt_i32_e64 s[8:9], s74, v1
	s_and_b64 s[12:13], vcc, s[8:9]
	v_mov_b32_e32 v1, 0x47
	s_and_saveexec_b64 s[8:9], s[12:13]
	s_cbranch_execz .LBB30_298
; %bb.297:                              ;   in Loop: Header=BB30_12 Depth=1
	v_accvgpr_read_b32 v10, a61
	ds_read2st64_b32 v[6:7], v10 offset1:1
	v_accvgpr_read_b32 v16, a46
	ds_read2_b32 v[4:5], v16 offset0:128 offset1:129
	v_mul_lo_u32 v1, v2, s37
	ds_read2st64_b32 v[2:3], v10 offset0:33 offset1:34
	ds_read2st64_b32 v[8:9], v10 offset0:66 offset1:67
	;; [unrolled: 1-line block ×3, first 2 shown]
	s_waitcnt lgkmcnt(4)
	v_cvt_f32_f16_sdwa v13, v6 dst_sel:DWORD dst_unused:UNUSED_PAD src0_sel:WORD_1
	v_cvt_f32_f16_e32 v12, v6
	ds_read2st64_b32 v[14:15], v16 offset0:35 offset1:68
	ds_read_b32 v16, v16 offset:25856
	s_waitcnt lgkmcnt(4)
	v_cvt_f32_f16_sdwa v19, v2 dst_sel:DWORD dst_unused:UNUSED_PAD src0_sel:WORD_1
	v_cvt_f32_f16_e32 v18, v2
	s_waitcnt lgkmcnt(3)
	v_cvt_f32_f16_sdwa v21, v8 dst_sel:DWORD dst_unused:UNUSED_PAD src0_sel:WORD_1
	v_cvt_f32_f16_e32 v20, v8
	;; [unrolled: 3-line block ×3, first 2 shown]
	v_pk_fma_f32 v[12:13], v[4:5], v[12:13], 0 op_sel_hi:[0,1,0]
	s_waitcnt lgkmcnt(1)
	v_pk_fma_f32 v[12:13], v[14:15], v[18:19], v[12:13] op_sel_hi:[0,1,1]
	v_mov_b32_e32 v2, v15
	v_pk_fma_f32 v[12:13], v[2:3], v[20:21], v[12:13] op_sel_hi:[0,1,1]
	v_accvgpr_read_b32 v6, a45
	s_waitcnt lgkmcnt(0)
	v_pk_fma_f32 v[12:13], v[16:17], v[22:23], v[12:13] op_sel_hi:[0,1,1]
	v_add_lshl_u32 v6, v1, v6, 7
	v_div_scale_f32 v1, s[12:13], v5, v5, v13
	v_rcp_f32_e32 v8, v1
	v_add_u32_e32 v18, v40, v6
	v_ashrrev_i32_e32 v19, 31, v18
	v_lshl_add_u64 v[18:19], v[18:19], 3, v[122:123]
	v_fma_f32 v10, -v1, v8, 1.0
	v_fmac_f32_e32 v8, v10, v8
	v_div_scale_f32 v10, vcc, v13, v5, v13
	v_mul_f32_e32 v15, v10, v8
	v_fma_f32 v17, -v1, v15, v10
	v_fmac_f32_e32 v15, v17, v8
	v_fma_f32 v1, -v1, v15, v10
	v_div_scale_f32 v10, s[12:13], v5, v5, v12
	v_rcp_f32_e32 v17, v10
	v_div_fmas_f32 v1, v1, v8, v15
	v_div_fixup_f32 v13, v1, v5, v13
	v_cvt_f32_f16_sdwa v21, v9 dst_sel:DWORD dst_unused:UNUSED_PAD src0_sel:WORD_1
	v_fma_f32 v1, -v10, v17, 1.0
	v_fmac_f32_e32 v17, v1, v17
	v_div_scale_f32 v1, vcc, v12, v5, v12
	v_mul_f32_e32 v8, v1, v17
	v_fma_f32 v15, -v10, v8, v1
	v_fmac_f32_e32 v8, v15, v17
	v_fma_f32 v1, -v10, v8, v1
	v_div_fmas_f32 v1, v1, v17, v8
	v_div_fixup_f32 v12, v1, v5, v12
	global_store_dwordx2 v[18:19], v[12:13], off
	v_cvt_f32_f16_sdwa v13, v7 dst_sel:DWORD dst_unused:UNUSED_PAD src0_sel:WORD_1
	v_cvt_f32_f16_e32 v12, v7
	v_cvt_f32_f16_sdwa v19, v3 dst_sel:DWORD dst_unused:UNUSED_PAD src0_sel:WORD_1
	v_cvt_f32_f16_e32 v18, v3
	v_cvt_f32_f16_e32 v20, v9
	v_cvt_f32_f16_sdwa v9, v11 dst_sel:DWORD dst_unused:UNUSED_PAD src0_sel:WORD_1
	v_cvt_f32_f16_e32 v8, v11
	v_pk_fma_f32 v[10:11], v[4:5], v[12:13], 0 op_sel_hi:[0,1,0]
	v_pk_fma_f32 v[10:11], v[14:15], v[18:19], v[10:11] op_sel_hi:[0,1,1]
	;; [unrolled: 1-line block ×4, first 2 shown]
	v_div_scale_f32 v1, s[12:13], v5, v5, v3
	v_rcp_f32_e32 v4, v1
	v_ashrrev_i32_e32 v7, 31, v6
	v_lshl_add_u64 v[6:7], v[40:41], 0, v[6:7]
	v_lshl_add_u64 v[6:7], v[6:7], 3, v[122:123]
	v_fma_f32 v8, -v1, v4, 1.0
	v_fmac_f32_e32 v4, v8, v4
	v_div_scale_f32 v8, vcc, v3, v5, v3
	v_mul_f32_e32 v9, v8, v4
	v_fma_f32 v10, -v1, v9, v8
	v_fmac_f32_e32 v9, v10, v4
	v_fma_f32 v1, -v1, v9, v8
	v_div_scale_f32 v8, s[12:13], v5, v5, v2
	v_rcp_f32_e32 v10, v8
	v_div_fmas_f32 v1, v1, v4, v9
	v_div_fixup_f32 v3, v1, v5, v3
	v_fma_f32 v1, -v8, v10, 1.0
	v_fmac_f32_e32 v10, v1, v10
	v_div_scale_f32 v1, vcc, v2, v5, v2
	v_mul_f32_e32 v4, v1, v10
	v_fma_f32 v9, -v8, v4, v1
	v_fmac_f32_e32 v4, v9, v10
	v_fma_f32 v1, -v8, v4, v1
	v_div_fmas_f32 v1, v1, v10, v4
	v_div_fixup_f32 v2, v1, v5, v2
	v_mov_b32_e32 v1, 0
	global_store_dwordx2 v[6:7], v[2:3], off offset:512
.LBB30_298:                             ;   in Loop: Header=BB30_12 Depth=1
	s_or_b64 exec, exec, s[8:9]
	v_cmp_gt_i32_e32 vcc, s95, v1
	s_mov_b64 s[8:9], -1
	s_and_saveexec_b64 s[12:13], vcc
; %bb.299:                              ;   in Loop: Header=BB30_12 Depth=1
	v_cmp_eq_u32_e32 vcc, 0, v1
	s_orn2_b64 s[8:9], vcc, exec
; %bb.300:                              ;   in Loop: Header=BB30_12 Depth=1
	s_or_b64 exec, exec, s[12:13]
	s_and_b64 exec, exec, s[8:9]
	s_cbranch_execz .LBB30_10
; %bb.301:                              ;   in Loop: Header=BB30_12 Depth=1
	v_accvgpr_read_b32 v1, a47
	v_accvgpr_read_b32 v2, a48
	v_add_u32_e32 v1, v1, v215
	v_or_b32_e32 v2, v2, v43
	v_cmp_gt_i32_e32 vcc, s36, v1
	v_cmp_gt_i32_e64 s[8:9], s74, v2
	s_and_b64 s[8:9], vcc, s[8:9]
	s_and_b64 exec, exec, s[8:9]
	s_cbranch_execz .LBB30_10
; %bb.302:                              ;   in Loop: Header=BB30_12 Depth=1
	v_accvgpr_read_b32 v10, a62
	ds_read2st64_b32 v[4:5], v10 offset1:1
	v_accvgpr_read_b32 v16, a49
	ds_read2_b32 v[2:3], v16 offset0:128 offset1:129
	ds_read2st64_b32 v[6:7], v10 offset0:33 offset1:34
	ds_read2st64_b32 v[8:9], v10 offset0:66 offset1:67
	ds_read2st64_b32 v[10:11], v10 offset0:99 offset1:100
	ds_read2st64_b32 v[14:15], v16 offset0:35 offset1:68
	ds_read_b32 v16, v16 offset:25856
	s_waitcnt lgkmcnt(6)
	v_cvt_f32_f16_sdwa v13, v4 dst_sel:DWORD dst_unused:UNUSED_PAD src0_sel:WORD_1
	v_cvt_f32_f16_e32 v12, v4
	s_waitcnt lgkmcnt(4)
	v_cvt_f32_f16_sdwa v19, v6 dst_sel:DWORD dst_unused:UNUSED_PAD src0_sel:WORD_1
	v_cvt_f32_f16_e32 v18, v6
	;; [unrolled: 3-line block ×4, first 2 shown]
	v_pk_fma_f32 v[12:13], v[2:3], v[12:13], 0 op_sel_hi:[0,1,0]
	s_waitcnt lgkmcnt(1)
	v_pk_fma_f32 v[12:13], v[14:15], v[18:19], v[12:13] op_sel_hi:[0,1,1]
	v_mov_b32_e32 v6, v15
	v_pk_fma_f32 v[12:13], v[6:7], v[20:21], v[12:13] op_sel_hi:[0,1,1]
	v_mul_lo_u32 v1, v1, s37
	v_accvgpr_read_b32 v4, a48
	s_waitcnt lgkmcnt(0)
	v_pk_fma_f32 v[12:13], v[16:17], v[22:23], v[12:13] op_sel_hi:[0,1,1]
	v_add_lshl_u32 v4, v1, v4, 7
	v_div_scale_f32 v1, s[8:9], v3, v3, v13
	v_rcp_f32_e32 v8, v1
	v_add_u32_e32 v18, v40, v4
	v_ashrrev_i32_e32 v19, 31, v18
	v_lshl_add_u64 v[18:19], v[18:19], 3, v[122:123]
	v_fma_f32 v10, -v1, v8, 1.0
	v_fmac_f32_e32 v8, v10, v8
	v_div_scale_f32 v10, vcc, v13, v3, v13
	v_mul_f32_e32 v15, v10, v8
	v_fma_f32 v17, -v1, v15, v10
	v_fmac_f32_e32 v15, v17, v8
	v_fma_f32 v1, -v1, v15, v10
	v_div_scale_f32 v10, s[8:9], v3, v3, v12
	v_rcp_f32_e32 v17, v10
	v_div_fmas_f32 v1, v1, v8, v15
	v_div_fixup_f32 v13, v1, v3, v13
	v_cvt_f32_f16_sdwa v21, v9 dst_sel:DWORD dst_unused:UNUSED_PAD src0_sel:WORD_1
	v_fma_f32 v1, -v10, v17, 1.0
	v_fmac_f32_e32 v17, v1, v17
	v_div_scale_f32 v1, vcc, v12, v3, v12
	v_mul_f32_e32 v8, v1, v17
	v_fma_f32 v15, -v10, v8, v1
	v_fmac_f32_e32 v8, v15, v17
	v_fma_f32 v1, -v10, v8, v1
	v_div_fmas_f32 v1, v1, v17, v8
	v_div_fixup_f32 v12, v1, v3, v12
	global_store_dwordx2 v[18:19], v[12:13], off
	v_cvt_f32_f16_sdwa v13, v5 dst_sel:DWORD dst_unused:UNUSED_PAD src0_sel:WORD_1
	v_cvt_f32_f16_e32 v12, v5
	v_cvt_f32_f16_sdwa v19, v7 dst_sel:DWORD dst_unused:UNUSED_PAD src0_sel:WORD_1
	v_cvt_f32_f16_e32 v18, v7
	v_cvt_f32_f16_e32 v20, v9
	v_cvt_f32_f16_sdwa v9, v11 dst_sel:DWORD dst_unused:UNUSED_PAD src0_sel:WORD_1
	v_cvt_f32_f16_e32 v8, v11
	v_pk_fma_f32 v[10:11], v[2:3], v[12:13], 0 op_sel_hi:[0,1,0]
	v_pk_fma_f32 v[10:11], v[14:15], v[18:19], v[10:11] op_sel_hi:[0,1,1]
	;; [unrolled: 1-line block ×4, first 2 shown]
	v_div_scale_f32 v1, s[8:9], v3, v3, v7
	v_rcp_f32_e32 v2, v1
	v_ashrrev_i32_e32 v5, 31, v4
	v_lshl_add_u64 v[4:5], v[40:41], 0, v[4:5]
	v_lshl_add_u64 v[4:5], v[4:5], 3, v[122:123]
	v_fma_f32 v8, -v1, v2, 1.0
	v_fmac_f32_e32 v2, v8, v2
	v_div_scale_f32 v8, vcc, v7, v3, v7
	v_mul_f32_e32 v9, v8, v2
	v_fma_f32 v10, -v1, v9, v8
	v_fmac_f32_e32 v9, v10, v2
	v_fma_f32 v1, -v1, v9, v8
	v_div_scale_f32 v8, s[8:9], v3, v3, v6
	v_rcp_f32_e32 v10, v8
	v_div_fmas_f32 v1, v1, v2, v9
	v_div_fixup_f32 v7, v1, v3, v7
	v_fma_f32 v1, -v8, v10, 1.0
	v_fmac_f32_e32 v10, v1, v10
	v_div_scale_f32 v1, vcc, v6, v3, v6
	v_mul_f32_e32 v2, v1, v10
	v_fma_f32 v9, -v8, v2, v1
	v_fmac_f32_e32 v2, v9, v10
	v_fma_f32 v1, -v8, v2, v1
	v_div_fmas_f32 v1, v1, v10, v2
	v_div_fixup_f32 v6, v1, v3, v6
	global_store_dwordx2 v[4:5], v[6:7], off offset:512
	s_branch .LBB30_10
.LBB30_303:
	v_accvgpr_read_b32 v185, a4
	v_accvgpr_read_b32 v183, a5
	;; [unrolled: 1-line block ×7, first 2 shown]
	s_andn2_b64 vcc, exec, s[8:9]
	s_cbranch_vccnz .LBB30_8
.LBB30_304:
	s_abs_i32 s0, s78
	v_cvt_f32_u32_e32 v1, s0
	s_sub_i32 s5, 0, s0
	s_abs_i32 s4, s54
	s_xor_b32 s1, s54, s78
	v_rcp_iflag_f32_e32 v1, v1
	s_ashr_i32 s1, s1, 31
	v_mul_f32_e32 v1, 0x4f7ffffe, v1
	v_cvt_u32_f32_e32 v1, v1
	s_nop 0
	v_readfirstlane_b32 s6, v1
	s_mul_i32 s5, s5, s6
	s_mul_hi_u32 s5, s6, s5
	s_add_i32 s6, s6, s5
	s_mul_hi_u32 s5, s4, s6
	s_mul_i32 s6, s5, s0
	s_sub_i32 s4, s4, s6
	s_add_i32 s7, s5, 1
	s_sub_i32 s6, s4, s0
	s_cmp_ge_u32 s4, s0
	s_cselect_b32 s5, s7, s5
	s_cselect_b32 s4, s6, s4
	s_add_i32 s6, s5, 1
	s_cmp_ge_u32 s4, s0
	s_cselect_b32 s0, s6, s5
	s_abs_i32 s4, s77
	v_cvt_f32_u32_e32 v1, s4
	s_xor_b32 s0, s0, s1
	s_sub_i32 s5, 0, s4
	s_sub_i32 s8, s0, s1
	v_rcp_iflag_f32_e32 v1, v1
	s_mul_i32 s0, s8, s78
	s_sub_i32 s0, s54, s0
	s_abs_i32 s6, s0
	v_mul_f32_e32 v1, 0x4f7ffffe, v1
	v_cvt_u32_f32_e32 v1, v1
	s_xor_b32 s1, s0, s77
	s_ashr_i32 s1, s1, 31
	v_readfirstlane_b32 s7, v1
	s_mul_i32 s5, s5, s7
	s_mul_hi_u32 s5, s7, s5
	s_add_i32 s7, s7, s5
	s_mul_hi_u32 s5, s6, s7
	s_mul_i32 s7, s5, s4
	s_sub_i32 s6, s6, s7
	s_add_i32 s9, s5, 1
	s_sub_i32 s7, s6, s4
	s_cmp_ge_u32 s6, s4
	s_cselect_b32 s5, s9, s5
	s_cselect_b32 s6, s7, s6
	s_add_i32 s7, s5, 1
	s_cmp_ge_u32 s6, s4
	s_cselect_b32 s4, s7, s5
	s_abs_i32 s5, s76
	v_cvt_f32_u32_e32 v1, s5
	s_xor_b32 s4, s4, s1
	s_sub_i32 s6, 0, s5
	s_sub_i32 s9, s4, s1
	v_rcp_iflag_f32_e32 v1, v1
	s_mul_i32 s1, s9, s77
	s_sub_i32 s1, s0, s1
	s_abs_i32 s4, s1
	v_mul_f32_e32 v1, 0x4f7ffffe, v1
	v_cvt_u32_f32_e32 v1, v1
	s_xor_b32 s0, s1, s76
	s_ashr_i32 s0, s0, 31
	v_readfirstlane_b32 s7, v1
	s_mul_i32 s6, s6, s7
	s_mul_hi_u32 s6, s7, s6
	s_add_i32 s7, s7, s6
	s_mul_hi_u32 s6, s4, s7
	s_mul_i32 s7, s6, s5
	s_sub_i32 s4, s4, s7
	s_add_i32 s10, s6, 1
	s_sub_i32 s7, s4, s5
	s_cmp_ge_u32 s4, s5
	s_cselect_b32 s6, s10, s6
	s_cselect_b32 s4, s7, s4
	s_add_i32 s7, s6, 1
	s_cmp_ge_u32 s4, s5
	s_cselect_b32 s4, s7, s6
	s_xor_b32 s4, s4, s0
	s_sub_i32 s0, s4, s0
	s_mul_i32 s4, s0, s76
	s_sub_i32 s1, s1, s4
	s_ashr_i32 s4, s1, 31
	s_abs_i32 s1, s1
	s_mul_hi_u32 s5, s1, s52
	s_mul_i32 s6, s5, s81
	s_sub_i32 s1, s1, s6
	s_xor_b32 s4, s4, s42
	s_add_i32 s6, s5, 1
	s_sub_i32 s7, s1, s81
	s_cmp_ge_u32 s1, s81
	s_cselect_b32 s5, s6, s5
	s_cselect_b32 s1, s7, s1
	s_add_i32 s6, s5, 1
	s_cmp_ge_u32 s1, s81
	s_cselect_b32 s1, s6, s5
	s_abs_i32 s10, s56
	v_cvt_f32_u32_e32 v1, s10
	s_xor_b32 s1, s1, s4
	s_sub_i32 s1, s1, s4
	s_cmp_eq_u64 s[26:27], 0
	v_rcp_iflag_f32_e32 v1, v1
	s_nop 0
	v_mul_f32_e32 v1, 0x4f7ffffe, v1
	v_cvt_u32_f32_e32 v1, v1
	s_nop 0
	v_readfirstlane_b32 s11, v1
	s_cbranch_scc1 .LBB30_306
; %bb.305:
	s_mul_i32 s4, s8, s75
	s_add_i32 s4, s1, s4
	s_ashr_i32 s5, s4, 31
	s_lshl_b64 s[4:5], s[4:5], 2
	s_add_u32 s4, s26, s4
	s_addc_u32 s5, s27, s5
	v_mov_b32_e32 v1, 0
	global_load_dword v1, v1, s[4:5]
	s_waitcnt vmcnt(0)
	v_ashrrev_i32_e32 v2, 31, v1
	v_lshrrev_b32_e32 v2, 26, v2
	v_add_u32_e32 v1, v1, v2
	v_ashrrev_i32_e32 v1, 6, v1
	v_min_i32_e32 v146, v146, v1
.LBB30_306:
	s_mul_i32 s4, s9, s74
	s_lshl_b32 s5, s0, 2
	s_add_i32 s0, s5, s4
	s_mul_i32 s4, s8, s49
	s_ashr_i32 s6, s4, 31
	s_add_u32 s4, s16, s4
	s_mul_i32 s0, s0, s48
	s_addc_u32 s7, s17, s6
	s_ashr_i32 s12, s0, 31
	s_add_u32 s6, s4, s0
	s_addc_u32 s7, s7, s12
	s_lshl_b32 s12, s1, 2
	v_bfe_u32 v73, v88, 2, 8
	v_and_b32_e32 v72, 0x3ff, v0
	v_add_u32_e32 v2, s12, v73
	v_or_b32_e32 v0, s5, v168
	v_cmp_le_i32_e64 s[0:1], s36, v2
	v_cmp_le_i32_e64 s[4:5], s74, v0
	s_mov_b32 s13, 0x10001
	v_lshl_add_u32 v1, v72, 2, 0
	v_cmp_gt_i32_e32 vcc, s74, v0
	s_or_b64 s[0:1], s[0:1], s[4:5]
	s_and_saveexec_b64 s[4:5], s[0:1]
	s_xor_b64 s[0:1], exec, s[4:5]
; %bb.307:
	s_movk_i32 s4, 0x210
	v_mad_u32_u24 v0, v85, s4, v1
	v_mov_b32_e32 v2, 0
	ds_write2st64_b32 v0, v2, v2 offset1:1
                                        ; implicit-def: $vgpr2
; %bb.308:
	s_or_saveexec_b64 s[0:1], s[0:1]
	v_mul_lo_u32 v0, v87, s13
	v_lshlrev_b32_e32 v74, 2, v72
	s_xor_b64 exec, exec, s[0:1]
	s_cbranch_execz .LBB30_310
; %bb.309:
	v_mul_lo_u32 v2, v2, s55
	v_mul_lo_u32 v3, v168, s80
	v_add3_u32 v2, v2, v3, v72
	v_ashrrev_i32_e32 v3, 31, v2
	v_lshl_add_u64 v[2:3], v[2:3], 3, s[6:7]
	global_load_dwordx2 v[4:5], v[2:3], off
	global_load_dwordx2 v[6:7], v[2:3], off offset:512
	v_mul_u32_u24_e32 v2, 0x210, v85
	v_add3_u32 v2, 0, v2, v74
	s_waitcnt vmcnt(1)
	v_cvt_pk_f16_f32 v3, v4, v5
	s_waitcnt vmcnt(0)
	v_cvt_pk_f16_f32 v4, v6, v7
	v_pk_mul_f16 v3, v3, v0
	v_pk_mul_f16 v4, v4, v0
	ds_write2st64_b32 v2, v3, v4 offset1:1
.LBB30_310:
	s_or_b64 exec, exec, s[0:1]
	v_lshrrev_b32_e32 v2, 2, v86
	v_add_u32_e32 v2, s12, v2
	v_cmp_le_i32_e64 s[0:1], s36, v2
	s_xor_b64 s[4:5], vcc, -1
	s_sub_i32 s13, 0, s10
	s_or_b64 s[0:1], s[0:1], s[4:5]
	s_and_saveexec_b64 s[16:17], s[0:1]
	s_xor_b64 s[0:1], exec, s[16:17]
; %bb.311:
	s_movk_i32 s15, 0x210
	v_mad_u32_u24 v2, v86, s15, v1
	v_mov_b32_e32 v3, 0
	ds_write2st64_b32 v2, v3, v3 offset1:1
                                        ; implicit-def: $vgpr2
                                        ; implicit-def: $vgpr86
; %bb.312:
	s_or_saveexec_b64 s[0:1], s[0:1]
	s_mul_i32 s13, s13, s11
	s_xor_b64 exec, exec, s[0:1]
	s_cbranch_execz .LBB30_314
; %bb.313:
	v_mul_lo_u32 v2, v2, s55
	v_mul_lo_u32 v3, v168, s80
	v_add3_u32 v2, v2, v3, v72
	v_ashrrev_i32_e32 v3, 31, v2
	v_lshl_add_u64 v[2:3], v[2:3], 3, s[6:7]
	global_load_dwordx2 v[4:5], v[2:3], off
	global_load_dwordx2 v[6:7], v[2:3], off offset:512
	v_mul_u32_u24_e32 v2, 0x210, v86
	v_add3_u32 v2, 0, v2, v74
	s_waitcnt vmcnt(1)
	v_cvt_pk_f16_f32 v3, v4, v5
	s_waitcnt vmcnt(0)
	v_cvt_pk_f16_f32 v4, v6, v7
	v_pk_mul_f16 v3, v3, v0
	v_pk_mul_f16 v4, v4, v0
	ds_write2st64_b32 v2, v3, v4 offset1:1
.LBB30_314:
	s_or_b64 exec, exec, s[0:1]
	v_lshrrev_b32_e32 v2, 2, v84
	v_add_u32_e32 v2, s12, v2
	v_cmp_le_i32_e32 vcc, s36, v2
	s_mul_hi_u32 s13, s11, s13
	s_or_b64 s[0:1], vcc, s[4:5]
	s_and_saveexec_b64 s[16:17], s[0:1]
	s_xor_b64 s[0:1], exec, s[16:17]
; %bb.315:
	s_movk_i32 s15, 0x210
	v_mad_u32_u24 v2, v84, s15, v1
	v_mov_b32_e32 v3, 0
	ds_write2st64_b32 v2, v3, v3 offset1:1
                                        ; implicit-def: $vgpr2
                                        ; implicit-def: $vgpr84
; %bb.316:
	s_or_saveexec_b64 s[0:1], s[0:1]
	s_abs_i32 s16, s8
	s_add_i32 s11, s11, s13
	s_xor_b64 exec, exec, s[0:1]
	s_cbranch_execz .LBB30_318
; %bb.317:
	v_mul_lo_u32 v2, v2, s55
	v_mul_lo_u32 v3, v168, s80
	v_add3_u32 v2, v2, v3, v72
	v_ashrrev_i32_e32 v3, 31, v2
	v_lshl_add_u64 v[2:3], v[2:3], 3, s[6:7]
	global_load_dwordx2 v[4:5], v[2:3], off
	global_load_dwordx2 v[6:7], v[2:3], off offset:512
	v_mul_u32_u24_e32 v2, 0x210, v84
	v_add3_u32 v2, 0, v2, v74
	s_waitcnt vmcnt(1)
	v_cvt_pk_f16_f32 v3, v4, v5
	s_waitcnt vmcnt(0)
	v_cvt_pk_f16_f32 v4, v6, v7
	v_pk_mul_f16 v3, v3, v0
	v_pk_mul_f16 v4, v4, v0
	ds_write2st64_b32 v2, v3, v4 offset1:1
.LBB30_318:
	s_or_b64 exec, exec, s[0:1]
	v_lshrrev_b32_e32 v2, 2, v47
	v_add_u32_e32 v2, s12, v2
	v_cmp_le_i32_e32 vcc, s36, v2
	s_mul_hi_u32 s11, s16, s11
	s_or_b64 s[0:1], vcc, s[4:5]
	s_and_saveexec_b64 s[4:5], s[0:1]
	s_xor_b64 s[0:1], exec, s[4:5]
; %bb.319:
	s_movk_i32 s4, 0x210
	v_mad_u32_u24 v0, v47, s4, v1
	v_mov_b32_e32 v1, 0
	ds_write2st64_b32 v0, v1, v1 offset1:1
                                        ; implicit-def: $vgpr2
                                        ; implicit-def: $vgpr47
                                        ; implicit-def: $vgpr0
; %bb.320:
	s_or_saveexec_b64 s[0:1], s[0:1]
	s_ashr_i32 s17, s8, 31
	s_xor_b64 exec, exec, s[0:1]
	s_cbranch_execz .LBB30_322
; %bb.321:
	v_mul_lo_u32 v1, v2, s55
	v_mul_lo_u32 v2, v168, s80
	v_add3_u32 v2, v1, v2, v72
	v_ashrrev_i32_e32 v3, 31, v2
	v_lshl_add_u64 v[2:3], v[2:3], 3, s[6:7]
	global_load_dwordx2 v[4:5], v[2:3], off
	global_load_dwordx2 v[6:7], v[2:3], off offset:512
	v_mul_u32_u24_e32 v1, 0x210, v47
	v_add3_u32 v1, 0, v1, v74
	s_waitcnt vmcnt(1)
	v_cvt_pk_f16_f32 v2, v4, v5
	s_waitcnt vmcnt(0)
	v_cvt_pk_f16_f32 v3, v6, v7
	v_pk_mul_f16 v2, v2, v0
	v_pk_mul_f16 v0, v3, v0
	ds_write2st64_b32 v1, v2, v0 offset1:1
.LBB30_322:
	s_or_b64 exec, exec, s[0:1]
	s_mul_hi_u32 s0, s40, s8
	s_mul_i32 s1, s40, s17
	s_add_i32 s0, s0, s1
	s_mul_i32 s1, s41, s8
	s_add_i32 s0, s0, s1
	s_mul_i32 s1, s40, s8
	s_add_u32 s1, s18, s1
	s_mul_i32 s4, s9, s53
	s_addc_u32 s0, s19, s0
	s_ashr_i32 s5, s4, 31
	s_add_u32 s13, s1, s4
	s_mul_i32 s11, s11, s10
	s_addc_u32 s15, s0, s5
	s_sub_i32 s0, s16, s11
	s_sub_i32 s1, s0, s10
	s_cmp_ge_u32 s0, s10
	s_cselect_b32 s0, s1, s0
	s_sub_i32 s1, s0, s10
	s_cmp_ge_u32 s0, s10
	s_cselect_b32 s0, s1, s0
	s_xor_b32 s0, s0, s17
	s_sub_i32 s0, s0, s17
	s_ashr_i32 s1, s0, 31
	s_mul_i32 s1, s50, s1
	s_mul_hi_u32 s4, s50, s0
	s_add_i32 s1, s4, s1
	s_mul_i32 s4, s51, s0
	s_add_i32 s1, s1, s4
	s_mul_i32 s0, s50, s0
	s_add_u32 s4, s22, s0
	s_addc_u32 s5, s23, s1
	s_mul_hi_u32 s0, s46, s8
	s_mul_i32 s1, s46, s17
	s_add_i32 s0, s0, s1
	s_mul_i32 s1, s47, s8
	s_add_i32 s0, s0, s1
	s_mul_i32 s1, s46, s8
	s_add_u32 s1, s20, s1
	s_mul_i32 s9, s9, s43
	s_addc_u32 s0, s21, s0
	s_ashr_i32 s6, s9, 31
	s_add_u32 s10, s1, s9
	v_lshrrev_b32_e32 v1, 3, v72
	s_addc_u32 s11, s0, s6
	v_and_b32_e32 v32, 0xff0, v183
	s_movk_i32 s6, 0x210
	v_and_b32_e32 v75, 15, v72
	v_and_b32_e32 v1, 0x7e, v1
	v_mad_u32_u24 v0, v32, s6, 0
	v_mul_u32_u24_e32 v81, 0x210, v75
	v_lshlrev_b32_e32 v76, 2, v1
	v_add3_u32 v0, v0, v81, v76
	s_waitcnt lgkmcnt(0)
	s_barrier
	ds_read2_b64 v[28:31], v0 offset1:4
	ds_read2_b64 v[24:27], v0 offset0:8 offset1:12
	ds_read2_b64 v[20:23], v0 offset0:16 offset1:20
	;; [unrolled: 1-line block ×7, first 2 shown]
	v_lshrrev_b32_e32 v33, 5, v72
	v_add_u32_e32 v100, -1, v146
	v_lshl_add_u32 v82, v85, 1, v33
	v_cmp_ge_i32_e32 vcc, s70, v100
	v_mul_lo_u32 v38, s38, v82
	v_mul_lo_u32 v36, s14, v82
	s_and_b64 vcc, exec, vcc
	v_cmp_gt_u32_e64 s[0:1], 4, v82
	v_ashrrev_i32_e32 v39, 31, v38
	v_lshrrev_b32_e32 v78, 2, v72
	v_and_or_b32 v80, v72, 12, v32
	v_mbcnt_lo_u32_b32 v79, -1, 0
	v_ashrrev_i32_e32 v37, 31, v36
	v_lshlrev_b32_e32 v77, 1, v75
	s_waitcnt lgkmcnt(0)
	s_barrier
	s_cbranch_vccnz .LBB30_345
; %bb.323:
	v_add_u32_e32 v32, s12, v82
	v_mul_hi_u32 v33, s34, v32
	v_add_u32_e32 v33, v32, v33
	v_lshrrev_b32_e32 v33, s35, v33
	v_mul_lo_u32 v33, v33, s36
	v_sub_u32_e32 v32, v32, v33
	v_mad_i64_i32 v[32:33], s[8:9], v32, s44, 0
	s_movk_i32 s7, 0x90
	v_and_b32_e32 v40, 0x7c, v74
	v_lshl_add_u64 v[32:33], v[32:33], 1, s[4:5]
	v_mov_b32_e32 v41, 0
	v_mad_u32_u24 v34, v82, s7, 0
	v_lshl_add_u64 v[42:43], v[32:33], 0, v[40:41]
	v_mul_u32_u24_e32 v32, 0x180, v82
	v_lshlrev_b32_e32 v33, 2, v40
	v_add_u32_e32 v109, v34, v40
	v_add3_u32 v114, v34, v32, v33
	v_and_b32_e32 v32, 48, v185
	v_and_b32_e32 v34, 0xfc, v78
	v_mad_u32_u24 v33, v32, s6, 0
	v_add_u16_e32 v32, v32, v34
	v_lshrrev_b32_e32 v35, 2, v80
	v_lshrrev_b16_e32 v32, 1, v32
	v_mul_u32_u24_e32 v35, 0x90, v35
	v_lshlrev_b32_e32 v32, 2, v32
	v_add3_u32 v32, 0, v35, v32
	v_mbcnt_hi_u32_b32 v35, -1, v79
	v_and_b32_e32 v58, 64, v35
	v_add_u32_e32 v58, 64, v58
	v_xor_b32_e32 v59, 32, v35
	v_cmp_lt_i32_e32 vcc, v59, v58
	s_lshl_b32 s7, s38, 3
	s_lshl_b32 s6, s14, 3
	v_cndmask_b32_e32 v59, v35, v59, vcc
	v_lshlrev_b32_e32 v127, 2, v59
	v_xor_b32_e32 v59, 16, v35
	v_add_u32_e32 v44, s7, v38
	v_cmp_lt_i32_e32 vcc, v59, v58
	v_add_u32_e32 v58, s6, v36
	v_add_u32_e32 v46, s7, v44
	;; [unrolled: 1-line block ×8, first 2 shown]
	v_cndmask_b32_e32 v35, v35, v59, vcc
	v_add_u32_e32 v66, s6, v64
	v_add_u32_e32 v54, s7, v52
	v_lshlrev_b32_e32 v128, 2, v35
	v_add_u32_e32 v68, s6, v66
	v_or_b32_e32 v35, 3, v78
	v_add_u32_e32 v56, s7, v54
	v_add_u32_e32 v70, s6, v68
	v_mul_u32_u24_e32 v34, 0x210, v34
	v_mul_u32_u24_e32 v35, 0x210, v35
	v_add_u32_e32 v116, 0x1080, v114
	v_ashrrev_i32_e32 v45, 31, v44
	v_add_u32_e32 v119, 0x2100, v114
	v_ashrrev_i32_e32 v47, 31, v46
	;; [unrolled: 2-line block ×7, first 2 shown]
	v_add3_u32 v126, v33, v81, v76
	v_ashrrev_i32_e32 v59, 31, v58
	v_ashrrev_i32_e32 v61, 31, v60
	;; [unrolled: 1-line block ×7, first 2 shown]
	v_add3_u32 v129, v33, v34, v77
	v_add3_u32 v130, v33, v35, v77
	s_lshl_b32 s6, s70, 6
	v_mov_b32_e32 v135, 0xfeffffff
	v_lshlrev_b32_e32 v40, 2, v40
	s_mov_b32 s16, 0x3f200000
	s_mov_b32 s17, 0x3fb8aa3b
	;; [unrolled: 1-line block ×4, first 2 shown]
	v_mov_b32_e32 v131, 0x3ca908c9
	s_brev_b32 s20, -2
	v_add_u32_e32 v132, 0x8400, v32
	s_mov_b32 s21, 0xc1a00000
	s_mov_b32 s22, 0x5040100
	v_mov_b32_e32 v133, 0x7f800000
	v_mov_b32_e32 v134, v41
	;; [unrolled: 1-line block ×34, first 2 shown]
                                        ; implicit-def: $vgpr33
                                        ; implicit-def: $vgpr33
	;; [unrolled: 1-line block ×3, first 2 shown]
	s_ashr_i32 s7, s6, 31
	s_and_saveexec_b64 s[8:9], s[0:1]
	s_cbranch_execz .LBB30_325
.LBB30_324:
	v_lshl_add_u64 v[32:33], s[6:7], 1, v[42:43]
	global_load_dword v32, v[32:33], off
	s_waitcnt vmcnt(0)
	ds_write_b32 v109, v32 offset:33792
.LBB30_325:                             ; =>This Inner Loop Header: Depth=1
	s_or_b64 exec, exec, s[8:9]
	s_mul_hi_i32 s9, s6, s38
	s_mul_i32 s8, s6, s38
	s_lshl_b64 s[8:9], s[8:9], 2
	s_add_u32 s8, s13, s8
	s_addc_u32 s9, s15, s9
	v_lshl_add_u64 v[34:35], v[44:45], 2, s[8:9]
	v_lshl_add_u64 v[136:137], v[34:35], 0, v[40:41]
	;; [unrolled: 1-line block ×16, first 2 shown]
	global_load_dwordx4 v[32:35], v[32:33], off
	s_nop 0
	global_load_dwordx4 v[136:139], v[136:137], off
	s_nop 0
	;; [unrolled: 2-line block ×7, first 2 shown]
	global_load_dwordx4 v[160:163], v[160:161], off
	s_waitcnt vmcnt(7)
	ds_write_b128 v114, v[32:35]
	s_waitcnt vmcnt(6)
	ds_write_b128 v116, v[136:139]
	;; [unrolled: 2-line block ×8, first 2 shown]
	s_waitcnt lgkmcnt(0)
	s_barrier
	ds_read2_b64 v[32:35], v126 offset1:4
	s_waitcnt lgkmcnt(0)
	v_mfma_f32_16x16x16_f16 a[0:3], v[32:33], v[28:29], 0
                                        ; implicit-def: $vgpr137
	v_mfma_f32_16x16x16_f16 a[0:3], v[34:35], v[30:31], a[0:3]
	ds_read2_b64 v[32:35], v126 offset0:8 offset1:12
	s_waitcnt lgkmcnt(0)
	v_mfma_f32_16x16x16_f16 a[0:3], v[32:33], v[24:25], a[0:3]
	v_mfma_f32_16x16x16_f16 a[0:3], v[34:35], v[26:27], a[0:3]
	ds_read2_b64 v[32:35], v126 offset0:16 offset1:20
	s_waitcnt lgkmcnt(0)
	v_mfma_f32_16x16x16_f16 a[0:3], v[32:33], v[20:21], a[0:3]
	;; [unrolled: 4-line block ×6, first 2 shown]
	v_mfma_f32_16x16x16_f16 a[0:3], v[34:35], v[6:7], a[0:3]
	ds_read2_b64 v[32:35], v126 offset0:56 offset1:60
	s_waitcnt lgkmcnt(0)
	s_barrier
	v_mfma_f32_16x16x16_f16 a[0:3], v[32:33], v[0:1], a[0:3]
	v_mfma_f32_16x16x16_f16 a[0:3], v[34:35], v[2:3], a[0:3]
	s_nop 7
	v_accvgpr_read_b32 v136, a0
	v_cmp_nlt_f32_e64 s[8:9], |v136|, s16
	s_and_saveexec_b64 s[24:25], s[8:9]
	s_xor_b64 s[8:9], exec, s[24:25]
	s_cbranch_execz .LBB30_327
; %bb.326:                              ;   in Loop: Header=BB30_325 Depth=1
	v_add_f32_e64 v32, |v136|, |v136|
	v_mul_f32_e32 v33, 0x3fb8aa3b, v32
	v_rndne_f32_e32 v34, v33
	v_sub_f32_e32 v35, v33, v34
	v_fma_f32 v33, v32, s17, -v33
	v_fmac_f32_e32 v33, 0x32a5705f, v32
	v_add_f32_e32 v33, v35, v33
	v_cvt_i32_f32_e32 v34, v34
	v_exp_f32_e32 v33, v33
	v_cmp_ngt_f32_e32 vcc, s18, v32
	v_ldexp_f32 v33, v33, v34
	s_nop 0
	v_cndmask_b32_e32 v33, 0, v33, vcc
	v_cmp_nlt_f32_e32 vcc, s19, v32
	s_nop 1
	v_cndmask_b32_e32 v32, v133, v33, vcc
	v_add_f32_e32 v32, 1.0, v32
	v_rcp_f32_e32 v32, v32
	s_nop 0
	v_fma_f32 v137, v32, -2.0, 1.0
.LBB30_327:                             ;   in Loop: Header=BB30_325 Depth=1
	s_andn2_saveexec_b64 s[8:9], s[8:9]
; %bb.328:                              ;   in Loop: Header=BB30_325 Depth=1
	v_mul_f32_e32 v32, v136, v136
	v_fmamk_f32 v33, v32, 0xbbbac73d, v131
	v_fmaak_f32 v33, v32, v33, 0xbd5c1c4e
	v_fmaak_f32 v33, v32, v33, 0x3e088382
	v_fmaak_f32 v33, v32, v33, 0xbeaaaa99
	v_mul_f32_e64 v33, |v136|, v33
	v_fma_f32 v137, v32, v33, |v136|
; %bb.329:                              ;   in Loop: Header=BB30_325 Depth=1
	s_or_b64 exec, exec, s[8:9]
	v_accvgpr_read_b32 v35, a3
	v_accvgpr_read_b32 v33, a1
	;; [unrolled: 1-line block ×4, first 2 shown]
	v_cmp_nlt_f32_e64 s[8:9], |v33|, s16
                                        ; implicit-def: $vgpr32
	s_and_saveexec_b64 s[24:25], s[8:9]
	s_xor_b64 s[8:9], exec, s[24:25]
	s_cbranch_execz .LBB30_331
; %bb.330:                              ;   in Loop: Header=BB30_325 Depth=1
	v_add_f32_e64 v32, |v33|, |v33|
	v_mul_f32_e32 v138, 0x3fb8aa3b, v32
	v_rndne_f32_e32 v139, v138
	v_sub_f32_e32 v140, v138, v139
	v_fma_f32 v138, v32, s17, -v138
	v_fmac_f32_e32 v138, 0x32a5705f, v32
	v_add_f32_e32 v138, v140, v138
	v_cvt_i32_f32_e32 v139, v139
	v_exp_f32_e32 v138, v138
	v_cmp_ngt_f32_e32 vcc, s18, v32
	v_ldexp_f32 v138, v138, v139
	s_nop 0
	v_cndmask_b32_e32 v138, 0, v138, vcc
	v_cmp_nlt_f32_e32 vcc, s19, v32
	s_nop 1
	v_cndmask_b32_e32 v32, v133, v138, vcc
	v_add_f32_e32 v32, 1.0, v32
	v_rcp_f32_e32 v32, v32
	s_nop 0
	v_fma_f32 v32, v32, -2.0, 1.0
.LBB30_331:                             ;   in Loop: Header=BB30_325 Depth=1
	s_andn2_saveexec_b64 s[8:9], s[8:9]
; %bb.332:                              ;   in Loop: Header=BB30_325 Depth=1
	v_mul_f32_e32 v32, v33, v33
	v_fmamk_f32 v138, v32, 0xbbbac73d, v131
	v_fmaak_f32 v138, v32, v138, 0xbd5c1c4e
	v_fmaak_f32 v138, v32, v138, 0x3e088382
	;; [unrolled: 1-line block ×3, first 2 shown]
	v_mul_f32_e64 v138, |v33|, v138
	v_fma_f32 v32, v32, v138, |v33|
; %bb.333:                              ;   in Loop: Header=BB30_325 Depth=1
	s_or_b64 exec, exec, s[8:9]
	v_cmp_nlt_f32_e64 s[8:9], |v34|, s16
                                        ; implicit-def: $vgpr138
	s_and_saveexec_b64 s[24:25], s[8:9]
	s_xor_b64 s[8:9], exec, s[24:25]
	s_cbranch_execz .LBB30_335
; %bb.334:                              ;   in Loop: Header=BB30_325 Depth=1
	v_add_f32_e64 v138, |v34|, |v34|
	v_mul_f32_e32 v139, 0x3fb8aa3b, v138
	v_rndne_f32_e32 v140, v139
	v_sub_f32_e32 v141, v139, v140
	v_fma_f32 v139, v138, s17, -v139
	v_fmac_f32_e32 v139, 0x32a5705f, v138
	v_add_f32_e32 v139, v141, v139
	v_cvt_i32_f32_e32 v140, v140
	v_exp_f32_e32 v139, v139
	v_cmp_ngt_f32_e32 vcc, s18, v138
	v_ldexp_f32 v139, v139, v140
	s_nop 0
	v_cndmask_b32_e32 v139, 0, v139, vcc
	v_cmp_nlt_f32_e32 vcc, s19, v138
	s_nop 1
	v_cndmask_b32_e32 v138, v133, v139, vcc
	v_add_f32_e32 v138, 1.0, v138
	v_rcp_f32_e32 v138, v138
	s_nop 0
	v_fma_f32 v138, v138, -2.0, 1.0
.LBB30_335:                             ;   in Loop: Header=BB30_325 Depth=1
	s_andn2_saveexec_b64 s[8:9], s[8:9]
; %bb.336:                              ;   in Loop: Header=BB30_325 Depth=1
	v_mul_f32_e32 v138, v34, v34
	v_fmamk_f32 v139, v138, 0xbbbac73d, v131
	v_fmaak_f32 v139, v138, v139, 0xbd5c1c4e
	v_fmaak_f32 v139, v138, v139, 0x3e088382
	;; [unrolled: 1-line block ×3, first 2 shown]
	v_mul_f32_e64 v139, |v34|, v139
	v_fma_f32 v138, v138, v139, |v34|
; %bb.337:                              ;   in Loop: Header=BB30_325 Depth=1
	s_or_b64 exec, exec, s[8:9]
	v_cmp_nlt_f32_e64 s[8:9], |v35|, s16
                                        ; implicit-def: $vgpr139
	s_and_saveexec_b64 s[24:25], s[8:9]
	s_xor_b64 s[8:9], exec, s[24:25]
	s_cbranch_execz .LBB30_339
; %bb.338:                              ;   in Loop: Header=BB30_325 Depth=1
	v_add_f32_e64 v139, |v35|, |v35|
	v_mul_f32_e32 v140, 0x3fb8aa3b, v139
	v_rndne_f32_e32 v141, v140
	v_sub_f32_e32 v142, v140, v141
	v_fma_f32 v140, v139, s17, -v140
	v_fmac_f32_e32 v140, 0x32a5705f, v139
	v_add_f32_e32 v140, v142, v140
	v_cvt_i32_f32_e32 v141, v141
	v_exp_f32_e32 v140, v140
	v_cmp_ngt_f32_e32 vcc, s18, v139
	v_ldexp_f32 v140, v140, v141
	s_nop 0
	v_cndmask_b32_e32 v140, 0, v140, vcc
	v_cmp_nlt_f32_e32 vcc, s19, v139
	s_nop 1
	v_cndmask_b32_e32 v139, v133, v140, vcc
	v_add_f32_e32 v139, 1.0, v139
	v_rcp_f32_e32 v139, v139
	s_nop 0
	v_fma_f32 v139, v139, -2.0, 1.0
.LBB30_339:                             ;   in Loop: Header=BB30_325 Depth=1
	s_andn2_saveexec_b64 s[8:9], s[8:9]
; %bb.340:                              ;   in Loop: Header=BB30_325 Depth=1
	v_mul_f32_e32 v139, v35, v35
	v_fmamk_f32 v140, v139, 0xbbbac73d, v131
	v_fmaak_f32 v140, v139, v140, 0xbd5c1c4e
	v_fmaak_f32 v140, v139, v140, 0x3e088382
	;; [unrolled: 1-line block ×3, first 2 shown]
	v_mul_f32_e64 v140, |v35|, v140
	v_fma_f32 v139, v139, v140, |v35|
; %bb.341:                              ;   in Loop: Header=BB30_325 Depth=1
	s_or_b64 exec, exec, s[8:9]
	ds_read2_b32 v[140:141], v132 offset1:1
	v_bfi_b32 v136, s20, v137, v136
	v_bfi_b32 v32, s20, v32, v33
	;; [unrolled: 1-line block ×4, first 2 shown]
	s_waitcnt lgkmcnt(0)
	v_fma_mix_f32 v35, s3, v136, v140 op_sel_hi:[0,0,1]
	v_fma_mix_f32 v32, s3, v32, v140 op_sel:[0,0,1] op_sel_hi:[0,0,1]
	v_fma_mix_f32 v33, s3, v33, v141 op_sel_hi:[0,0,1]
	v_fma_mix_f32 v169, s3, v34, v141 op_sel:[0,0,1] op_sel_hi:[0,0,1]
	v_add_f32_e32 v34, 0x40051340, v35
	v_add_f32_e32 v136, 0x40051340, v32
	v_max3_f32 v34, v135, v34, v136
	v_add_f32_e32 v136, 0x40051340, v33
	v_add_f32_e32 v137, 0x40051340, v169
	v_max3_f32 v34, v34, v136, v137
	ds_bpermute_b32 v136, v127, v34
	s_mul_hi_i32 s9, s6, s14
	s_mul_i32 s8, s6, s14
	s_lshl_b64 s[8:9], s[8:9], 2
	s_add_u32 s8, s10, s8
	s_waitcnt lgkmcnt(0)
	v_max_f32_e32 v136, v136, v136
	v_max_f32_e32 v34, v34, v136
	ds_bpermute_b32 v136, v128, v34
	s_addc_u32 s9, s11, s9
	s_add_i32 s70, s70, 1
	s_add_i32 s6, s6, 64
	s_waitcnt lgkmcnt(0)
	v_max_f32_e32 v136, v136, v136
	v_max_f32_e32 v34, v34, v136
	v_sub_f32_e32 v35, v35, v34
	v_mul_f32_e32 v136, 0x3fb8aa3b, v35
	v_fma_f32 v137, v35, s17, -v136
	v_rndne_f32_e32 v138, v136
	v_fmac_f32_e32 v137, 0x32a5705f, v35
	v_sub_f32_e32 v136, v136, v138
	v_add_f32_e32 v136, v136, v137
	v_cvt_i32_f32_e32 v137, v138
	v_exp_f32_e32 v136, v136
	v_sub_f32_e32 v32, v32, v34
	v_mul_f32_e32 v138, 0x3fb8aa3b, v32
	v_rndne_f32_e32 v139, v138
	v_ldexp_f32 v136, v136, v137
	v_fma_f32 v137, v32, s17, -v138
	v_fmac_f32_e32 v137, 0x32a5705f, v32
	v_sub_f32_e32 v138, v138, v139
	v_add_f32_e32 v137, v138, v137
	v_exp_f32_e32 v137, v137
	v_cvt_i32_f32_e32 v138, v139
	v_cmp_ngt_f32_e32 vcc, s18, v35
	v_sub_f32_e32 v172, v33, v34
	v_sub_f32_e32 v135, v135, v34
	v_cndmask_b32_e32 v136, 0, v136, vcc
	v_cmp_nlt_f32_e32 vcc, s19, v35
	v_ldexp_f32 v35, v137, v138
	s_nop 0
	v_cndmask_b32_e32 v170, v133, v136, vcc
	v_cmp_ngt_f32_e32 vcc, s18, v32
	s_nop 1
	v_cndmask_b32_e32 v35, 0, v35, vcc
	v_cmp_nlt_f32_e32 vcc, s19, v32
	v_mul_f32_e32 v32, 0x3fb8aa3b, v172
	v_rndne_f32_e32 v136, v32
	v_fma_f32 v33, v172, s17, -v32
	v_sub_f32_e32 v32, v32, v136
	v_cvt_i32_f32_e32 v174, v136
	v_lshl_add_u64 v[136:137], v[58:59], 2, s[8:9]
	v_lshl_add_u64 v[140:141], v[136:137], 0, v[40:41]
	;; [unrolled: 1-line block ×7, first 2 shown]
	v_fmac_f32_e32 v33, 0x32a5705f, v172
	v_lshl_add_u64 v[152:153], v[136:137], 0, v[40:41]
	v_lshl_add_u64 v[136:137], v[66:67], 2, s[8:9]
	v_add_f32_e32 v32, v32, v33
	v_lshl_add_u64 v[156:157], v[136:137], 0, v[40:41]
	v_lshl_add_u64 v[136:137], v[68:69], 2, s[8:9]
	v_exp_f32_e32 v173, v32
	v_lshl_add_u64 v[32:33], v[36:37], 2, s[8:9]
	v_lshl_add_u64 v[160:161], v[136:137], 0, v[40:41]
	;; [unrolled: 1-line block ×5, first 2 shown]
	global_load_dwordx4 v[136:139], v[32:33], off
	s_nop 0
	global_load_dwordx4 v[140:143], v[140:141], off
	s_nop 0
	;; [unrolled: 2-line block ×7, first 2 shown]
	global_load_dwordx4 v[164:167], v[164:165], off
	v_cndmask_b32_e32 v171, v133, v35, vcc
	v_ldexp_f32 v32, v173, v174
	v_cmp_ngt_f32_e32 vcc, s18, v172
	v_add_f32_e32 v35, v170, v171
	s_waitcnt vmcnt(7)
	ds_write_b128 v114, v[136:139]
	s_waitcnt vmcnt(6)
	ds_write_b128 v116, v[140:143]
	;; [unrolled: 2-line block ×8, first 2 shown]
	v_cndmask_b32_e32 v32, 0, v32, vcc
	v_cmp_nlt_f32_e32 vcc, s19, v172
	s_waitcnt lgkmcnt(0)
	s_barrier
	v_cndmask_b32_e32 v32, v133, v32, vcc
	v_add_f32_e32 v33, v32, v35
	v_sub_f32_e32 v35, v169, v34
	v_mul_f32_e32 v169, 0x3fb8aa3b, v35
	v_fma_f32 v172, v35, s17, -v169
	v_rndne_f32_e32 v173, v169
	v_fmac_f32_e32 v172, 0x32a5705f, v35
	v_sub_f32_e32 v169, v169, v173
	v_add_f32_e32 v169, v169, v172
	v_cvt_i32_f32_e32 v172, v173
	v_mul_f32_e32 v173, 0x3fb8aa3b, v135
	v_fma_f32 v174, v135, s17, -v173
	v_rndne_f32_e32 v175, v173
	v_fmac_f32_e32 v174, 0x32a5705f, v135
	v_sub_f32_e32 v173, v173, v175
	v_exp_f32_e32 v169, v169
	v_add_f32_e32 v173, v173, v174
	v_exp_f32_e32 v173, v173
	v_cvt_i32_f32_e32 v174, v175
	v_ldexp_f32 v169, v169, v172
	v_cmp_ngt_f32_e32 vcc, s18, v35
	v_ldexp_f32 v172, v173, v174
	s_nop 0
	v_cndmask_b32_e32 v169, 0, v169, vcc
	v_cmp_ngt_f32_e32 vcc, s18, v135
	s_nop 1
	v_cndmask_b32_e32 v172, 0, v172, vcc
	v_cmp_nlt_f32_e32 vcc, s19, v135
	s_nop 1
	v_cndmask_b32_e32 v172, v133, v172, vcc
	v_cmp_le_f32_e32 vcc, s21, v135
	s_nop 1
	v_cndmask_b32_e32 v135, 0, v172, vcc
	v_cvt_f16_f32_e32 v172, v135
	v_cmp_nlt_f32_e32 vcc, s19, v35
	s_nop 1
	v_cndmask_b32_e32 v169, v133, v169, vcc
	v_add_f32_e32 v35, v169, v33
	v_mul_u32_u24_e32 v33, 0x10001, v172
	v_fmac_f32_e32 v35, v134, v135
	v_pk_mul_f16 v134, v99, v33
	v_pk_mul_f16 v135, v98, v33
	ds_read_u16 v98, v129 offset:1056
	ds_read_u16 v136, v129 offset:1088
	;; [unrolled: 1-line block ×8, first 2 shown]
	ds_read_u16 v99, v130
	ds_read_u16 v143, v130 offset:32
	ds_read_u16 v144, v130 offset:64
	;; [unrolled: 1-line block ×7, first 2 shown]
	v_pk_mul_f16 v120, v120, v33
	v_pk_mul_f16 v118, v118, v33
	s_waitcnt lgkmcnt(7)
	v_perm_b32 v99, v99, v98, s22
	ds_read_u16 v98, v129
	ds_read_u16 v150, v129 offset:32
	ds_read_u16 v151, v129 offset:64
	;; [unrolled: 1-line block ×15, first 2 shown]
	s_waitcnt lgkmcnt(7)
	v_perm_b32 v98, v157, v98, s22
	v_cvt_f32_f16_e32 v157, v120
	v_cvt_f32_f16_sdwa v120, v120 dst_sel:DWORD dst_unused:UNUSED_PAD src0_sel:WORD_1
	v_cvt_f32_f16_e32 v165, v118
	v_cvt_f32_f16_sdwa v118, v118 dst_sel:DWORD dst_unused:UNUSED_PAD src0_sel:WORD_1
	v_pk_mul_f16 v117, v117, v33
	v_pk_mul_f16 v115, v115, v33
	;; [unrolled: 1-line block ×28, first 2 shown]
	v_cvt_pk_f16_f32 v33, v32, v169
	v_cvt_pk_f16_f32 v32, v170, v171
	v_accvgpr_write_b32 a0, v157
	v_accvgpr_write_b32 a1, v120
	;; [unrolled: 1-line block ×4, first 2 shown]
	v_cvt_f32_f16_e32 v182, v135
	v_cvt_f32_f16_sdwa v135, v135 dst_sel:DWORD dst_unused:UNUSED_PAD src0_sel:WORD_1
	v_mfma_f32_16x16x16_f16 a[0:3], v[98:99], v[32:33], a[0:3]
	v_perm_b32 v99, v143, v136, s22
	s_waitcnt lgkmcnt(6)
	v_perm_b32 v98, v158, v150, s22
	v_cvt_f32_f16_e32 v136, v117
	v_cvt_f32_f16_sdwa v117, v117 dst_sel:DWORD dst_unused:UNUSED_PAD src0_sel:WORD_1
	v_cvt_f32_f16_e32 v143, v115
	v_cvt_f32_f16_sdwa v115, v115 dst_sel:DWORD dst_unused:UNUSED_PAD src0_sel:WORD_1
	v_cmp_lt_i32_e32 vcc, s70, v100
	s_and_b64 vcc, exec, vcc
	v_accvgpr_read_b32 v118, a0
	v_accvgpr_read_b32 v120, a1
	v_accvgpr_read_b32 v157, a2
	v_accvgpr_read_b32 v165, a3
	v_accvgpr_write_b32 a0, v136
	v_accvgpr_write_b32 a1, v117
	v_accvgpr_write_b32 a2, v143
	v_accvgpr_write_b32 a3, v115
	v_cvt_pk_f16_f32 v120, v118, v120
	v_cvt_pk_f16_f32 v118, v157, v165
	v_mfma_f32_16x16x16_f16 a[0:3], v[98:99], v[32:33], a[0:3]
	v_perm_b32 v99, v144, v137, s22
	s_waitcnt lgkmcnt(5)
	v_perm_b32 v98, v159, v151, s22
	v_cvt_f32_f16_e32 v137, v113
	v_cvt_f32_f16_sdwa v113, v113 dst_sel:DWORD dst_unused:UNUSED_PAD src0_sel:WORD_1
	v_cvt_f32_f16_e32 v144, v112
	v_cvt_f32_f16_sdwa v112, v112 dst_sel:DWORD dst_unused:UNUSED_PAD src0_sel:WORD_1
	s_nop 0
	v_accvgpr_read_b32 v115, a0
	v_accvgpr_read_b32 v117, a1
	v_accvgpr_read_b32 v136, a2
	v_accvgpr_read_b32 v143, a3
	v_accvgpr_write_b32 a0, v137
	v_accvgpr_write_b32 a1, v113
	v_accvgpr_write_b32 a2, v144
	v_accvgpr_write_b32 a3, v112
	v_cvt_pk_f16_f32 v117, v115, v117
	v_cvt_pk_f16_f32 v115, v136, v143
	v_mfma_f32_16x16x16_f16 a[0:3], v[98:99], v[32:33], a[0:3]
	v_perm_b32 v99, v145, v138, s22
	s_waitcnt lgkmcnt(4)
	v_perm_b32 v98, v160, v152, s22
	v_cvt_f32_f16_e32 v138, v111
	v_cvt_f32_f16_sdwa v111, v111 dst_sel:DWORD dst_unused:UNUSED_PAD src0_sel:WORD_1
	v_cvt_f32_f16_e32 v145, v110
	v_cvt_f32_f16_sdwa v110, v110 dst_sel:DWORD dst_unused:UNUSED_PAD src0_sel:WORD_1
	s_nop 0
	;; [unrolled: 19-line block ×6, first 2 shown]
	v_accvgpr_read_b32 v103, a0
	v_accvgpr_read_b32 v104, a1
	;; [unrolled: 1-line block ×4, first 2 shown]
	v_accvgpr_write_b32 a0, v142
	v_accvgpr_write_b32 a1, v102
	;; [unrolled: 1-line block ×4, first 2 shown]
	v_cvt_pk_f16_f32 v104, v103, v104
	v_cvt_pk_f16_f32 v103, v141, v148
	v_mfma_f32_16x16x16_f16 a[0:3], v[98:99], v[32:33], a[0:3]
	ds_read_u16 v98, v129 offset:1312
	ds_read_u16 v150, v129 offset:1344
	ds_read_u16 v151, v129 offset:1376
	ds_read_u16 v152, v129 offset:1408
	ds_read_u16 v153, v129 offset:1440
	ds_read_u16 v154, v129 offset:1472
	ds_read_u16 v155, v129 offset:1504
	ds_read_u16 v156, v129 offset:1536
	ds_read_u16 v99, v130 offset:256
	ds_read_u16 v158, v130 offset:288
	ds_read_u16 v159, v130 offset:320
	ds_read_u16 v160, v130 offset:352
	ds_read_u16 v161, v130 offset:384
	ds_read_u16 v162, v130 offset:416
	ds_read_u16 v163, v130 offset:448
	ds_read_u16 v164, v130 offset:480
	s_waitcnt lgkmcnt(7)
	v_perm_b32 v99, v99, v98, s22
	ds_read_u16 v98, v129 offset:256
	ds_read_u16 v166, v129 offset:288
	;; [unrolled: 1-line block ×16, first 2 shown]
	s_waitcnt lgkmcnt(7)
	v_perm_b32 v98, v174, v98, s22
	v_cvt_f32_f16_e32 v174, v134
	v_cvt_f32_f16_sdwa v134, v134 dst_sel:DWORD dst_unused:UNUSED_PAD src0_sel:WORD_1
	v_accvgpr_read_b32 v101, a0
	v_accvgpr_read_b32 v102, a1
	;; [unrolled: 1-line block ×4, first 2 shown]
	v_accvgpr_write_b32 a0, v174
	v_accvgpr_write_b32 a1, v134
	;; [unrolled: 1-line block ×4, first 2 shown]
	v_cvt_pk_f16_f32 v102, v101, v102
	v_cvt_pk_f16_f32 v101, v142, v149
	v_mfma_f32_16x16x16_f16 a[0:3], v[98:99], v[32:33], a[0:3]
	v_perm_b32 v99, v158, v150, s22
	s_waitcnt lgkmcnt(6)
	v_perm_b32 v98, v175, v166, s22
	v_cvt_f32_f16_e32 v150, v97
	v_cvt_f32_f16_sdwa v97, v97 dst_sel:DWORD dst_unused:UNUSED_PAD src0_sel:WORD_1
	v_cvt_f32_f16_e32 v158, v96
	v_cvt_f32_f16_sdwa v96, v96 dst_sel:DWORD dst_unused:UNUSED_PAD src0_sel:WORD_1
	s_waitcnt lgkmcnt(0)
	s_barrier
	v_accvgpr_read_b32 v134, a0
	v_accvgpr_read_b32 v135, a1
	v_accvgpr_read_b32 v174, a2
	v_accvgpr_read_b32 v182, a3
	v_accvgpr_write_b32 a0, v150
	v_accvgpr_write_b32 a1, v97
	v_accvgpr_write_b32 a2, v158
	v_accvgpr_write_b32 a3, v96
	v_perm_b32 v97, v159, v151, s22
	v_perm_b32 v96, v176, v167, s22
	v_mfma_f32_16x16x16_f16 a[0:3], v[98:99], v[32:33], a[0:3]
	v_cvt_f32_f16_e32 v151, v95
	v_cvt_f32_f16_sdwa v95, v95 dst_sel:DWORD dst_unused:UNUSED_PAD src0_sel:WORD_1
	v_cvt_f32_f16_e32 v159, v94
	v_cvt_f32_f16_sdwa v94, v94 dst_sel:DWORD dst_unused:UNUSED_PAD src0_sel:WORD_1
	s_nop 3
	v_accvgpr_read_b32 v98, a0
	v_accvgpr_read_b32 v99, a1
	v_accvgpr_read_b32 v150, a2
	v_accvgpr_read_b32 v158, a3
	v_accvgpr_write_b32 a0, v151
	v_accvgpr_write_b32 a1, v95
	v_accvgpr_write_b32 a2, v159
	v_accvgpr_write_b32 a3, v94
	v_perm_b32 v95, v160, v152, s22
	v_perm_b32 v94, v177, v169, s22
	v_mfma_f32_16x16x16_f16 a[0:3], v[96:97], v[32:33], a[0:3]
	v_cvt_f32_f16_e32 v152, v93
	v_cvt_f32_f16_sdwa v93, v93 dst_sel:DWORD dst_unused:UNUSED_PAD src0_sel:WORD_1
	v_cvt_f32_f16_e32 v160, v92
	v_cvt_f32_f16_sdwa v92, v92 dst_sel:DWORD dst_unused:UNUSED_PAD src0_sel:WORD_1
	s_nop 3
	;; [unrolled: 16-line block ×6, first 2 shown]
	v_accvgpr_read_b32 v88, a0
	v_accvgpr_read_b32 v89, a1
	;; [unrolled: 1-line block ×4, first 2 shown]
	v_accvgpr_write_b32 a0, v156
	v_accvgpr_write_b32 a1, v84
	;; [unrolled: 1-line block ×4, first 2 shown]
	s_nop 1
	v_mfma_f32_16x16x16_f16 a[0:3], v[86:87], v[32:33], a[0:3]
	v_cvt_pk_f16_f32 v87, v88, v89
	v_cvt_pk_f16_f32 v89, v90, v91
	;; [unrolled: 1-line block ×8, first 2 shown]
	v_accvgpr_read_b32 v32, a0
	v_accvgpr_read_b32 v33, a1
	;; [unrolled: 1-line block ×4, first 2 shown]
	v_cvt_pk_f16_f32 v84, v32, v33
	v_cvt_pk_f16_f32 v83, v83, v86
	;; [unrolled: 1-line block ×8, first 2 shown]
	s_cbranch_vccz .LBB30_346
; %bb.342:                              ;   in Loop: Header=BB30_325 Depth=1
	v_mov_b32_e32 v134, v35
	v_mov_b32_e32 v135, v34
	s_ashr_i32 s7, s6, 31
	s_and_saveexec_b64 s[8:9], s[0:1]
	s_cbranch_execnz .LBB30_324
	s_branch .LBB30_325
.LBB30_343:
                                        ; implicit-def: $sgpr54_sgpr55
	s_load_dwordx2 s[48:49], s[0:1], 0x74
	v_cvt_f32_u32_e32 v1, s33
	s_branch .LBB30_2
.LBB30_344:
                                        ; implicit-def: $sgpr6_sgpr7
	s_load_dwordx2 s[34:35], s[0:1], 0x5c
	v_mov_b64_e32 v[38:39], s[6:7]
	s_branch .LBB30_5
.LBB30_345:
	v_mov_b32_e32 v34, 0xfeffffff
	v_mov_b32_e32 v35, 0
	;; [unrolled: 1-line block ×34, first 2 shown]
.LBB30_346:
	s_lshl_b32 s0, s70, 6
	s_ashr_i32 s1, s0, 31
	v_cmp_gt_u32_e32 vcc, 4, v82
	s_and_saveexec_b64 s[6:7], vcc
	s_cbranch_execz .LBB30_348
; %bb.347:
	v_or_b32_e32 v32, s12, v82
	v_mul_hi_u32 v33, s34, v32
	v_add_u32_e32 v33, v32, v33
	v_lshrrev_b32_e32 v33, s35, v33
	s_lshl_b64 s[8:9], s[0:1], 1
	v_mul_lo_u32 v33, v33, s36
	s_add_u32 s4, s4, s8
	v_sub_u32_e32 v33, v32, v33
	s_addc_u32 s5, s5, s9
	v_mad_i64_i32 v[40:41], s[8:9], v33, s44, 0
	v_and_b32_e32 v32, 0x7c, v74
	v_lshl_add_u64 v[40:41], v[40:41], 1, s[4:5]
	v_mov_b32_e32 v33, 0
	v_lshl_add_u64 v[40:41], v[40:41], 0, v[32:33]
	global_load_dword v33, v[40:41], off
	v_mul_u32_u24_e32 v40, 0x90, v82
	v_add3_u32 v32, 0, v40, v32
	s_waitcnt vmcnt(0)
	ds_write_b32 v32, v33 offset:33792
.LBB30_348:
	s_or_b64 exec, exec, s[6:7]
	s_mul_hi_i32 s5, s0, s38
	s_mul_i32 s4, s0, s38
	s_lshl_b64 s[4:5], s[4:5], 2
	s_add_u32 s4, s13, s4
	s_addc_u32 s5, s15, s5
	s_lshl_b32 s1, s38, 3
	v_and_b32_e32 v32, 0x7c, v74
	v_lshl_add_u64 v[40:41], v[38:39], 2, s[4:5]
	v_add_u32_e32 v38, s1, v38
	v_mov_b32_e32 v33, 0
	v_lshlrev_b32_e32 v32, 2, v32
	v_ashrrev_i32_e32 v39, 31, v38
	v_lshl_add_u64 v[68:69], v[40:41], 0, v[32:33]
	v_lshl_add_u64 v[40:41], v[38:39], 2, s[4:5]
	v_add_u32_e32 v38, s1, v38
	v_ashrrev_i32_e32 v39, 31, v38
	v_lshl_add_u64 v[70:71], v[40:41], 0, v[32:33]
	v_lshl_add_u64 v[40:41], v[38:39], 2, s[4:5]
	v_add_u32_e32 v38, s1, v38
	;; [unrolled: 4-line block ×6, first 2 shown]
	v_ashrrev_i32_e32 v39, 31, v38
	v_lshl_add_u64 v[38:39], v[38:39], 2, s[4:5]
	v_lshl_add_u64 v[130:131], v[40:41], 0, v[32:33]
	;; [unrolled: 1-line block ×3, first 2 shown]
	global_load_dwordx4 v[40:43], v[68:69], off
	global_load_dwordx4 v[44:47], v[70:71], off
	;; [unrolled: 1-line block ×7, first 2 shown]
                                        ; kill: killed $vgpr126_vgpr127
                                        ; kill: killed $vgpr122_vgpr123
                                        ; kill: killed $vgpr128_vgpr129
                                        ; kill: killed $vgpr124_vgpr125
                                        ; kill: killed $vgpr68_vgpr69
                                        ; kill: killed $vgpr130_vgpr131
                                        ; kill: killed $vgpr70_vgpr71
	s_nop 0
	global_load_dwordx4 v[68:71], v[38:39], off
	s_movk_i32 s1, 0x210
	v_and_b32_e32 v33, 48, v185
	v_mul_u32_u24_e32 v39, 0x210, v82
	v_mad_u32_u24 v38, v33, s1, 0
	v_add3_u32 v39, 0, v39, v32
	v_add3_u32 v81, v38, v81, v76
	s_mov_b32 s1, 0x3f200000
	s_waitcnt vmcnt(7)
	ds_write_b128 v39, v[40:43]
	s_waitcnt vmcnt(6)
	ds_write_b128 v39, v[44:47] offset:4224
	s_waitcnt vmcnt(5)
	ds_write_b128 v39, v[48:51] offset:8448
	;; [unrolled: 2-line block ×7, first 2 shown]
	s_waitcnt lgkmcnt(0)
	s_barrier
	ds_read2_b64 v[40:43], v81 offset1:4
	s_waitcnt lgkmcnt(0)
	v_mfma_f32_16x16x16_f16 a[0:3], v[40:41], v[28:29], 0
	v_mfma_f32_16x16x16_f16 a[0:3], v[42:43], v[30:31], a[0:3]
	ds_read2_b64 v[28:31], v81 offset0:8 offset1:12
	s_waitcnt lgkmcnt(0)
	v_mfma_f32_16x16x16_f16 a[0:3], v[28:29], v[24:25], a[0:3]
	v_mfma_f32_16x16x16_f16 a[0:3], v[30:31], v[26:27], a[0:3]
	ds_read2_b64 v[24:27], v81 offset0:16 offset1:20
	s_waitcnt lgkmcnt(0)
	v_mfma_f32_16x16x16_f16 a[0:3], v[24:25], v[20:21], a[0:3]
	v_mfma_f32_16x16x16_f16 a[0:3], v[26:27], v[22:23], a[0:3]
	ds_read2_b64 v[20:23], v81 offset0:24 offset1:28
	s_waitcnt lgkmcnt(0)
	v_mfma_f32_16x16x16_f16 a[0:3], v[20:21], v[16:17], a[0:3]
	v_mfma_f32_16x16x16_f16 a[0:3], v[22:23], v[18:19], a[0:3]
	ds_read2_b64 v[16:19], v81 offset0:32 offset1:36
	s_waitcnt lgkmcnt(0)
	v_mfma_f32_16x16x16_f16 a[0:3], v[16:17], v[12:13], a[0:3]
	v_mfma_f32_16x16x16_f16 a[0:3], v[18:19], v[14:15], a[0:3]
	ds_read2_b64 v[12:15], v81 offset0:40 offset1:44
	s_waitcnt lgkmcnt(0)
	v_mfma_f32_16x16x16_f16 a[0:3], v[12:13], v[8:9], a[0:3]
	v_mfma_f32_16x16x16_f16 a[0:3], v[14:15], v[10:11], a[0:3]
	ds_read2_b64 v[8:11], v81 offset0:48 offset1:52
	s_waitcnt lgkmcnt(0)
	v_mfma_f32_16x16x16_f16 a[0:3], v[8:9], v[4:5], a[0:3]
	v_mfma_f32_16x16x16_f16 a[0:3], v[10:11], v[6:7], a[0:3]
	ds_read2_b64 v[4:7], v81 offset0:56 offset1:60
	s_waitcnt lgkmcnt(0)
	s_barrier
	v_mfma_f32_16x16x16_f16 a[0:3], v[4:5], v[0:1], a[0:3]
                                        ; implicit-def: $vgpr11
	v_mfma_f32_16x16x16_f16 a[0:3], v[6:7], v[2:3], a[0:3]
	s_nop 7
	v_accvgpr_read_b32 v10, a0
	v_cmp_nlt_f32_e64 s[4:5], |v10|, s1
	s_and_saveexec_b64 s[6:7], s[4:5]
	s_xor_b64 s[4:5], exec, s[6:7]
	s_cbranch_execz .LBB30_350
; %bb.349:
	v_add_f32_e64 v0, |v10|, |v10|
	v_mul_f32_e32 v1, 0x3fb8aa3b, v0
	s_mov_b32 s1, 0x3fb8aa3b
	v_rndne_f32_e32 v2, v1
	v_sub_f32_e32 v3, v1, v2
	v_fma_f32 v1, v0, s1, -v1
	v_fmamk_f32 v1, v0, 0x32a5705f, v1
	v_add_f32_e32 v1, v3, v1
	v_exp_f32_e32 v1, v1
	v_cvt_i32_f32_e32 v2, v2
	s_mov_b32 s1, 0xc2ce8ed0
	v_cmp_ngt_f32_e32 vcc, s1, v0
	s_mov_b32 s1, 0x42b17218
	v_ldexp_f32 v1, v1, v2
	v_cndmask_b32_e32 v1, 0, v1, vcc
	v_mov_b32_e32 v2, 0x7f800000
	v_cmp_nlt_f32_e32 vcc, s1, v0
	s_nop 1
	v_cndmask_b32_e32 v0, v2, v1, vcc
	v_add_f32_e32 v0, 1.0, v0
	v_rcp_f32_e32 v0, v0
	s_nop 0
	v_fma_f32 v11, v0, -2.0, 1.0
.LBB30_350:
	s_or_saveexec_b64 s[4:5], s[4:5]
	v_accvgpr_read_b32 v0, a0
	v_accvgpr_read_b32 v1, a1
	;; [unrolled: 1-line block ×4, first 2 shown]
	s_xor_b64 exec, exec, s[4:5]
; %bb.351:
	v_mul_f32_e32 v0, v10, v10
	v_mov_b32_e32 v4, 0x3ca908c9
	v_fmac_f32_e32 v4, 0xbbbac73d, v0
	v_fmaak_f32 v4, v0, v4, 0xbd5c1c4e
	v_fmaak_f32 v4, v0, v4, 0x3e088382
	;; [unrolled: 1-line block ×3, first 2 shown]
	v_mul_f32_e64 v4, |v10|, v4
	v_fma_f32 v11, v0, v4, |v10|
; %bb.352:
	s_or_b64 exec, exec, s[4:5]
	s_mov_b32 s1, 0x3f200000
	v_cmp_nlt_f32_e64 s[4:5], |v1|, s1
                                        ; implicit-def: $vgpr12
	s_and_saveexec_b64 s[6:7], s[4:5]
	s_xor_b64 s[4:5], exec, s[6:7]
	s_cbranch_execz .LBB30_354
; %bb.353:
	v_add_f32_e64 v0, |v1|, |v1|
	v_mul_f32_e32 v4, 0x3fb8aa3b, v0
	s_mov_b32 s1, 0x3fb8aa3b
	v_rndne_f32_e32 v5, v4
	v_sub_f32_e32 v6, v4, v5
	v_fma_f32 v4, v0, s1, -v4
	v_fmamk_f32 v4, v0, 0x32a5705f, v4
	v_add_f32_e32 v4, v6, v4
	v_exp_f32_e32 v4, v4
	v_cvt_i32_f32_e32 v5, v5
	s_mov_b32 s1, 0xc2ce8ed0
	v_cmp_ngt_f32_e32 vcc, s1, v0
	s_mov_b32 s1, 0x42b17218
	v_ldexp_f32 v4, v4, v5
	v_cndmask_b32_e32 v4, 0, v4, vcc
	v_mov_b32_e32 v5, 0x7f800000
	v_cmp_nlt_f32_e32 vcc, s1, v0
	s_nop 1
	v_cndmask_b32_e32 v0, v5, v4, vcc
	v_add_f32_e32 v0, 1.0, v0
	v_rcp_f32_e32 v0, v0
	s_nop 0
	v_fma_f32 v12, v0, -2.0, 1.0
.LBB30_354:
	s_andn2_saveexec_b64 s[4:5], s[4:5]
; %bb.355:
	v_mul_f32_e32 v0, v1, v1
	v_mov_b32_e32 v4, 0x3ca908c9
	v_fmac_f32_e32 v4, 0xbbbac73d, v0
	v_fmaak_f32 v4, v0, v4, 0xbd5c1c4e
	v_fmaak_f32 v4, v0, v4, 0x3e088382
	;; [unrolled: 1-line block ×3, first 2 shown]
	v_mul_f32_e64 v4, |v1|, v4
	v_fma_f32 v12, v0, v4, |v1|
; %bb.356:
	s_or_b64 exec, exec, s[4:5]
	s_mov_b32 s1, 0x3f200000
	v_cmp_nlt_f32_e64 s[4:5], |v2|, s1
                                        ; implicit-def: $vgpr13
	s_and_saveexec_b64 s[6:7], s[4:5]
	s_xor_b64 s[4:5], exec, s[6:7]
	s_cbranch_execz .LBB30_358
; %bb.357:
	v_add_f32_e64 v0, |v2|, |v2|
	v_mul_f32_e32 v4, 0x3fb8aa3b, v0
	s_mov_b32 s1, 0x3fb8aa3b
	v_rndne_f32_e32 v5, v4
	v_sub_f32_e32 v6, v4, v5
	v_fma_f32 v4, v0, s1, -v4
	v_fmamk_f32 v4, v0, 0x32a5705f, v4
	v_add_f32_e32 v4, v6, v4
	v_exp_f32_e32 v4, v4
	v_cvt_i32_f32_e32 v5, v5
	s_mov_b32 s1, 0xc2ce8ed0
	v_cmp_ngt_f32_e32 vcc, s1, v0
	s_mov_b32 s1, 0x42b17218
	v_ldexp_f32 v4, v4, v5
	v_cndmask_b32_e32 v4, 0, v4, vcc
	v_mov_b32_e32 v5, 0x7f800000
	v_cmp_nlt_f32_e32 vcc, s1, v0
	s_nop 1
	v_cndmask_b32_e32 v0, v5, v4, vcc
	v_add_f32_e32 v0, 1.0, v0
	v_rcp_f32_e32 v0, v0
	s_nop 0
	v_fma_f32 v13, v0, -2.0, 1.0
.LBB30_358:
	s_andn2_saveexec_b64 s[4:5], s[4:5]
; %bb.359:
	v_mul_f32_e32 v0, v2, v2
	v_mov_b32_e32 v4, 0x3ca908c9
	v_fmac_f32_e32 v4, 0xbbbac73d, v0
	v_fmaak_f32 v4, v0, v4, 0xbd5c1c4e
	v_fmaak_f32 v4, v0, v4, 0x3e088382
	;; [unrolled: 1-line block ×3, first 2 shown]
	v_mul_f32_e64 v4, |v2|, v4
	v_fma_f32 v13, v0, v4, |v2|
; %bb.360:
	s_or_b64 exec, exec, s[4:5]
	s_mov_b32 s1, 0x3f200000
	v_cmp_nlt_f32_e64 s[4:5], |v3|, s1
                                        ; implicit-def: $vgpr14
	s_and_saveexec_b64 s[6:7], s[4:5]
	s_xor_b64 s[4:5], exec, s[6:7]
	s_cbranch_execz .LBB30_362
; %bb.361:
	v_add_f32_e64 v0, |v3|, |v3|
	v_mul_f32_e32 v4, 0x3fb8aa3b, v0
	s_mov_b32 s1, 0x3fb8aa3b
	v_rndne_f32_e32 v5, v4
	v_sub_f32_e32 v6, v4, v5
	v_fma_f32 v4, v0, s1, -v4
	v_fmamk_f32 v4, v0, 0x32a5705f, v4
	v_add_f32_e32 v4, v6, v4
	v_exp_f32_e32 v4, v4
	v_cvt_i32_f32_e32 v5, v5
	s_mov_b32 s1, 0xc2ce8ed0
	v_cmp_ngt_f32_e32 vcc, s1, v0
	s_mov_b32 s1, 0x42b17218
	v_ldexp_f32 v4, v4, v5
	v_cndmask_b32_e32 v4, 0, v4, vcc
	v_mov_b32_e32 v5, 0x7f800000
	v_cmp_nlt_f32_e32 vcc, s1, v0
	s_nop 1
	v_cndmask_b32_e32 v0, v5, v4, vcc
	v_add_f32_e32 v0, 1.0, v0
	v_rcp_f32_e32 v0, v0
	s_nop 0
	v_fma_f32 v14, v0, -2.0, 1.0
.LBB30_362:
	s_or_saveexec_b64 s[4:5], s[4:5]
	v_add_u32_e32 v0, 0x1080, v39
	v_add_u32_e32 v4, 0x2100, v39
	;; [unrolled: 1-line block ×7, first 2 shown]
	s_xor_b64 exec, exec, s[4:5]
; %bb.363:
	v_mul_f32_e32 v14, v3, v3
	v_mov_b32_e32 v15, 0x3ca908c9
	v_fmac_f32_e32 v15, 0xbbbac73d, v14
	v_fmaak_f32 v15, v14, v15, 0xbd5c1c4e
	v_fmaak_f32 v15, v14, v15, 0x3e088382
	;; [unrolled: 1-line block ×3, first 2 shown]
	v_mul_f32_e64 v15, |v3|, v15
	v_fma_f32 v14, v14, v15, |v3|
; %bb.364:
	s_or_b64 exec, exec, s[4:5]
	v_and_b32_e32 v62, 0xfc, v78
	v_add_u16_e32 v16, v33, v62
	v_lshrrev_b32_e32 v15, 2, v80
	s_movk_i32 s4, 0x90
	v_lshrrev_b16_e32 v16, 1, v16
	v_mad_u32_u24 v15, v15, s4, 0
	v_lshlrev_b32_e32 v16, 2, v16
	s_mov_b32 s4, 0x8400
	v_add3_u32 v15, v15, v16, s4
	ds_read2_b32 v[16:17], v15 offset1:1
	s_brev_b32 s1, -2
	v_bfi_b32 v10, s1, v11, v10
	v_bfi_b32 v1, s1, v12, v1
	;; [unrolled: 1-line block ×4, first 2 shown]
	s_waitcnt lgkmcnt(0)
	v_fma_mix_f32 v10, s3, v10, v16 op_sel_hi:[0,0,1]
	v_fma_mix_f32 v1, s3, v1, v16 op_sel:[0,0,1] op_sel_hi:[0,0,1]
	v_fma_mix_f32 v11, s3, v2, v17 op_sel_hi:[0,0,1]
	v_fma_mix_f32 v3, s3, v3, v17 op_sel:[0,0,1] op_sel_hi:[0,0,1]
	v_add_f32_e32 v2, 0x40051340, v10
	v_add_f32_e32 v12, 0x40051340, v1
	v_max3_f32 v2, v34, v2, v12
	v_add_f32_e32 v12, 0x40051340, v11
	v_add_f32_e32 v13, 0x40051340, v3
	v_max3_f32 v2, v2, v12, v13
	v_mbcnt_hi_u32_b32 v12, -1, v79
	v_and_b32_e32 v13, 64, v12
	v_add_u32_e32 v13, 64, v13
	v_xor_b32_e32 v14, 32, v12
	v_cmp_lt_i32_e32 vcc, v14, v13
	s_mov_b32 s3, 0x3fb8aa3b
	s_mov_b32 s4, 0xc2ce8ed0
	v_cndmask_b32_e32 v14, v12, v14, vcc
	v_lshlrev_b32_e32 v65, 2, v14
	ds_bpermute_b32 v14, v65, v2
	s_mov_b32 s1, 0x42b17218
	v_mov_b32_e32 v63, 0x7f800000
	s_mul_hi_i32 s7, s0, s14
	s_mul_i32 s6, s0, s14
	s_waitcnt lgkmcnt(0)
	v_max_f32_e32 v14, v14, v14
	v_max_f32_e32 v2, v2, v14
	v_xor_b32_e32 v14, 16, v12
	v_cmp_lt_i32_e32 vcc, v14, v13
	s_lshl_b64 s[6:7], s[6:7], 2
	s_add_u32 s6, s10, s6
	v_cndmask_b32_e32 v12, v12, v14, vcc
	v_lshlrev_b32_e32 v67, 2, v12
	ds_bpermute_b32 v12, v67, v2
	s_addc_u32 s7, s11, s7
	v_mov_b32_e32 v33, 0
	s_lshl_b32 s0, s14, 3
	v_mul_u32_u24_e32 v62, 0x210, v62
	s_waitcnt lgkmcnt(0)
	v_max_f32_e32 v12, v12, v12
	v_max_f32_e32 v2, v2, v12
	v_sub_f32_e32 v10, v10, v2
	v_mul_f32_e32 v12, 0x3fb8aa3b, v10
	v_fma_f32 v13, v10, s3, -v12
	v_rndne_f32_e32 v14, v12
	v_fmac_f32_e32 v13, 0x32a5705f, v10
	v_sub_f32_e32 v12, v12, v14
	v_add_f32_e32 v12, v12, v13
	v_exp_f32_e32 v12, v12
	v_cvt_i32_f32_e32 v13, v14
	v_sub_f32_e32 v1, v1, v2
	v_cmp_ngt_f32_e32 vcc, s4, v10
	v_sub_f32_e32 v11, v11, v2
	v_ldexp_f32 v12, v12, v13
	v_mul_f32_e32 v13, 0x3fb8aa3b, v1
	v_fma_f32 v14, v1, s3, -v13
	v_rndne_f32_e32 v15, v13
	v_fmac_f32_e32 v14, 0x32a5705f, v1
	v_sub_f32_e32 v13, v13, v15
	v_add_f32_e32 v13, v13, v14
	v_exp_f32_e32 v13, v13
	v_cvt_i32_f32_e32 v14, v15
	v_cndmask_b32_e32 v12, 0, v12, vcc
	v_cmp_nlt_f32_e32 vcc, s1, v10
	v_sub_f32_e32 v3, v3, v2
	v_ldexp_f32 v10, v13, v14
	v_cndmask_b32_e32 v64, v63, v12, vcc
	v_mul_f32_e32 v12, 0x3fb8aa3b, v11
	v_fma_f32 v13, v11, s3, -v12
	v_rndne_f32_e32 v14, v12
	v_fmac_f32_e32 v13, 0x32a5705f, v11
	v_sub_f32_e32 v12, v12, v14
	v_add_f32_e32 v12, v12, v13
	v_exp_f32_e32 v12, v12
	v_cvt_i32_f32_e32 v13, v14
	v_cmp_ngt_f32_e32 vcc, s4, v1
	v_sub_f32_e32 v34, v34, v2
	s_nop 0
	v_cndmask_b32_e32 v10, 0, v10, vcc
	v_cmp_nlt_f32_e32 vcc, s1, v1
	s_nop 1
	v_cndmask_b32_e32 v66, v63, v10, vcc
	v_ldexp_f32 v10, v12, v13
	v_cmp_ngt_f32_e32 vcc, s4, v11
	v_add_f32_e32 v1, v64, v66
	s_nop 0
	v_cndmask_b32_e32 v10, 0, v10, vcc
	v_cmp_nlt_f32_e32 vcc, s1, v11
	s_nop 1
	v_cndmask_b32_e32 v68, v63, v10, vcc
	v_lshl_add_u64 v[10:11], v[36:37], 2, s[6:7]
	v_lshl_add_u64 v[48:49], v[10:11], 0, v[32:33]
	v_add_u32_e32 v10, s0, v36
	v_ashrrev_i32_e32 v11, 31, v10
	v_lshl_add_u64 v[12:13], v[10:11], 2, s[6:7]
	v_add_u32_e32 v10, s0, v10
	v_ashrrev_i32_e32 v11, 31, v10
	v_lshl_add_u64 v[36:37], v[12:13], 0, v[32:33]
	v_lshl_add_u64 v[12:13], v[10:11], 2, s[6:7]
	v_add_u32_e32 v10, s0, v10
	v_ashrrev_i32_e32 v11, 31, v10
	v_lshl_add_u64 v[50:51], v[12:13], 0, v[32:33]
	;; [unrolled: 4-line block ×6, first 2 shown]
	v_lshl_add_u64 v[58:59], v[12:13], 0, v[32:33]
	v_lshl_add_u64 v[60:61], v[10:11], 0, v[32:33]
	global_load_dwordx4 v[10:13], v[48:49], off
	global_load_dwordx4 v[14:17], v[36:37], off
	;; [unrolled: 1-line block ×8, first 2 shown]
	v_mul_f32_e32 v36, 0x3fb8aa3b, v3
	v_fma_f32 v37, v3, s3, -v36
	v_rndne_f32_e32 v48, v36
	v_fmac_f32_e32 v37, 0x32a5705f, v3
	v_sub_f32_e32 v36, v36, v48
	v_add_f32_e32 v36, v36, v37
	v_cvt_i32_f32_e32 v37, v48
	v_mul_f32_e32 v48, 0x3fb8aa3b, v34
	v_fma_f32 v49, v34, s3, -v48
	v_rndne_f32_e32 v50, v48
	v_fmac_f32_e32 v49, 0x32a5705f, v34
	v_sub_f32_e32 v48, v48, v50
	v_exp_f32_e32 v36, v36
	v_add_f32_e32 v48, v48, v49
	v_exp_f32_e32 v48, v48
	v_cvt_i32_f32_e32 v49, v50
	v_ldexp_f32 v36, v36, v37
	v_cmp_ngt_f32_e32 vcc, s4, v3
	s_mov_b32 s0, 0xc1a00000
	v_ldexp_f32 v37, v48, v49
	v_cndmask_b32_e32 v36, 0, v36, vcc
	v_cmp_ngt_f32_e32 vcc, s4, v34
	v_add_f32_e32 v1, v68, v1
	s_waitcnt vmcnt(7)
	ds_write_b128 v39, v[10:13]
	s_waitcnt vmcnt(6)
	ds_write_b128 v0, v[14:17]
	;; [unrolled: 2-line block ×8, first 2 shown]
	v_cndmask_b32_e32 v37, 0, v37, vcc
	v_cmp_nlt_f32_e32 vcc, s1, v34
	v_add3_u32 v6, v38, v62, v77
	s_waitcnt lgkmcnt(0)
	v_cndmask_b32_e32 v37, v63, v37, vcc
	v_cmp_le_f32_e32 vcc, s0, v34
	s_barrier
	s_nop 0
	v_cndmask_b32_e32 v34, 0, v37, vcc
	v_cvt_f16_f32_e32 v37, v34
	v_cmp_nlt_f32_e32 vcc, s1, v3
	s_mov_b32 s0, 0x5040100
	v_cvt_pk_f16_f32 v0, v64, v66
	v_cndmask_b32_e32 v36, v63, v36, vcc
	v_add_f32_e32 v3, v36, v1
	v_mul_u32_u24_e32 v1, 0x10001, v37
	v_fmac_f32_e32 v3, v35, v34
	v_pk_mul_f16 v34, v120, v1
	v_pk_mul_f16 v35, v118, v1
	;; [unrolled: 1-line block ×32, first 2 shown]
	v_or_b32_e32 v1, 3, v78
	v_mul_u32_u24_e32 v78, 0x210, v1
	v_add3_u32 v7, v38, v78, v77
	ds_read_u16 v4, v6 offset:1056
	ds_read_u16 v8, v6 offset:1088
	;; [unrolled: 1-line block ×8, first 2 shown]
	ds_read_u16 v5, v7
	ds_read_u16 v15, v7 offset:32
	ds_read_u16 v16, v7 offset:64
	;; [unrolled: 1-line block ×7, first 2 shown]
	v_cvt_pk_f16_f32 v1, v68, v36
	s_waitcnt lgkmcnt(7)
	v_perm_b32 v5, v5, v4, s0
	ds_read_u16 v4, v6
	ds_read_u16 v22, v6 offset:32
	ds_read_u16 v23, v6 offset:64
	;; [unrolled: 1-line block ×15, first 2 shown]
	s_waitcnt lgkmcnt(7)
	v_perm_b32 v4, v29, v4, s0
	v_cvt_f32_f16_e32 v29, v34
	v_cvt_f32_f16_sdwa v34, v34 dst_sel:DWORD dst_unused:UNUSED_PAD src0_sel:WORD_1
	v_cvt_f32_f16_e32 v40, v35
	v_cvt_f32_f16_sdwa v35, v35 dst_sel:DWORD dst_unused:UNUSED_PAD src0_sel:WORD_1
	v_accvgpr_write_b32 a0, v29
	v_accvgpr_write_b32 a1, v34
	;; [unrolled: 1-line block ×4, first 2 shown]
	v_cvt_f32_f16_sdwa v29, v48 dst_sel:DWORD dst_unused:UNUSED_PAD src0_sel:WORD_1
	v_cvt_f32_f16_sdwa v35, v61 dst_sel:DWORD dst_unused:UNUSED_PAD src0_sel:WORD_1
	v_mfma_f32_16x16x16_f16 a[0:3], v[4:5], v[0:1], a[0:3]
	v_perm_b32 v5, v15, v8, s0
	s_waitcnt lgkmcnt(6)
	v_perm_b32 v4, v30, v22, s0
	v_cvt_f32_f16_e32 v8, v37
	v_cvt_f32_f16_sdwa v15, v37 dst_sel:DWORD dst_unused:UNUSED_PAD src0_sel:WORD_1
	v_cvt_f32_f16_e32 v22, v48
	v_accvgpr_write_b32 a7, v29
	v_accvgpr_write_b32 a4, v8
	;; [unrolled: 1-line block ×4, first 2 shown]
	v_cvt_f32_f16_e32 v8, v49
	v_cvt_f32_f16_e32 v15, v50
	v_mfma_f32_16x16x16_f16 a[4:7], v[4:5], v[0:1], a[4:7]
	v_perm_b32 v5, v16, v9, s0
	s_waitcnt lgkmcnt(5)
	v_perm_b32 v4, v31, v23, s0
	v_cvt_f32_f16_sdwa v9, v49 dst_sel:DWORD dst_unused:UNUSED_PAD src0_sel:WORD_1
	v_cvt_f32_f16_sdwa v16, v50 dst_sel:DWORD dst_unused:UNUSED_PAD src0_sel:WORD_1
	v_accvgpr_write_b32 a8, v8
	v_accvgpr_write_b32 a10, v15
	v_accvgpr_write_b32 a9, v9
	v_accvgpr_write_b32 a11, v16
	v_cvt_f32_f16_e32 v8, v51
	v_cvt_f32_f16_sdwa v9, v51 dst_sel:DWORD dst_unused:UNUSED_PAD src0_sel:WORD_1
	v_mfma_f32_16x16x16_f16 a[8:11], v[4:5], v[0:1], a[8:11]
	v_perm_b32 v5, v17, v10, s0
	s_waitcnt lgkmcnt(4)
	v_perm_b32 v4, v32, v24, s0
	v_cvt_f32_f16_e32 v10, v52
	v_cvt_f32_f16_sdwa v15, v52 dst_sel:DWORD dst_unused:UNUSED_PAD src0_sel:WORD_1
	v_accvgpr_write_b32 a12, v8
	v_accvgpr_write_b32 a13, v9
	v_accvgpr_write_b32 a14, v10
	v_accvgpr_write_b32 a15, v15
	v_cvt_f32_f16_e32 v8, v53
	v_cvt_f32_f16_sdwa v9, v53 dst_sel:DWORD dst_unused:UNUSED_PAD src0_sel:WORD_1
	v_mfma_f32_16x16x16_f16 a[12:15], v[4:5], v[0:1], a[12:15]
	v_perm_b32 v5, v18, v11, s0
	s_waitcnt lgkmcnt(3)
	v_perm_b32 v4, v33, v25, s0
	v_cvt_f32_f16_e32 v10, v54
	;; [unrolled: 12-line block ×5, first 2 shown]
	v_cvt_f32_f16_sdwa v11, v60 dst_sel:DWORD dst_unused:UNUSED_PAD src0_sel:WORD_1
	v_accvgpr_write_b32 a28, v8
	v_accvgpr_write_b32 a29, v9
	;; [unrolled: 1-line block ×4, first 2 shown]
	v_cvt_f32_f16_e32 v36, v63
	v_cvt_f32_f16_sdwa v37, v63 dst_sel:DWORD dst_unused:UNUSED_PAD src0_sel:WORD_1
	v_mfma_f32_16x16x16_f16 a[28:31], v[4:5], v[0:1], a[28:31]
	ds_read_u16 v4, v6 offset:1312
	ds_read_u16 v8, v6 offset:1344
	ds_read_u16 v9, v6 offset:1376
	ds_read_u16 v10, v6 offset:1408
	ds_read_u16 v11, v6 offset:1440
	ds_read_u16 v12, v6 offset:1472
	ds_read_u16 v13, v6 offset:1504
	ds_read_u16 v14, v6 offset:1536
	ds_read_u16 v5, v7 offset:256
	ds_read_u16 v15, v7 offset:288
	ds_read_u16 v16, v7 offset:320
	ds_read_u16 v17, v7 offset:352
	ds_read_u16 v18, v7 offset:384
	ds_read_u16 v19, v7 offset:416
	ds_read_u16 v20, v7 offset:448
	ds_read_u16 v7, v7 offset:480
	s_waitcnt lgkmcnt(7)
	v_perm_b32 v5, v5, v4, s0
	ds_read_u16 v4, v6 offset:256
	ds_read_u16 v21, v6 offset:288
	;; [unrolled: 1-line block ×16, first 2 shown]
	s_waitcnt lgkmcnt(7)
	v_perm_b32 v4, v28, v4, s0
	v_cvt_f32_f16_e32 v28, v61
	v_accvgpr_write_b32 a33, v35
	v_accvgpr_write_b32 a34, v36
	;; [unrolled: 1-line block ×4, first 2 shown]
	v_cvt_f32_f16_sdwa v28, v70 dst_sel:DWORD dst_unused:UNUSED_PAD src0_sel:WORD_1
	s_movk_i32 s3, 0x210
	v_mfma_f32_16x16x16_f16 a[32:35], v[4:5], v[0:1], a[32:35]
	v_perm_b32 v5, v15, v8, s0
	s_waitcnt lgkmcnt(6)
	v_perm_b32 v4, v29, v21, s0
	v_cvt_f32_f16_e32 v8, v69
	v_cvt_f32_f16_sdwa v15, v69 dst_sel:DWORD dst_unused:UNUSED_PAD src0_sel:WORD_1
	v_cvt_f32_f16_e32 v21, v70
	v_accvgpr_write_b32 a39, v28
	v_accvgpr_write_b32 a36, v8
	v_accvgpr_write_b32 a37, v15
	v_accvgpr_write_b32 a38, v21
	v_cvt_f32_f16_e32 v8, v71
	v_cvt_f32_f16_e32 v15, v79
	v_mfma_f32_16x16x16_f16 a[36:39], v[4:5], v[0:1], a[36:39]
	v_perm_b32 v5, v16, v9, s0
	s_waitcnt lgkmcnt(5)
	v_perm_b32 v4, v30, v22, s0
	v_cvt_f32_f16_sdwa v9, v71 dst_sel:DWORD dst_unused:UNUSED_PAD src0_sel:WORD_1
	v_cvt_f32_f16_sdwa v16, v79 dst_sel:DWORD dst_unused:UNUSED_PAD src0_sel:WORD_1
	v_accvgpr_write_b32 a40, v8
	v_accvgpr_write_b32 a42, v15
	v_accvgpr_write_b32 a41, v9
	v_accvgpr_write_b32 a43, v16
	v_cvt_f32_f16_e32 v8, v80
	v_cvt_f32_f16_sdwa v9, v80 dst_sel:DWORD dst_unused:UNUSED_PAD src0_sel:WORD_1
	v_mfma_f32_16x16x16_f16 a[40:43], v[4:5], v[0:1], a[40:43]
	v_perm_b32 v5, v17, v10, s0
	s_waitcnt lgkmcnt(4)
	v_perm_b32 v4, v31, v23, s0
	v_cvt_f32_f16_e32 v10, v81
	v_cvt_f32_f16_sdwa v15, v81 dst_sel:DWORD dst_unused:UNUSED_PAD src0_sel:WORD_1
	v_accvgpr_write_b32 a44, v8
	v_accvgpr_write_b32 a45, v9
	v_accvgpr_write_b32 a46, v10
	v_accvgpr_write_b32 a47, v15
	v_cvt_f32_f16_e32 v8, v82
	v_cvt_f32_f16_sdwa v9, v82 dst_sel:DWORD dst_unused:UNUSED_PAD src0_sel:WORD_1
	v_mfma_f32_16x16x16_f16 a[44:47], v[4:5], v[0:1], a[44:47]
	v_perm_b32 v5, v18, v11, s0
	s_waitcnt lgkmcnt(3)
	v_perm_b32 v4, v32, v24, s0
	v_cvt_f32_f16_e32 v10, v90
	;; [unrolled: 12-line block ×4, first 2 shown]
	v_cvt_f32_f16_sdwa v11, v86 dst_sel:DWORD dst_unused:UNUSED_PAD src0_sel:WORD_1
	v_accvgpr_write_b32 a56, v8
	v_accvgpr_write_b32 a57, v9
	v_accvgpr_write_b32 a58, v10
	v_accvgpr_write_b32 a59, v11
	v_cvt_f32_f16_e32 v8, v83
	v_cvt_f32_f16_sdwa v9, v83 dst_sel:DWORD dst_unused:UNUSED_PAD src0_sel:WORD_1
	v_mfma_f32_16x16x16_f16 a[56:59], v[4:5], v[0:1], a[56:59]
	s_waitcnt lgkmcnt(0)
	v_perm_b32 v4, v6, v27, s0
	v_cvt_f32_f16_e32 v6, v84
	v_perm_b32 v5, v7, v14, s0
	v_cvt_f32_f16_sdwa v7, v84 dst_sel:DWORD dst_unused:UNUSED_PAD src0_sel:WORD_1
	v_accvgpr_write_b32 a62, v8
	v_accvgpr_write_b32 a60, v6
	ds_bpermute_b32 v6, v65, v3
	v_accvgpr_write_b32 a61, v7
	v_accvgpr_write_b32 a63, v9
	v_cmp_gt_u32_e64 s[0:1], 16, v72
	s_waitcnt lgkmcnt(0)
	v_mfma_f32_16x16x16_f16 a[60:63], v[4:5], v[0:1], a[60:63]
	v_add_f32_e32 v0, v3, v6
	ds_bpermute_b32 v1, v67, v0
	s_barrier
	s_waitcnt lgkmcnt(0)
	s_and_saveexec_b64 s[4:5], s[0:1]
; %bb.365:
	v_add_f32_e32 v0, v0, v1
	v_or_b32_e32 v1, v185, v72
	v_mad_u32_u24 v1, v1, s3, 0
	ds_write2_b32 v1, v2, v0 offset0:128 offset1:129
; %bb.366:
	s_or_b64 exec, exec, s[4:5]
	v_cmp_eq_u32_e32 vcc, 0, v168
	v_cmp_ne_u32_e64 s[4:5], 0, v168
	s_waitcnt lgkmcnt(0)
	s_barrier
	s_and_saveexec_b64 s[6:7], s[4:5]
	s_xor_b64 s[4:5], exec, s[6:7]
	s_cbranch_execz .LBB30_368
; %bb.367:
	s_barrier
                                        ; implicit-def: $vgpr65
                                        ; implicit-def: $vgpr67
                                        ; implicit-def: $vgpr183
.LBB30_368:
	s_or_saveexec_b64 s[6:7], s[4:5]
	v_accvgpr_read_b32 v63, a3
	v_accvgpr_read_b32 v59, a7
	;; [unrolled: 1-line block ×64, first 2 shown]
	s_xor_b64 exec, exec, s[6:7]
	s_cbranch_execz .LBB30_372
; %bb.369:
	v_add_u32_e32 v64, v185, v72
	v_mad_u32_u24 v70, v64, s3, 0
	ds_read_b64 v[68:69], v70 offset:512
	s_mov_b32 s3, 0x3fb8aa3b
	s_mov_b32 s8, 0x42b17218
	;; [unrolled: 1-line block ×3, first 2 shown]
	s_waitcnt lgkmcnt(0)
	ds_bpermute_b32 v64, v65, v68
	v_max_f32_e32 v66, v68, v68
	s_barrier
	s_waitcnt lgkmcnt(0)
	v_max_f32_e32 v64, v64, v64
	v_max_f32_e32 v64, v66, v64
	ds_bpermute_b32 v66, v67, v64
	s_waitcnt lgkmcnt(0)
	v_max_f32_e32 v66, v66, v66
	v_max_f32_e32 v64, v64, v66
	v_sub_f32_e32 v66, v68, v64
	v_mul_f32_e32 v68, 0x3fb8aa3b, v66
	v_fma_f32 v71, v66, s3, -v68
	v_rndne_f32_e32 v77, v68
	v_fmamk_f32 v71, v66, 0x32a5705f, v71
	v_sub_f32_e32 v68, v68, v77
	v_add_f32_e32 v68, v68, v71
	v_cvt_i32_f32_e32 v77, v77
	v_exp_f32_e32 v68, v68
	s_mov_b32 s3, 0xc2ce8ed0
	v_cmp_ngt_f32_e64 s[4:5], s3, v66
	v_mov_b32_e32 v71, 0x7f800000
	v_ldexp_f32 v68, v68, v77
	v_cndmask_b32_e64 v68, 0, v68, s[4:5]
	v_cmp_nlt_f32_e64 s[4:5], s8, v66
	s_nop 1
	v_cndmask_b32_e64 v66, v71, v68, s[4:5]
	v_mul_f32_e32 v68, v69, v66
	ds_bpermute_b32 v65, v65, v68
	s_waitcnt lgkmcnt(0)
	v_fmac_f32_e32 v65, v69, v66
	ds_bpermute_b32 v67, v67, v65
	s_waitcnt lgkmcnt(0)
	v_add_f32_e32 v67, v65, v67
	ds_write_b64 v70, v[66:67] offset:512
	s_and_saveexec_b64 s[4:5], s[0:1]
	s_cbranch_execz .LBB30_371
; %bb.370:
	s_add_i32 s0, s33, s2
	s_lshl_b32 s8, s0, 4
	s_lshl_b64 s[0:1], s[8:9], 3
	s_add_u32 s0, s30, s0
	v_or_b32_e32 v65, v183, v72
	s_addc_u32 s1, s31, s1
	v_lshlrev_b32_e32 v66, 3, v65
	v_mov_b32_e32 v65, v67
	global_store_dwordx2 v66, v[64:65], s[0:1]
.LBB30_371:
	s_or_b64 exec, exec, s[4:5]
.LBB30_372:
	s_or_b64 exec, exec, s[6:7]
	v_cvt_pk_f16_f32 v4, v4, v5
	v_or_b32_e32 v5, v185, v75
	v_mul_u32_u24_e32 v5, 0x210, v5
	v_cvt_pk_f16_f32 v62, v62, v63
	v_cvt_pk_f16_f32 v60, v60, v61
	s_mov_b32 s3, 0
	s_movk_i32 s4, 0x210
	v_add3_u32 v5, 0, v76, v5
	v_cvt_pk_f16_f32 v58, v58, v59
	v_cvt_pk_f16_f32 v56, v56, v57
	;; [unrolled: 1-line block ×29, first 2 shown]
	ds_write2_b32 v5, v60, v62 offset1:1
	ds_write2_b32 v5, v56, v58 offset0:8 offset1:9
	ds_write2_b32 v5, v52, v54 offset0:16 offset1:17
	;; [unrolled: 1-line block ×15, first 2 shown]
	s_waitcnt lgkmcnt(0)
	s_barrier
	s_and_saveexec_b64 s[0:1], vcc
	s_cbranch_execz .LBB30_374
; %bb.373:
	s_lshl_b32 s2, s2, 11
	s_lshl_b64 s[6:7], s[2:3], 3
	s_add_u32 s5, s30, s6
	s_addc_u32 s6, s31, s7
	s_lshl_b32 s2, s33, 5
	s_lshl_b64 s[2:3], s[2:3], 3
	s_add_u32 s2, s5, s2
	v_bfe_u32 v0, v85, 2, 4
	s_movk_i32 s5, 0x3c0
	v_and_or_b32 v0, v85, s5, v0
	v_mad_u32_u24 v12, v0, s4, 0
	v_add_u32_e32 v8, v12, v74
	ds_read2st64_b32 v[0:1], v8 offset1:1
	ds_read2st64_b32 v[2:3], v12 offset0:2 offset1:35
	ds_read2st64_b32 v[4:5], v8 offset0:33 offset1:34
	;; [unrolled: 1-line block ×4, first 2 shown]
	s_waitcnt lgkmcnt(4)
	v_cvt_f32_f16_e32 v10, v0
	v_cvt_f32_f16_sdwa v11, v0 dst_sel:DWORD dst_unused:UNUSED_PAD src0_sel:WORD_1
	ds_read2st64_b32 v[12:13], v12 offset0:68 offset1:101
	s_waitcnt lgkmcnt(3)
	v_cvt_f32_f16_e32 v14, v4
	v_cvt_f32_f16_sdwa v15, v4 dst_sel:DWORD dst_unused:UNUSED_PAD src0_sel:WORD_1
	s_waitcnt lgkmcnt(2)
	v_cvt_f32_f16_e32 v16, v6
	v_cvt_f32_f16_sdwa v17, v6 dst_sel:DWORD dst_unused:UNUSED_PAD src0_sel:WORD_1
	v_lshlrev_b32_e32 v0, 5, v85
	s_waitcnt lgkmcnt(1)
	v_cvt_f32_f16_e32 v18, v8
	v_cvt_f32_f16_sdwa v19, v8 dst_sel:DWORD dst_unused:UNUSED_PAD src0_sel:WORD_1
	v_add_lshl_u32 v20, v72, v0, 3
	v_pk_fma_f32 v[10:11], v[2:3], v[10:11], 0 op_sel_hi:[0,1,0]
	v_mov_b32_e32 v0, v3
	v_pk_fma_f32 v[10:11], v[0:1], v[14:15], v[10:11] op_sel_hi:[0,1,1]
	s_waitcnt lgkmcnt(0)
	v_pk_fma_f32 v[10:11], v[12:13], v[16:17], v[10:11] op_sel_hi:[0,1,1]
	v_mov_b32_e32 v4, v13
	s_addc_u32 s3, s6, s3
	v_pk_fma_f32 v[10:11], v[4:5], v[18:19], v[10:11] op_sel_hi:[0,1,1]
	global_store_dwordx2 v20, v[10:11], s[2:3]
	v_cvt_f32_f16_e32 v10, v1
	v_cvt_f32_f16_sdwa v11, v1 dst_sel:DWORD dst_unused:UNUSED_PAD src0_sel:WORD_1
	v_cvt_f32_f16_e32 v14, v5
	v_cvt_f32_f16_sdwa v15, v5 dst_sel:DWORD dst_unused:UNUSED_PAD src0_sel:WORD_1
	;; [unrolled: 2-line block ×4, first 2 shown]
	v_pk_fma_f32 v[2:3], v[2:3], v[10:11], 0 op_sel_hi:[0,1,0]
	v_pk_fma_f32 v[0:1], v[0:1], v[14:15], v[2:3] op_sel_hi:[0,1,1]
	v_pk_fma_f32 v[0:1], v[12:13], v[6:7], v[0:1] op_sel_hi:[0,1,1]
	v_pk_fma_f32 v[0:1], v[4:5], v[8:9], v[0:1] op_sel_hi:[0,1,1]
	v_add_u32_e32 v12, 1, v73
	global_store_dwordx2 v20, v[0:1], s[2:3] offset:512
	v_lshlrev_b32_e32 v0, 2, v12
	v_and_b32_e32 v1, 15, v12
	s_movk_i32 s5, 0x7c0
	v_and_or_b32 v0, v0, s5, v1
	v_mad_u32_u24 v13, v0, s4, 0
	v_add_u32_e32 v8, v13, v74
	ds_read2st64_b32 v[0:1], v8 offset1:1
	ds_read2st64_b32 v[2:3], v13 offset0:2 offset1:35
	ds_read2st64_b32 v[4:5], v8 offset0:33 offset1:34
	ds_read2st64_b32 v[6:7], v8 offset0:66 offset1:67
	ds_read2st64_b32 v[8:9], v8 offset0:99 offset1:100
	s_waitcnt lgkmcnt(4)
	v_cvt_f32_f16_e32 v10, v0
	v_cvt_f32_f16_sdwa v11, v0 dst_sel:DWORD dst_unused:UNUSED_PAD src0_sel:WORD_1
	v_lshlrev_b32_e32 v0, 7, v12
	ds_read2st64_b32 v[12:13], v13 offset0:68 offset1:101
	s_waitcnt lgkmcnt(3)
	v_cvt_f32_f16_e32 v14, v4
	v_cvt_f32_f16_sdwa v15, v4 dst_sel:DWORD dst_unused:UNUSED_PAD src0_sel:WORD_1
	s_waitcnt lgkmcnt(2)
	v_cvt_f32_f16_e32 v16, v6
	v_cvt_f32_f16_sdwa v17, v6 dst_sel:DWORD dst_unused:UNUSED_PAD src0_sel:WORD_1
	s_waitcnt lgkmcnt(1)
	v_cvt_f32_f16_e32 v18, v8
	v_cvt_f32_f16_sdwa v19, v8 dst_sel:DWORD dst_unused:UNUSED_PAD src0_sel:WORD_1
	v_add_lshl_u32 v20, v72, v0, 3
	v_pk_fma_f32 v[10:11], v[2:3], v[10:11], 0 op_sel_hi:[0,1,0]
	v_mov_b32_e32 v0, v3
	v_pk_fma_f32 v[10:11], v[0:1], v[14:15], v[10:11] op_sel_hi:[0,1,1]
	s_waitcnt lgkmcnt(0)
	v_pk_fma_f32 v[10:11], v[12:13], v[16:17], v[10:11] op_sel_hi:[0,1,1]
	v_mov_b32_e32 v4, v13
	v_pk_fma_f32 v[10:11], v[4:5], v[18:19], v[10:11] op_sel_hi:[0,1,1]
	global_store_dwordx2 v20, v[10:11], s[2:3]
	v_cvt_f32_f16_e32 v10, v1
	v_cvt_f32_f16_sdwa v11, v1 dst_sel:DWORD dst_unused:UNUSED_PAD src0_sel:WORD_1
	v_cvt_f32_f16_e32 v14, v5
	v_cvt_f32_f16_sdwa v15, v5 dst_sel:DWORD dst_unused:UNUSED_PAD src0_sel:WORD_1
	v_cvt_f32_f16_e32 v6, v7
	v_cvt_f32_f16_sdwa v7, v7 dst_sel:DWORD dst_unused:UNUSED_PAD src0_sel:WORD_1
	v_cvt_f32_f16_e32 v8, v9
	v_cvt_f32_f16_sdwa v9, v9 dst_sel:DWORD dst_unused:UNUSED_PAD src0_sel:WORD_1
	v_pk_fma_f32 v[2:3], v[2:3], v[10:11], 0 op_sel_hi:[0,1,0]
	v_pk_fma_f32 v[0:1], v[0:1], v[14:15], v[2:3] op_sel_hi:[0,1,1]
	v_pk_fma_f32 v[0:1], v[12:13], v[6:7], v[0:1] op_sel_hi:[0,1,1]
	v_pk_fma_f32 v[0:1], v[4:5], v[8:9], v[0:1] op_sel_hi:[0,1,1]
	v_add_u32_e32 v12, 2, v73
	global_store_dwordx2 v20, v[0:1], s[2:3] offset:512
	v_lshlrev_b32_e32 v0, 2, v12
	v_and_b32_e32 v1, 15, v12
	v_and_or_b32 v0, v0, s5, v1
	v_mad_u32_u24 v13, v0, s4, 0
	v_add_u32_e32 v8, v13, v74
	ds_read2st64_b32 v[0:1], v8 offset1:1
	ds_read2st64_b32 v[2:3], v13 offset0:2 offset1:35
	ds_read2st64_b32 v[4:5], v8 offset0:33 offset1:34
	ds_read2st64_b32 v[6:7], v8 offset0:66 offset1:67
	ds_read2st64_b32 v[8:9], v8 offset0:99 offset1:100
	s_waitcnt lgkmcnt(4)
	v_cvt_f32_f16_e32 v10, v0
	v_cvt_f32_f16_sdwa v11, v0 dst_sel:DWORD dst_unused:UNUSED_PAD src0_sel:WORD_1
	v_lshlrev_b32_e32 v0, 7, v12
	ds_read2st64_b32 v[12:13], v13 offset0:68 offset1:101
	s_waitcnt lgkmcnt(3)
	v_cvt_f32_f16_e32 v14, v4
	v_cvt_f32_f16_sdwa v15, v4 dst_sel:DWORD dst_unused:UNUSED_PAD src0_sel:WORD_1
	s_waitcnt lgkmcnt(2)
	v_cvt_f32_f16_e32 v16, v6
	v_cvt_f32_f16_sdwa v17, v6 dst_sel:DWORD dst_unused:UNUSED_PAD src0_sel:WORD_1
	s_waitcnt lgkmcnt(1)
	v_cvt_f32_f16_e32 v18, v8
	v_cvt_f32_f16_sdwa v19, v8 dst_sel:DWORD dst_unused:UNUSED_PAD src0_sel:WORD_1
	v_add_lshl_u32 v20, v72, v0, 3
	v_pk_fma_f32 v[10:11], v[2:3], v[10:11], 0 op_sel_hi:[0,1,0]
	v_mov_b32_e32 v0, v3
	v_pk_fma_f32 v[10:11], v[0:1], v[14:15], v[10:11] op_sel_hi:[0,1,1]
	s_waitcnt lgkmcnt(0)
	v_pk_fma_f32 v[10:11], v[12:13], v[16:17], v[10:11] op_sel_hi:[0,1,1]
	v_mov_b32_e32 v4, v13
	v_pk_fma_f32 v[10:11], v[4:5], v[18:19], v[10:11] op_sel_hi:[0,1,1]
	global_store_dwordx2 v20, v[10:11], s[2:3]
	v_cvt_f32_f16_e32 v10, v1
	v_cvt_f32_f16_sdwa v11, v1 dst_sel:DWORD dst_unused:UNUSED_PAD src0_sel:WORD_1
	v_cvt_f32_f16_e32 v14, v5
	v_cvt_f32_f16_sdwa v15, v5 dst_sel:DWORD dst_unused:UNUSED_PAD src0_sel:WORD_1
	v_cvt_f32_f16_e32 v6, v7
	v_cvt_f32_f16_sdwa v7, v7 dst_sel:DWORD dst_unused:UNUSED_PAD src0_sel:WORD_1
	v_cvt_f32_f16_e32 v8, v9
	v_cvt_f32_f16_sdwa v9, v9 dst_sel:DWORD dst_unused:UNUSED_PAD src0_sel:WORD_1
	v_pk_fma_f32 v[2:3], v[2:3], v[10:11], 0 op_sel_hi:[0,1,0]
	v_pk_fma_f32 v[0:1], v[0:1], v[14:15], v[2:3] op_sel_hi:[0,1,1]
	v_pk_fma_f32 v[0:1], v[12:13], v[6:7], v[0:1] op_sel_hi:[0,1,1]
	v_pk_fma_f32 v[0:1], v[4:5], v[8:9], v[0:1] op_sel_hi:[0,1,1]
	v_add_u32_e32 v12, 3, v73
	global_store_dwordx2 v20, v[0:1], s[2:3] offset:512
	v_lshlrev_b32_e32 v0, 2, v12
	v_and_b32_e32 v1, 15, v12
	;; [unrolled: 47-line block ×14, first 2 shown]
	v_and_or_b32 v0, v0, s5, v1
	v_mad_u32_u24 v13, v0, s4, 0
	v_add_u32_e32 v8, v13, v74
	ds_read2st64_b32 v[0:1], v8 offset1:1
	ds_read2st64_b32 v[2:3], v13 offset0:2 offset1:35
	ds_read2st64_b32 v[4:5], v8 offset0:33 offset1:34
	;; [unrolled: 1-line block ×4, first 2 shown]
	s_waitcnt lgkmcnt(4)
	v_cvt_f32_f16_e32 v10, v0
	v_cvt_f32_f16_sdwa v11, v0 dst_sel:DWORD dst_unused:UNUSED_PAD src0_sel:WORD_1
	v_lshlrev_b32_e32 v0, 7, v12
	ds_read2st64_b32 v[12:13], v13 offset0:68 offset1:101
	s_waitcnt lgkmcnt(3)
	v_cvt_f32_f16_e32 v14, v4
	v_cvt_f32_f16_sdwa v15, v4 dst_sel:DWORD dst_unused:UNUSED_PAD src0_sel:WORD_1
	s_waitcnt lgkmcnt(2)
	v_cvt_f32_f16_e32 v16, v6
	v_cvt_f32_f16_sdwa v17, v6 dst_sel:DWORD dst_unused:UNUSED_PAD src0_sel:WORD_1
	;; [unrolled: 3-line block ×3, first 2 shown]
	v_add_lshl_u32 v20, v72, v0, 3
	v_pk_fma_f32 v[10:11], v[2:3], v[10:11], 0 op_sel_hi:[0,1,0]
	v_mov_b32_e32 v0, v3
	v_pk_fma_f32 v[10:11], v[0:1], v[14:15], v[10:11] op_sel_hi:[0,1,1]
	s_waitcnt lgkmcnt(0)
	v_pk_fma_f32 v[10:11], v[12:13], v[16:17], v[10:11] op_sel_hi:[0,1,1]
	v_mov_b32_e32 v4, v13
	v_pk_fma_f32 v[10:11], v[4:5], v[18:19], v[10:11] op_sel_hi:[0,1,1]
	global_store_dwordx2 v20, v[10:11], s[2:3]
	v_cvt_f32_f16_e32 v10, v1
	v_cvt_f32_f16_sdwa v11, v1 dst_sel:DWORD dst_unused:UNUSED_PAD src0_sel:WORD_1
	v_cvt_f32_f16_e32 v14, v5
	v_cvt_f32_f16_sdwa v15, v5 dst_sel:DWORD dst_unused:UNUSED_PAD src0_sel:WORD_1
	;; [unrolled: 2-line block ×4, first 2 shown]
	v_pk_fma_f32 v[2:3], v[2:3], v[10:11], 0 op_sel_hi:[0,1,0]
	v_pk_fma_f32 v[0:1], v[0:1], v[14:15], v[2:3] op_sel_hi:[0,1,1]
	;; [unrolled: 1-line block ×4, first 2 shown]
	global_store_dwordx2 v20, v[0:1], s[2:3] offset:512
.LBB30_374:
	s_or_b64 exec, exec, s[0:1]
	s_barrier
	s_endpgm
	.section	.rodata,"a",@progbits
	.p2align	6, 0x0
	.amdhsa_kernel _ZL18flash_attn_ext_f16ILi256ELi256ELi4ELi4ELb1ELb0EEvPKcS1_S1_S1_S1_PKiPfP15HIP_vector_typeIfLj2EEffffjfiS5_IjLj3EEiiiiiiiiiiiliiliiiiil
		.amdhsa_group_segment_fixed_size 0
		.amdhsa_private_segment_fixed_size 0
		.amdhsa_kernarg_size 464
		.amdhsa_user_sgpr_count 2
		.amdhsa_user_sgpr_dispatch_ptr 0
		.amdhsa_user_sgpr_queue_ptr 0
		.amdhsa_user_sgpr_kernarg_segment_ptr 1
		.amdhsa_user_sgpr_dispatch_id 0
		.amdhsa_user_sgpr_kernarg_preload_length 0
		.amdhsa_user_sgpr_kernarg_preload_offset 0
		.amdhsa_user_sgpr_private_segment_size 0
		.amdhsa_uses_dynamic_stack 0
		.amdhsa_enable_private_segment 0
		.amdhsa_system_sgpr_workgroup_id_x 1
		.amdhsa_system_sgpr_workgroup_id_y 0
		.amdhsa_system_sgpr_workgroup_id_z 0
		.amdhsa_system_sgpr_workgroup_info 0
		.amdhsa_system_vgpr_workitem_id 1
		.amdhsa_next_free_vgpr 342
		.amdhsa_next_free_sgpr 96
		.amdhsa_accum_offset 256
		.amdhsa_reserve_vcc 1
		.amdhsa_float_round_mode_32 0
		.amdhsa_float_round_mode_16_64 0
		.amdhsa_float_denorm_mode_32 3
		.amdhsa_float_denorm_mode_16_64 3
		.amdhsa_dx10_clamp 1
		.amdhsa_ieee_mode 1
		.amdhsa_fp16_overflow 0
		.amdhsa_tg_split 0
		.amdhsa_exception_fp_ieee_invalid_op 0
		.amdhsa_exception_fp_denorm_src 0
		.amdhsa_exception_fp_ieee_div_zero 0
		.amdhsa_exception_fp_ieee_overflow 0
		.amdhsa_exception_fp_ieee_underflow 0
		.amdhsa_exception_fp_ieee_inexact 0
		.amdhsa_exception_int_div_zero 0
	.end_amdhsa_kernel
	.section	.text._ZL18flash_attn_ext_f16ILi256ELi256ELi4ELi4ELb1ELb0EEvPKcS1_S1_S1_S1_PKiPfP15HIP_vector_typeIfLj2EEffffjfiS5_IjLj3EEiiiiiiiiiiiliiliiiiil,"axG",@progbits,_ZL18flash_attn_ext_f16ILi256ELi256ELi4ELi4ELb1ELb0EEvPKcS1_S1_S1_S1_PKiPfP15HIP_vector_typeIfLj2EEffffjfiS5_IjLj3EEiiiiiiiiiiiliiliiiiil,comdat
.Lfunc_end30:
	.size	_ZL18flash_attn_ext_f16ILi256ELi256ELi4ELi4ELb1ELb0EEvPKcS1_S1_S1_S1_PKiPfP15HIP_vector_typeIfLj2EEffffjfiS5_IjLj3EEiiiiiiiiiiiliiliiiiil, .Lfunc_end30-_ZL18flash_attn_ext_f16ILi256ELi256ELi4ELi4ELb1ELb0EEvPKcS1_S1_S1_S1_PKiPfP15HIP_vector_typeIfLj2EEffffjfiS5_IjLj3EEiiiiiiiiiiiliiliiiiil
                                        ; -- End function
	.set _ZL18flash_attn_ext_f16ILi256ELi256ELi4ELi4ELb1ELb0EEvPKcS1_S1_S1_S1_PKiPfP15HIP_vector_typeIfLj2EEffffjfiS5_IjLj3EEiiiiiiiiiiiliiliiiiil.num_vgpr, 256
	.set _ZL18flash_attn_ext_f16ILi256ELi256ELi4ELi4ELb1ELb0EEvPKcS1_S1_S1_S1_PKiPfP15HIP_vector_typeIfLj2EEffffjfiS5_IjLj3EEiiiiiiiiiiiliiliiiiil.num_agpr, 86
	.set _ZL18flash_attn_ext_f16ILi256ELi256ELi4ELi4ELb1ELb0EEvPKcS1_S1_S1_S1_PKiPfP15HIP_vector_typeIfLj2EEffffjfiS5_IjLj3EEiiiiiiiiiiiliiliiiiil.numbered_sgpr, 96
	.set _ZL18flash_attn_ext_f16ILi256ELi256ELi4ELi4ELb1ELb0EEvPKcS1_S1_S1_S1_PKiPfP15HIP_vector_typeIfLj2EEffffjfiS5_IjLj3EEiiiiiiiiiiiliiliiiiil.num_named_barrier, 0
	.set _ZL18flash_attn_ext_f16ILi256ELi256ELi4ELi4ELb1ELb0EEvPKcS1_S1_S1_S1_PKiPfP15HIP_vector_typeIfLj2EEffffjfiS5_IjLj3EEiiiiiiiiiiiliiliiiiil.private_seg_size, 0
	.set _ZL18flash_attn_ext_f16ILi256ELi256ELi4ELi4ELb1ELb0EEvPKcS1_S1_S1_S1_PKiPfP15HIP_vector_typeIfLj2EEffffjfiS5_IjLj3EEiiiiiiiiiiiliiliiiiil.uses_vcc, 1
	.set _ZL18flash_attn_ext_f16ILi256ELi256ELi4ELi4ELb1ELb0EEvPKcS1_S1_S1_S1_PKiPfP15HIP_vector_typeIfLj2EEffffjfiS5_IjLj3EEiiiiiiiiiiiliiliiiiil.uses_flat_scratch, 0
	.set _ZL18flash_attn_ext_f16ILi256ELi256ELi4ELi4ELb1ELb0EEvPKcS1_S1_S1_S1_PKiPfP15HIP_vector_typeIfLj2EEffffjfiS5_IjLj3EEiiiiiiiiiiiliiliiiiil.has_dyn_sized_stack, 0
	.set _ZL18flash_attn_ext_f16ILi256ELi256ELi4ELi4ELb1ELb0EEvPKcS1_S1_S1_S1_PKiPfP15HIP_vector_typeIfLj2EEffffjfiS5_IjLj3EEiiiiiiiiiiiliiliiiiil.has_recursion, 0
	.set _ZL18flash_attn_ext_f16ILi256ELi256ELi4ELi4ELb1ELb0EEvPKcS1_S1_S1_S1_PKiPfP15HIP_vector_typeIfLj2EEffffjfiS5_IjLj3EEiiiiiiiiiiiliiliiiiil.has_indirect_call, 0
	.section	.AMDGPU.csdata,"",@progbits
; Kernel info:
; codeLenInByte = 68800
; TotalNumSgprs: 102
; NumVgprs: 256
; NumAgprs: 86
; TotalNumVgprs: 342
; ScratchSize: 0
; MemoryBound: 0
; FloatMode: 240
; IeeeMode: 1
; LDSByteSize: 0 bytes/workgroup (compile time only)
; SGPRBlocks: 12
; VGPRBlocks: 42
; NumSGPRsForWavesPerEU: 102
; NumVGPRsForWavesPerEU: 342
; AccumOffset: 256
; Occupancy: 1
; WaveLimiterHint : 1
; COMPUTE_PGM_RSRC2:SCRATCH_EN: 0
; COMPUTE_PGM_RSRC2:USER_SGPR: 2
; COMPUTE_PGM_RSRC2:TRAP_HANDLER: 0
; COMPUTE_PGM_RSRC2:TGID_X_EN: 1
; COMPUTE_PGM_RSRC2:TGID_Y_EN: 0
; COMPUTE_PGM_RSRC2:TGID_Z_EN: 0
; COMPUTE_PGM_RSRC2:TIDIG_COMP_CNT: 1
; COMPUTE_PGM_RSRC3_GFX90A:ACCUM_OFFSET: 63
; COMPUTE_PGM_RSRC3_GFX90A:TG_SPLIT: 0
	.section	.text._ZL33flash_attn_stream_k_fixup_uniformILi256ELi4ELi4EEvPfPK15HIP_vector_typeIfLj2EEiiiiiiS1_IjLj3EES5_S5_,"axG",@progbits,_ZL33flash_attn_stream_k_fixup_uniformILi256ELi4ELi4EEvPfPK15HIP_vector_typeIfLj2EEiiiiiiS1_IjLj3EES5_S5_,comdat
	.globl	_ZL33flash_attn_stream_k_fixup_uniformILi256ELi4ELi4EEvPfPK15HIP_vector_typeIfLj2EEiiiiiiS1_IjLj3EES5_S5_ ; -- Begin function _ZL33flash_attn_stream_k_fixup_uniformILi256ELi4ELi4EEvPfPK15HIP_vector_typeIfLj2EEiiiiiiS1_IjLj3EES5_S5_
	.p2align	8
	.type	_ZL33flash_attn_stream_k_fixup_uniformILi256ELi4ELi4EEvPfPK15HIP_vector_typeIfLj2EEiiiiiiS1_IjLj3EES5_S5_,@function
_ZL33flash_attn_stream_k_fixup_uniformILi256ELi4ELi4EEvPfPK15HIP_vector_typeIfLj2EEiiiiiiS1_IjLj3EES5_S5_: ; @_ZL33flash_attn_stream_k_fixup_uniformILi256ELi4ELi4EEvPfPK15HIP_vector_typeIfLj2EEiiiiiiS1_IjLj3EES5_S5_
; %bb.0:
	s_load_dwordx8 s[8:15], s[0:1], 0x1c
	s_load_dwordx2 s[6:7], s[0:1], 0x10
	s_load_dwordx4 s[20:23], s[0:1], 0x3c
	s_waitcnt lgkmcnt(0)
	s_mul_hi_u32 s5, s11, s2
	s_add_i32 s5, s2, s5
	s_lshr_b32 s5, s5, s12
	s_mul_i32 s11, s5, s13
	s_sub_i32 s11, s2, s11
	s_mul_hi_u32 s12, s11, s14
	s_add_i32 s12, s11, s12
	s_lshr_b32 s16, s12, s15
	s_mul_i32 s12, s16, s20
	s_sub_i32 s11, s11, s12
	;; [unrolled: 5-line block ×3, first 2 shown]
	s_lshl_b32 s11, s12, 2
	s_lshl_b32 s12, s17, 2
	s_add_i32 s12, s12, s3
	s_cmp_lt_i32 s12, s6
	s_cselect_b64 s[12:13], -1, 0
	s_add_i32 s14, s11, s4
	s_cmp_lt_i32 s14, s9
	s_cselect_b64 s[14:15], -1, 0
	s_and_b64 s[12:13], s[12:13], s[14:15]
	s_andn2_b64 vcc, exec, s[12:13]
	s_cbranch_vccnz .LBB31_6
; %bb.1:
	s_load_dwordx4 s[12:15], s[0:1], 0x0
	s_mul_i32 s0, s5, s6
	s_add_i32 s0, s0, s3
	s_mul_i32 s0, s0, s7
	s_mul_i32 s16, s16, s9
	s_add_i32 s0, s0, s4
	s_add_i32 s0, s0, s16
	s_mul_i32 s1, s7, s17
	s_add_i32 s0, s0, s11
	s_lshl_b32 s1, s1, 10
	s_lshl_b32 s0, s0, 8
	s_add_i32 s1, s1, s0
	v_or_b32_e32 v4, s1, v0
	s_waitcnt lgkmcnt(0)
	v_mov_b32_e32 v2, s12
	v_mov_b32_e32 v3, s13
	v_ashrrev_i32_e32 v5, 31, v4
	v_lshl_add_u64 v[2:3], v[4:5], 2, v[2:3]
	global_load_dword v5, v[2:3], off
	s_mul_i32 s5, s10, s2
	s_lshl_b32 s11, s3, 2
	s_add_i32 s9, s5, s10
	s_add_i32 s0, s11, s4
	s_lshl_b32 s1, s9, 4
	s_add_i32 s0, s0, s1
	s_add_i32 s0, s0, -16
	s_ashr_i32 s1, s0, 31
	s_lshl_b64 s[0:1], s[0:1], 3
	s_add_u32 s0, s14, s0
	s_addc_u32 s1, s15, s1
	s_load_dword s12, s[0:1], 0x4
	s_add_i32 s6, s9, -2
	s_cmp_lt_i32 s6, s5
	s_cbranch_scc1 .LBB31_4
; %bb.2:
	s_lshl_b32 s6, s8, 6
	s_ashr_i32 s7, s6, 31
	s_lshl_b64 s[6:7], s[6:7], 2
	s_add_u32 s6, s14, s6
	s_addc_u32 s7, s15, s7
	s_add_i32 s2, s2, 1
	s_load_dword s0, s[0:1], 0x0
	s_mul_i32 s1, s10, s2
	s_lshl_b32 s3, s3, 10
	s_lshl_b32 s10, s4, 8
	;; [unrolled: 1-line block ×3, first 2 shown]
	s_add_i32 s3, s10, s3
	s_lshl_b32 s1, s1, 4
	s_add_i32 s3, s3, s2
	s_add_i32 s1, s4, s1
	s_lshl_b32 s2, s8, 4
	s_add_i32 s1, s1, s2
	v_or_b32_e32 v0, s3, v0
	s_add_i32 s1, s1, s11
	s_add_i32 s9, s9, -1
	v_add_u32_e32 v0, 0xffffe000, v0
	s_sub_i32 s2, s1, 32
	s_waitcnt lgkmcnt(0)
	v_mov_b32_e32 v7, s0
	v_mov_b32_e32 v4, s12
	s_mov_b32 s4, 0x3fb8aa3b
	s_mov_b32 s8, 0xc2ce8ed0
	;; [unrolled: 1-line block ×3, first 2 shown]
	v_mov_b32_e32 v6, 0x7f800000
	s_mov_b32 s11, 0xc1a00000
.LBB31_3:                               ; =>This Inner Loop Header: Depth=1
	v_ashrrev_i32_e32 v1, 31, v0
	v_lshl_add_u64 v[8:9], v[0:1], 2, s[6:7]
	global_load_dword v9, v[8:9], off
	s_ashr_i32 s3, s2, 31
	s_lshl_b64 s[0:1], s[2:3], 3
	s_add_u32 s0, s14, s0
	s_addc_u32 s1, s15, s1
	s_load_dwordx2 s[0:1], s[0:1], 0x0
	v_max_f32_e32 v1, v7, v7
	s_add_i32 s9, s9, -1
	s_add_i32 s2, s2, -16
	v_add_u32_e32 v0, 0xfffff000, v0
	s_waitcnt lgkmcnt(0)
	v_max_f32_e64 v10, s0, s0
	v_max_f32_e32 v1, v1, v10
	v_sub_f32_e32 v11, s0, v1
	v_sub_f32_e32 v10, v7, v1
	v_mul_f32_e32 v12, 0x3fb8aa3b, v11
	v_mov_b32_e32 v7, v1
	v_mul_f32_e32 v1, 0x3fb8aa3b, v10
	v_fma_f32 v15, v11, s4, -v12
	v_rndne_f32_e32 v16, v12
	v_fma_f32 v13, v10, s4, -v1
	v_rndne_f32_e32 v14, v1
	v_fmac_f32_e32 v15, 0x32a5705f, v11
	v_sub_f32_e32 v12, v12, v16
	v_fmac_f32_e32 v13, 0x32a5705f, v10
	v_sub_f32_e32 v1, v1, v14
	v_add_f32_e32 v12, v12, v15
	v_cvt_i32_f32_e32 v16, v16
	v_add_f32_e32 v1, v1, v13
	v_exp_f32_e32 v12, v12
	v_cvt_i32_f32_e32 v14, v14
	v_exp_f32_e32 v1, v1
	v_cmp_ngt_f32_e32 vcc, s8, v11
	v_ldexp_f32 v12, v12, v16
	v_mov_b32_e32 v8, s1
	v_ldexp_f32 v1, v1, v14
	v_cmp_ngt_f32_e64 s[0:1], s8, v10
	v_cndmask_b32_e32 v12, 0, v12, vcc
	v_cmp_nlt_f32_e32 vcc, s10, v11
	v_cndmask_b32_e64 v1, 0, v1, s[0:1]
	v_cmp_nlt_f32_e64 s[0:1], s10, v10
	v_cndmask_b32_e32 v12, v6, v12, vcc
	v_cmp_le_f32_e32 vcc, s11, v11
	v_cndmask_b32_e64 v1, v6, v1, s[0:1]
	v_cmp_le_f32_e64 s[0:1], s11, v10
	v_cndmask_b32_e32 v12, 0, v12, vcc
	s_cmp_le_i32 s9, s5
	v_cndmask_b32_e64 v10, 0, v1, s[0:1]
	s_waitcnt vmcnt(0)
	v_pk_mul_f32 v[8:9], v[8:9], v[12:13] op_sel_hi:[1,0]
	s_nop 0
	v_pk_fma_f32 v[4:5], v[4:5], v[10:11], v[8:9] op_sel_hi:[1,0,1]
	s_cbranch_scc0 .LBB31_3
	s_branch .LBB31_5
.LBB31_4:
	s_waitcnt lgkmcnt(0)
	v_mov_b32_e32 v4, s12
.LBB31_5:
	s_waitcnt vmcnt(0)
	v_div_scale_f32 v0, s[0:1], v4, v4, v5
	v_rcp_f32_e32 v1, v0
	v_div_scale_f32 v6, vcc, v5, v4, v5
	v_fma_f32 v7, -v0, v1, 1.0
	v_fmac_f32_e32 v1, v7, v1
	v_mul_f32_e32 v7, v6, v1
	v_fma_f32 v8, -v0, v7, v6
	v_fmac_f32_e32 v7, v8, v1
	v_fma_f32 v0, -v0, v7, v6
	v_div_fmas_f32 v0, v0, v1, v7
	v_div_fixup_f32 v0, v0, v4, v5
	global_store_dword v[2:3], v0, off
.LBB31_6:
	s_endpgm
	.section	.rodata,"a",@progbits
	.p2align	6, 0x0
	.amdhsa_kernel _ZL33flash_attn_stream_k_fixup_uniformILi256ELi4ELi4EEvPfPK15HIP_vector_typeIfLj2EEiiiiiiS1_IjLj3EES5_S5_
		.amdhsa_group_segment_fixed_size 0
		.amdhsa_private_segment_fixed_size 0
		.amdhsa_kernarg_size 76
		.amdhsa_user_sgpr_count 2
		.amdhsa_user_sgpr_dispatch_ptr 0
		.amdhsa_user_sgpr_queue_ptr 0
		.amdhsa_user_sgpr_kernarg_segment_ptr 1
		.amdhsa_user_sgpr_dispatch_id 0
		.amdhsa_user_sgpr_kernarg_preload_length 0
		.amdhsa_user_sgpr_kernarg_preload_offset 0
		.amdhsa_user_sgpr_private_segment_size 0
		.amdhsa_uses_dynamic_stack 0
		.amdhsa_enable_private_segment 0
		.amdhsa_system_sgpr_workgroup_id_x 1
		.amdhsa_system_sgpr_workgroup_id_y 1
		.amdhsa_system_sgpr_workgroup_id_z 1
		.amdhsa_system_sgpr_workgroup_info 0
		.amdhsa_system_vgpr_workitem_id 0
		.amdhsa_next_free_vgpr 17
		.amdhsa_next_free_sgpr 24
		.amdhsa_accum_offset 20
		.amdhsa_reserve_vcc 1
		.amdhsa_float_round_mode_32 0
		.amdhsa_float_round_mode_16_64 0
		.amdhsa_float_denorm_mode_32 3
		.amdhsa_float_denorm_mode_16_64 3
		.amdhsa_dx10_clamp 1
		.amdhsa_ieee_mode 1
		.amdhsa_fp16_overflow 0
		.amdhsa_tg_split 0
		.amdhsa_exception_fp_ieee_invalid_op 0
		.amdhsa_exception_fp_denorm_src 0
		.amdhsa_exception_fp_ieee_div_zero 0
		.amdhsa_exception_fp_ieee_overflow 0
		.amdhsa_exception_fp_ieee_underflow 0
		.amdhsa_exception_fp_ieee_inexact 0
		.amdhsa_exception_int_div_zero 0
	.end_amdhsa_kernel
	.section	.text._ZL33flash_attn_stream_k_fixup_uniformILi256ELi4ELi4EEvPfPK15HIP_vector_typeIfLj2EEiiiiiiS1_IjLj3EES5_S5_,"axG",@progbits,_ZL33flash_attn_stream_k_fixup_uniformILi256ELi4ELi4EEvPfPK15HIP_vector_typeIfLj2EEiiiiiiS1_IjLj3EES5_S5_,comdat
.Lfunc_end31:
	.size	_ZL33flash_attn_stream_k_fixup_uniformILi256ELi4ELi4EEvPfPK15HIP_vector_typeIfLj2EEiiiiiiS1_IjLj3EES5_S5_, .Lfunc_end31-_ZL33flash_attn_stream_k_fixup_uniformILi256ELi4ELi4EEvPfPK15HIP_vector_typeIfLj2EEiiiiiiS1_IjLj3EES5_S5_
                                        ; -- End function
	.set _ZL33flash_attn_stream_k_fixup_uniformILi256ELi4ELi4EEvPfPK15HIP_vector_typeIfLj2EEiiiiiiS1_IjLj3EES5_S5_.num_vgpr, 17
	.set _ZL33flash_attn_stream_k_fixup_uniformILi256ELi4ELi4EEvPfPK15HIP_vector_typeIfLj2EEiiiiiiS1_IjLj3EES5_S5_.num_agpr, 0
	.set _ZL33flash_attn_stream_k_fixup_uniformILi256ELi4ELi4EEvPfPK15HIP_vector_typeIfLj2EEiiiiiiS1_IjLj3EES5_S5_.numbered_sgpr, 24
	.set _ZL33flash_attn_stream_k_fixup_uniformILi256ELi4ELi4EEvPfPK15HIP_vector_typeIfLj2EEiiiiiiS1_IjLj3EES5_S5_.num_named_barrier, 0
	.set _ZL33flash_attn_stream_k_fixup_uniformILi256ELi4ELi4EEvPfPK15HIP_vector_typeIfLj2EEiiiiiiS1_IjLj3EES5_S5_.private_seg_size, 0
	.set _ZL33flash_attn_stream_k_fixup_uniformILi256ELi4ELi4EEvPfPK15HIP_vector_typeIfLj2EEiiiiiiS1_IjLj3EES5_S5_.uses_vcc, 1
	.set _ZL33flash_attn_stream_k_fixup_uniformILi256ELi4ELi4EEvPfPK15HIP_vector_typeIfLj2EEiiiiiiS1_IjLj3EES5_S5_.uses_flat_scratch, 0
	.set _ZL33flash_attn_stream_k_fixup_uniformILi256ELi4ELi4EEvPfPK15HIP_vector_typeIfLj2EEiiiiiiS1_IjLj3EES5_S5_.has_dyn_sized_stack, 0
	.set _ZL33flash_attn_stream_k_fixup_uniformILi256ELi4ELi4EEvPfPK15HIP_vector_typeIfLj2EEiiiiiiS1_IjLj3EES5_S5_.has_recursion, 0
	.set _ZL33flash_attn_stream_k_fixup_uniformILi256ELi4ELi4EEvPfPK15HIP_vector_typeIfLj2EEiiiiiiS1_IjLj3EES5_S5_.has_indirect_call, 0
	.section	.AMDGPU.csdata,"",@progbits
; Kernel info:
; codeLenInByte = 836
; TotalNumSgprs: 30
; NumVgprs: 17
; NumAgprs: 0
; TotalNumVgprs: 17
; ScratchSize: 0
; MemoryBound: 0
; FloatMode: 240
; IeeeMode: 1
; LDSByteSize: 0 bytes/workgroup (compile time only)
; SGPRBlocks: 3
; VGPRBlocks: 2
; NumSGPRsForWavesPerEU: 30
; NumVGPRsForWavesPerEU: 17
; AccumOffset: 20
; Occupancy: 8
; WaveLimiterHint : 0
; COMPUTE_PGM_RSRC2:SCRATCH_EN: 0
; COMPUTE_PGM_RSRC2:USER_SGPR: 2
; COMPUTE_PGM_RSRC2:TRAP_HANDLER: 0
; COMPUTE_PGM_RSRC2:TGID_X_EN: 1
; COMPUTE_PGM_RSRC2:TGID_Y_EN: 1
; COMPUTE_PGM_RSRC2:TGID_Z_EN: 1
; COMPUTE_PGM_RSRC2:TIDIG_COMP_CNT: 0
; COMPUTE_PGM_RSRC3_GFX90A:ACCUM_OFFSET: 4
; COMPUTE_PGM_RSRC3_GFX90A:TG_SPLIT: 0
	.section	.text._ZL33flash_attn_stream_k_fixup_generalILi256ELi4ELi4EEvPfPK15HIP_vector_typeIfLj2EEiiiiS1_IjLj3EES5_S5_S5_,"axG",@progbits,_ZL33flash_attn_stream_k_fixup_generalILi256ELi4ELi4EEvPfPK15HIP_vector_typeIfLj2EEiiiiS1_IjLj3EES5_S5_S5_,comdat
	.globl	_ZL33flash_attn_stream_k_fixup_generalILi256ELi4ELi4EEvPfPK15HIP_vector_typeIfLj2EEiiiiS1_IjLj3EES5_S5_S5_ ; -- Begin function _ZL33flash_attn_stream_k_fixup_generalILi256ELi4ELi4EEvPfPK15HIP_vector_typeIfLj2EEiiiiS1_IjLj3EES5_S5_S5_
	.p2align	8
	.type	_ZL33flash_attn_stream_k_fixup_generalILi256ELi4ELi4EEvPfPK15HIP_vector_typeIfLj2EEiiiiS1_IjLj3EES5_S5_S5_,@function
_ZL33flash_attn_stream_k_fixup_generalILi256ELi4ELi4EEvPfPK15HIP_vector_typeIfLj2EEiiiiS1_IjLj3EES5_S5_S5_: ; @_ZL33flash_attn_stream_k_fixup_generalILi256ELi4ELi4EEvPfPK15HIP_vector_typeIfLj2EEiiiiS1_IjLj3EES5_S5_S5_
; %bb.0:
	s_load_dwordx4 s[8:11], s[0:1], 0x10
	s_load_dword s22, s[0:1], 0x50
	s_mov_b32 s12, 0
	s_waitcnt lgkmcnt(0)
	s_mul_hi_i32 s13, s11, s2
	s_cmp_lg_u64 s[12:13], 0
	s_mul_i32 s5, s11, s2
	s_cbranch_scc0 .LBB32_20
; %bb.1:
	s_add_u32 s6, s22, 0
	s_addc_u32 s7, 0, 0
	s_xor_b64 s[6:7], s[6:7], 0
	v_cvt_f32_u32_e32 v1, s6
	v_cvt_f32_u32_e32 v2, s7
	s_sub_u32 s12, 0, s6
	s_subb_u32 s18, 0, s7
	v_fmamk_f32 v1, v2, 0x4f800000, v1
	v_rcp_f32_e32 v1, v1
	s_nop 0
	v_mul_f32_e32 v1, 0x5f7ffffc, v1
	v_mul_f32_e32 v2, 0x2f800000, v1
	v_trunc_f32_e32 v2, v2
	v_fmamk_f32 v1, v2, 0xcf800000, v1
	v_cvt_u32_f32_e32 v2, v2
	v_cvt_u32_f32_e32 v1, v1
	v_readfirstlane_b32 s19, v2
	v_readfirstlane_b32 s14, v1
	s_mul_i32 s15, s12, s19
	s_mul_hi_u32 s21, s12, s14
	s_mul_i32 s20, s18, s14
	s_add_i32 s15, s21, s15
	s_add_i32 s15, s15, s20
	s_mul_i32 s23, s12, s14
	s_mul_i32 s21, s14, s15
	s_mul_hi_u32 s24, s14, s23
	s_mul_hi_u32 s20, s14, s15
	s_add_u32 s21, s24, s21
	s_addc_u32 s20, 0, s20
	s_mul_hi_u32 s25, s19, s23
	s_mul_i32 s23, s19, s23
	s_add_u32 s21, s21, s23
	s_mul_hi_u32 s24, s19, s15
	s_addc_u32 s20, s20, s25
	s_addc_u32 s21, s24, 0
	s_mul_i32 s15, s19, s15
	s_add_u32 s15, s20, s15
	s_addc_u32 s20, 0, s21
	s_add_u32 s21, s14, s15
	s_cselect_b64 s[14:15], -1, 0
	s_cmp_lg_u64 s[14:15], 0
	s_addc_u32 s19, s19, s20
	s_mul_i32 s14, s12, s19
	s_mul_hi_u32 s15, s12, s21
	s_add_i32 s14, s15, s14
	s_mul_i32 s18, s18, s21
	s_add_i32 s14, s14, s18
	s_mul_i32 s12, s12, s21
	s_mul_hi_u32 s18, s19, s12
	s_mul_i32 s20, s19, s12
	s_mul_i32 s24, s21, s14
	s_mul_hi_u32 s12, s21, s12
	s_mul_hi_u32 s23, s21, s14
	s_add_u32 s12, s12, s24
	s_addc_u32 s23, 0, s23
	s_add_u32 s12, s12, s20
	s_mul_hi_u32 s15, s19, s14
	s_addc_u32 s12, s23, s18
	s_addc_u32 s15, s15, 0
	s_mul_i32 s14, s19, s14
	s_add_u32 s12, s12, s14
	s_addc_u32 s18, 0, s15
	s_add_u32 s20, s21, s12
	s_cselect_b64 s[14:15], -1, 0
	s_cmp_lg_u64 s[14:15], 0
	s_addc_u32 s18, s19, s18
	s_ashr_i32 s14, s13, 31
	s_add_u32 s12, s5, s14
	s_mov_b32 s15, s14
	s_addc_u32 s13, s13, s14
	s_xor_b64 s[12:13], s[12:13], s[14:15]
	s_mul_i32 s21, s12, s18
	s_mul_hi_u32 s23, s12, s20
	s_mul_hi_u32 s19, s12, s18
	s_add_u32 s21, s23, s21
	s_addc_u32 s19, 0, s19
	s_mul_hi_u32 s24, s13, s20
	s_mul_i32 s20, s13, s20
	s_add_u32 s20, s21, s20
	s_mul_hi_u32 s23, s13, s18
	s_addc_u32 s19, s19, s24
	s_addc_u32 s20, s23, 0
	s_mul_i32 s18, s13, s18
	s_add_u32 s23, s19, s18
	s_addc_u32 s24, 0, s20
	s_mul_i32 s18, s6, s24
	s_mul_hi_u32 s19, s6, s23
	s_add_i32 s18, s19, s18
	s_mul_i32 s19, s7, s23
	s_add_i32 s25, s18, s19
	s_sub_i32 s20, s13, s25
	s_mul_i32 s18, s6, s23
	s_sub_u32 s12, s12, s18
	s_cselect_b64 s[18:19], -1, 0
	s_cmp_lg_u64 s[18:19], 0
	s_subb_u32 s26, s20, s7
	s_sub_u32 s27, s12, s6
	s_cselect_b64 s[20:21], -1, 0
	s_cmp_lg_u64 s[20:21], 0
	s_subb_u32 s20, s26, 0
	s_cmp_ge_u32 s20, s7
	s_cselect_b32 s21, -1, 0
	s_cmp_ge_u32 s27, s6
	s_cselect_b32 s26, -1, 0
	s_cmp_eq_u32 s20, s7
	s_cselect_b32 s20, s26, s21
	s_add_u32 s21, s23, 1
	s_addc_u32 s26, s24, 0
	s_add_u32 s27, s23, 2
	s_addc_u32 s28, s24, 0
	s_cmp_lg_u32 s20, 0
	s_cselect_b32 s20, s27, s21
	s_cselect_b32 s21, s28, s26
	s_cmp_lg_u64 s[18:19], 0
	s_subb_u32 s13, s13, s25
	s_cmp_ge_u32 s13, s7
	s_cselect_b32 s18, -1, 0
	s_cmp_ge_u32 s12, s6
	s_cselect_b32 s6, -1, 0
	s_cmp_eq_u32 s13, s7
	s_cselect_b32 s6, s6, s18
	s_cmp_lg_u32 s6, 0
	s_cselect_b32 s7, s21, s24
	s_cselect_b32 s6, s20, s23
	s_xor_b64 s[12:13], s[14:15], 0
	s_xor_b64 s[6:7], s[6:7], s[12:13]
	s_sub_u32 s6, s6, s12
	s_load_dwordx4 s[12:15], s[0:1], 0x44
	s_cbranch_execnz .LBB32_3
.LBB32_2:
	v_cvt_f32_u32_e32 v1, s22
	s_sub_i32 s6, 0, s22
	v_rcp_iflag_f32_e32 v1, v1
	s_nop 0
	v_mul_f32_e32 v1, 0x4f7ffffe, v1
	v_cvt_u32_f32_e32 v1, v1
	s_nop 0
	v_readfirstlane_b32 s7, v1
	s_mul_i32 s6, s6, s7
	s_mul_hi_u32 s6, s7, s6
	s_add_i32 s7, s7, s6
	s_mul_hi_u32 s6, s5, s7
	s_waitcnt lgkmcnt(0)
	s_mul_i32 s15, s6, s22
	s_sub_i32 s5, s5, s15
	s_add_i32 s7, s6, 1
	s_sub_i32 s15, s5, s22
	s_cmp_ge_u32 s5, s22
	s_cselect_b32 s6, s7, s6
	s_cselect_b32 s5, s15, s5
	s_add_i32 s7, s6, 1
	s_cmp_ge_u32 s5, s22
	s_cselect_b32 s6, s7, s6
.LBB32_3:
	s_add_i32 s5, s2, 1
	s_mul_hi_i32 s21, s11, s5
	s_mov_b32 s20, 0
	s_cmp_lg_u64 s[20:21], 0
	s_mul_i32 s5, s11, s5
	s_cbranch_scc0 .LBB32_21
; %bb.4:
	s_add_u32 s16, s22, 0
	s_addc_u32 s17, 0, 0
	s_xor_b64 s[18:19], s[16:17], 0
	v_cvt_f32_u32_e32 v1, s18
	v_cvt_f32_u32_e32 v2, s19
	s_sub_u32 s7, 0, s18
	s_waitcnt lgkmcnt(0)
	s_subb_u32 s15, 0, s19
	v_fmamk_f32 v1, v2, 0x4f800000, v1
	v_rcp_f32_e32 v1, v1
	s_nop 0
	v_mul_f32_e32 v1, 0x5f7ffffc, v1
	v_mul_f32_e32 v2, 0x2f800000, v1
	v_trunc_f32_e32 v2, v2
	v_fmamk_f32 v1, v2, 0xcf800000, v1
	v_cvt_u32_f32_e32 v2, v2
	v_cvt_u32_f32_e32 v1, v1
	v_readfirstlane_b32 s20, v2
	v_readfirstlane_b32 s23, v1
	s_mul_i32 s24, s7, s20
	s_mul_hi_u32 s26, s7, s23
	s_mul_i32 s25, s15, s23
	s_add_i32 s24, s26, s24
	s_add_i32 s24, s24, s25
	s_mul_i32 s27, s7, s23
	s_mul_i32 s26, s23, s24
	s_mul_hi_u32 s28, s23, s27
	s_mul_hi_u32 s25, s23, s24
	s_add_u32 s26, s28, s26
	s_addc_u32 s25, 0, s25
	s_mul_hi_u32 s29, s20, s27
	s_mul_i32 s27, s20, s27
	s_add_u32 s26, s26, s27
	s_mul_hi_u32 s28, s20, s24
	s_addc_u32 s25, s25, s29
	s_addc_u32 s26, s28, 0
	s_mul_i32 s24, s20, s24
	s_add_u32 s24, s25, s24
	s_addc_u32 s26, 0, s26
	s_add_u32 s23, s23, s24
	s_cselect_b64 s[24:25], -1, 0
	s_cmp_lg_u64 s[24:25], 0
	s_addc_u32 s20, s20, s26
	s_mul_i32 s24, s7, s20
	s_mul_hi_u32 s25, s7, s23
	s_add_i32 s24, s25, s24
	s_mul_i32 s15, s15, s23
	s_add_i32 s24, s24, s15
	s_mul_i32 s7, s7, s23
	s_mul_hi_u32 s25, s20, s7
	s_mul_i32 s26, s20, s7
	s_mul_i32 s28, s23, s24
	s_mul_hi_u32 s7, s23, s7
	s_mul_hi_u32 s27, s23, s24
	s_add_u32 s7, s7, s28
	s_addc_u32 s27, 0, s27
	s_add_u32 s7, s7, s26
	s_mul_hi_u32 s15, s20, s24
	s_addc_u32 s7, s27, s25
	s_addc_u32 s15, s15, 0
	s_mul_i32 s24, s20, s24
	s_add_u32 s7, s7, s24
	s_addc_u32 s15, 0, s15
	s_add_u32 s7, s23, s7
	s_cselect_b64 s[24:25], -1, 0
	s_cmp_lg_u64 s[24:25], 0
	s_addc_u32 s15, s20, s15
	s_ashr_i32 s24, s21, 31
	s_add_u32 s20, s5, s24
	s_mov_b32 s25, s24
	s_addc_u32 s21, s21, s24
	s_xor_b64 s[20:21], s[20:21], s[24:25]
	s_mul_i32 s26, s20, s15
	s_mul_hi_u32 s27, s20, s7
	s_mul_hi_u32 s23, s20, s15
	s_add_u32 s26, s27, s26
	s_addc_u32 s23, 0, s23
	s_mul_hi_u32 s28, s21, s7
	s_mul_i32 s7, s21, s7
	s_add_u32 s7, s26, s7
	s_mul_hi_u32 s27, s21, s15
	s_addc_u32 s7, s23, s28
	s_addc_u32 s23, s27, 0
	s_mul_i32 s15, s21, s15
	s_add_u32 s7, s7, s15
	s_addc_u32 s15, 0, s23
	s_mul_i32 s23, s18, s15
	s_mul_hi_u32 s26, s18, s7
	s_add_i32 s23, s26, s23
	s_mul_i32 s26, s19, s7
	s_add_i32 s23, s23, s26
	s_sub_i32 s28, s21, s23
	s_mul_i32 s26, s18, s7
	s_sub_u32 s20, s20, s26
	s_cselect_b64 s[26:27], -1, 0
	s_cmp_lg_u64 s[26:27], 0
	s_subb_u32 s30, s28, s19
	s_sub_u32 s31, s20, s18
	s_cselect_b64 s[28:29], -1, 0
	s_cmp_lg_u64 s[28:29], 0
	s_subb_u32 s28, s30, 0
	s_cmp_ge_u32 s28, s19
	s_cselect_b32 s29, -1, 0
	s_cmp_ge_u32 s31, s18
	s_cselect_b32 s30, -1, 0
	s_cmp_eq_u32 s28, s19
	s_cselect_b32 s28, s30, s29
	s_add_u32 s29, s7, 1
	s_addc_u32 s30, s15, 0
	s_add_u32 s31, s7, 2
	s_addc_u32 s33, s15, 0
	s_cmp_lg_u32 s28, 0
	s_cselect_b32 s28, s31, s29
	s_cselect_b32 s29, s33, s30
	s_cmp_lg_u64 s[26:27], 0
	s_subb_u32 s21, s21, s23
	s_cmp_ge_u32 s21, s19
	s_cselect_b32 s23, -1, 0
	s_cmp_ge_u32 s20, s18
	s_cselect_b32 s18, -1, 0
	s_cmp_eq_u32 s21, s19
	s_cselect_b32 s18, s18, s23
	s_cmp_lg_u32 s18, 0
	s_cselect_b32 s19, s29, s15
	s_cselect_b32 s18, s28, s7
	s_xor_b64 s[20:21], s[24:25], 0
	s_xor_b64 s[18:19], s[18:19], s[20:21]
	s_sub_u32 s18, s18, s20
	s_cbranch_execnz .LBB32_6
.LBB32_5:
	v_cvt_f32_u32_e32 v1, s22
	s_sub_i32 s7, 0, s22
	v_rcp_iflag_f32_e32 v1, v1
	s_nop 0
	v_mul_f32_e32 v1, 0x4f7ffffe, v1
	v_cvt_u32_f32_e32 v1, v1
	s_waitcnt lgkmcnt(0)
	v_readfirstlane_b32 s15, v1
	s_mul_i32 s7, s7, s15
	s_mul_hi_u32 s7, s15, s7
	s_add_i32 s15, s15, s7
	s_mul_hi_u32 s7, s5, s15
	s_mul_i32 s16, s7, s22
	s_sub_i32 s5, s5, s16
	s_add_i32 s15, s7, 1
	s_sub_i32 s16, s5, s22
	s_cmp_ge_u32 s5, s22
	s_cselect_b32 s7, s15, s7
	s_cselect_b32 s5, s16, s5
	s_add_i32 s15, s7, 1
	s_cmp_ge_u32 s5, s22
	s_cselect_b32 s18, s15, s7
.LBB32_6:
	s_cmp_eq_u32 s6, s18
	s_waitcnt lgkmcnt(0)
	s_mul_hi_u32 s5, s6, s12
	s_cselect_b64 s[16:17], -1, 0
	s_add_i32 s5, s5, s6
	s_lshr_b32 s7, s5, s13
	s_mul_i32 s5, s7, s14
	s_cmp_eq_u32 s5, s6
	s_mul_hi_u32 s5, s18, s12
	s_cselect_b64 s[20:21], -1, 0
	s_add_i32 s5, s5, s18
	s_lshr_b32 s5, s5, s13
	s_cmp_eq_u32 s7, s5
	s_mul_i32 s5, s5, s14
	s_cselect_b64 s[24:25], -1, 0
	s_cmp_lg_u32 s5, s18
	s_cselect_b64 s[18:19], -1, 0
	s_and_b64 s[18:19], s[24:25], s[18:19]
	s_or_b64 s[16:17], s[16:17], s[20:21]
	s_or_b64 s[16:17], s[16:17], s[18:19]
	s_and_b64 vcc, exec, s[16:17]
	s_cbranch_vccnz .LBB32_23
; %bb.7:
	s_load_dwordx8 s[24:31], s[0:1], 0x20
	s_load_dword s15, s[0:1], 0x40
	s_waitcnt lgkmcnt(0)
	s_mul_hi_u32 s5, s6, s24
	s_add_i32 s5, s5, s6
	s_lshr_b32 s5, s5, s25
	s_mul_i32 s16, s5, s26
	s_sub_i32 s16, s6, s16
	s_mul_hi_u32 s17, s16, s27
	s_add_i32 s17, s16, s17
	s_lshr_b32 s20, s17, s28
	s_mul_i32 s17, s20, s29
	s_sub_i32 s16, s16, s17
	;; [unrolled: 5-line block ×3, first 2 shown]
	s_mul_hi_u32 s16, s15, s12
	s_add_i32 s15, s15, s16
	s_lshr_b32 s23, s15, s13
	s_lshl_b32 s15, s23, 2
	s_lshl_b32 s21, s17, 2
	s_add_i32 s15, s15, s3
	s_cmp_lt_i32 s15, s8
	s_cselect_b64 s[16:17], -1, 0
	s_add_i32 s15, s21, s4
	s_cmp_lt_i32 s15, s10
	s_cselect_b64 s[18:19], -1, 0
	s_and_b64 s[16:17], s[16:17], s[18:19]
	s_andn2_b64 vcc, exec, s[16:17]
	s_cbranch_vccnz .LBB32_23
; %bb.8:
	s_load_dwordx4 s[16:19], s[0:1], 0x0
	s_mov_b32 s0, 0
	s_lshl_b32 s15, s3, 2
	s_lshl_b32 s24, s22, 6
	s_mov_b32 s25, s0
	s_add_i32 s15, s15, s4
	s_waitcnt lgkmcnt(0)
	v_mov_b32_e32 v2, s16
	v_mov_b32_e32 v3, s17
	s_lshl_b64 s[16:17], s[24:25], 2
	s_add_u32 s16, s18, s16
	s_mul_i32 s1, s5, s8
	s_addc_u32 s17, s19, s17
	s_add_i32 s1, s1, s3
	s_mul_i32 s1, s1, s9
	s_mul_i32 s20, s20, s10
	s_add_i32 s1, s1, s4
	s_add_i32 s1, s1, s20
	s_mul_i32 s5, s9, s23
	s_add_i32 s1, s1, s21
	s_lshl_b32 s5, s5, 10
	s_lshl_b32 s1, s1, 8
	s_add_i32 s5, s5, s1
	v_or_b32_e32 v4, s5, v0
	v_ashrrev_i32_e32 v5, 31, v4
	v_lshl_add_u64 v[2:3], v[4:5], 2, v[2:3]
	global_load_dword v1, v[2:3], off
	v_cvt_f32_u32_e32 v4, s22
	s_lshl_b32 s1, s2, 4
	s_add_i32 s4, s15, s1
	s_ashr_i32 s5, s4, 31
	s_lshl_b64 s[4:5], s[4:5], 3
	v_rcp_iflag_f32_e32 v4, v4
	s_add_u32 s4, s18, s4
	s_addc_u32 s5, s19, s5
	s_load_dwordx2 s[4:5], s[4:5], 0x0
	v_mul_f32_e32 v4, 0x4f7ffffe, v4
	v_cvt_u32_f32_e32 v7, v4
	s_add_i32 s24, s2, -1
	v_lshl_or_b32 v6, s15, 8, v0
	s_waitcnt lgkmcnt(0)
	v_mov_b32_e32 v0, s5
	v_mov_b32_e32 v9, s4
	s_mov_b32 s10, 0x3fb8aa3b
	s_mov_b32 s20, 0xc2ce8ed0
	;; [unrolled: 1-line block ×4, first 2 shown]
	v_mov_b32_e32 v8, 0x7f800000
	s_mul_hi_i32 s1, s24, s11
	s_cmp_lg_u64 s[0:1], 0
	s_mul_i32 s8, s24, s11
	s_cbranch_scc0 .LBB32_19
.LBB32_9:
	s_add_u32 s2, s22, 0
	s_addc_u32 s3, 0, 0
	s_xor_b64 s[2:3], s[2:3], 0
	v_cvt_f32_u32_e32 v4, s2
	v_cvt_f32_u32_e32 v5, s3
	s_sub_u32 s9, 0, s2
	s_subb_u32 s25, 0, s3
	v_fmac_f32_e32 v4, 0x4f800000, v5
	v_rcp_f32_e32 v4, v4
	s_nop 0
	v_mul_f32_e32 v4, 0x5f7ffffc, v4
	v_mul_f32_e32 v5, 0x2f800000, v4
	v_trunc_f32_e32 v5, v5
	v_fmac_f32_e32 v4, 0xcf800000, v5
	v_cvt_u32_f32_e32 v5, v5
	v_cvt_u32_f32_e32 v4, v4
	v_readfirstlane_b32 s26, v5
	v_readfirstlane_b32 s4, v4
	s_mul_i32 s5, s9, s26
	s_mul_hi_u32 s28, s9, s4
	s_mul_i32 s27, s25, s4
	s_add_i32 s5, s28, s5
	s_mul_i32 s29, s9, s4
	s_add_i32 s5, s5, s27
	s_mul_i32 s28, s4, s5
	s_mul_hi_u32 s30, s4, s29
	s_mul_hi_u32 s27, s4, s5
	s_add_u32 s28, s30, s28
	s_addc_u32 s27, 0, s27
	s_mul_hi_u32 s31, s26, s29
	s_mul_i32 s29, s26, s29
	s_add_u32 s28, s28, s29
	s_mul_hi_u32 s30, s26, s5
	s_addc_u32 s27, s27, s31
	s_addc_u32 s28, s30, 0
	s_mul_i32 s5, s26, s5
	s_add_u32 s5, s27, s5
	s_addc_u32 s27, 0, s28
	s_add_u32 s28, s4, s5
	s_cselect_b64 s[4:5], -1, 0
	s_cmp_lg_u64 s[4:5], 0
	s_addc_u32 s26, s26, s27
	s_mul_i32 s4, s9, s26
	s_mul_hi_u32 s5, s9, s28
	s_add_i32 s4, s5, s4
	s_mul_i32 s25, s25, s28
	s_add_i32 s4, s4, s25
	s_mul_i32 s9, s9, s28
	s_mul_hi_u32 s25, s26, s9
	s_mul_i32 s27, s26, s9
	s_mul_i32 s30, s28, s4
	s_mul_hi_u32 s9, s28, s9
	s_mul_hi_u32 s29, s28, s4
	s_add_u32 s9, s9, s30
	s_addc_u32 s29, 0, s29
	s_add_u32 s9, s9, s27
	s_mul_hi_u32 s5, s26, s4
	s_addc_u32 s9, s29, s25
	s_addc_u32 s5, s5, 0
	s_mul_i32 s4, s26, s4
	s_add_u32 s4, s9, s4
	s_addc_u32 s9, 0, s5
	s_add_u32 s25, s28, s4
	s_cselect_b64 s[4:5], -1, 0
	s_cmp_lg_u64 s[4:5], 0
	s_addc_u32 s9, s26, s9
	s_ashr_i32 s4, s1, 31
	s_add_u32 s26, s8, s4
	s_mov_b32 s5, s4
	s_addc_u32 s27, s1, s4
	s_xor_b64 s[26:27], s[26:27], s[4:5]
	s_mul_i32 s28, s26, s9
	s_mul_hi_u32 s29, s26, s25
	s_mul_hi_u32 s1, s26, s9
	s_add_u32 s28, s29, s28
	s_addc_u32 s1, 0, s1
	s_mul_hi_u32 s30, s27, s25
	s_mul_i32 s25, s27, s25
	s_add_u32 s25, s28, s25
	s_mul_hi_u32 s29, s27, s9
	s_addc_u32 s1, s1, s30
	s_addc_u32 s25, s29, 0
	s_mul_i32 s9, s27, s9
	s_add_u32 s1, s1, s9
	s_addc_u32 s9, 0, s25
	s_mul_i32 s25, s2, s9
	s_mul_hi_u32 s28, s2, s1
	s_add_i32 s25, s28, s25
	s_mul_i32 s28, s3, s1
	s_add_i32 s25, s25, s28
	s_sub_i32 s30, s27, s25
	s_mul_i32 s28, s2, s1
	s_sub_u32 s26, s26, s28
	s_cselect_b64 s[28:29], -1, 0
	s_cmp_lg_u64 s[28:29], 0
	s_subb_u32 s33, s30, s3
	s_sub_u32 s34, s26, s2
	s_cselect_b64 s[30:31], -1, 0
	s_cmp_lg_u64 s[30:31], 0
	s_subb_u32 s30, s33, 0
	s_cmp_ge_u32 s30, s3
	s_cselect_b32 s31, -1, 0
	s_cmp_ge_u32 s34, s2
	s_cselect_b32 s33, -1, 0
	s_cmp_eq_u32 s30, s3
	s_cselect_b32 s30, s33, s31
	s_add_u32 s31, s1, 1
	s_addc_u32 s33, s9, 0
	s_add_u32 s34, s1, 2
	s_addc_u32 s35, s9, 0
	s_cmp_lg_u32 s30, 0
	s_cselect_b32 s30, s34, s31
	s_cselect_b32 s31, s35, s33
	s_cmp_lg_u64 s[28:29], 0
	s_subb_u32 s25, s27, s25
	s_cmp_ge_u32 s25, s3
	s_cselect_b32 s27, -1, 0
	s_cmp_ge_u32 s26, s2
	s_cselect_b32 s2, -1, 0
	s_cmp_eq_u32 s25, s3
	s_cselect_b32 s2, s2, s27
	s_cmp_lg_u32 s2, 0
	s_cselect_b32 s3, s31, s9
	s_cselect_b32 s2, s30, s1
	s_xor_b64 s[4:5], s[4:5], 0
	s_xor_b64 s[2:3], s[2:3], s[4:5]
	s_sub_u32 s4, s2, s4
	s_cbranch_execnz .LBB32_11
.LBB32_10:
	s_sub_i32 s1, 0, s22
	v_readfirstlane_b32 s2, v7
	s_mul_i32 s1, s1, s2
	s_mul_hi_u32 s1, s2, s1
	s_add_i32 s2, s2, s1
	s_mul_hi_u32 s1, s8, s2
	s_mul_i32 s3, s1, s22
	s_sub_i32 s3, s8, s3
	s_add_i32 s2, s1, 1
	s_sub_i32 s4, s3, s22
	s_cmp_ge_u32 s3, s22
	s_cselect_b32 s1, s2, s1
	s_cselect_b32 s3, s4, s3
	s_add_i32 s2, s1, 1
	s_cmp_ge_u32 s3, s22
	s_cselect_b32 s4, s2, s1
.LBB32_11:
	s_cmp_lg_u32 s6, s4
	s_cbranch_scc0 .LBB32_15
; %bb.12:
	s_add_i32 s1, s24, s22
	s_lshl_b32 s1, s1, 4
	s_add_i32 s2, s1, s15
	s_mov_b32 s3, s0
	s_lshl_b64 s[2:3], s[2:3], 3
	s_add_u32 s8, s18, s2
	s_mul_hi_u32 s1, s4, s12
	s_addc_u32 s9, s19, s3
	s_add_i32 s1, s1, s4
	s_lshr_b32 s1, s1, s13
	s_mul_i32 s2, s1, s14
	s_cmp_eq_u32 s2, s4
	s_cselect_b64 s[2:3], -1, 0
	s_cmp_lt_u32 s1, s7
	s_cselect_b64 s[26:27], -1, 0
	s_or_b64 s[26:27], s[26:27], s[2:3]
	s_mov_b64 s[2:3], -1
	s_and_b64 vcc, exec, s[26:27]
	s_mov_b32 s1, s24
	s_mov_b32 s25, s6
	s_cbranch_vccnz .LBB32_14
; %bb.13:
	s_add_i32 s1, s24, -1
	s_mov_b64 s[2:3], 0
	s_mov_b32 s25, s4
.LBB32_14:
	v_lshl_add_u32 v4, s24, 12, v6
	v_ashrrev_i32_e32 v5, 31, v4
	v_lshl_add_u64 v[4:5], v[4:5], 2, s[16:17]
	global_load_dword v5, v[4:5], off
	s_load_dwordx2 s[4:5], s[8:9], 0x0
	v_max_f32_e32 v4, v9, v9
	s_waitcnt lgkmcnt(0)
	v_max_f32_e64 v10, s4, s4
	v_max_f32_e32 v10, v4, v10
	v_sub_f32_e32 v11, v9, v10
	v_sub_f32_e32 v13, s4, v10
	v_mul_f32_e32 v4, 0x3fb8aa3b, v11
	v_mul_f32_e32 v12, 0x3fb8aa3b, v13
	v_fma_f32 v14, v11, s10, -v4
	v_rndne_f32_e32 v15, v4
	v_fma_f32 v16, v13, s10, -v12
	v_rndne_f32_e32 v17, v12
	v_fmac_f32_e32 v14, 0x32a5705f, v11
	v_sub_f32_e32 v4, v4, v15
	v_fmac_f32_e32 v16, 0x32a5705f, v13
	v_sub_f32_e32 v12, v12, v17
	v_add_f32_e32 v4, v4, v14
	v_cvt_i32_f32_e32 v15, v15
	v_add_f32_e32 v12, v12, v16
	v_exp_f32_e32 v14, v4
	v_cvt_i32_f32_e32 v17, v17
	v_exp_f32_e32 v12, v12
	v_cmp_ngt_f32_e32 vcc, s20, v11
	v_ldexp_f32 v14, v14, v15
	v_mov_b32_e32 v4, s5
	v_ldexp_f32 v12, v12, v17
	v_cndmask_b32_e32 v14, 0, v14, vcc
	v_cmp_ngt_f32_e32 vcc, s20, v13
	s_nop 1
	v_cndmask_b32_e32 v12, 0, v12, vcc
	v_cmp_nlt_f32_e32 vcc, s21, v11
	s_nop 1
	v_cndmask_b32_e32 v14, v8, v14, vcc
	v_cmp_nlt_f32_e32 vcc, s21, v13
	s_nop 1
	v_cndmask_b32_e32 v15, v8, v12, vcc
	v_cmp_le_f32_e32 vcc, s23, v11
	s_nop 1
	v_cndmask_b32_e32 v12, 0, v14, vcc
	v_cmp_le_f32_e32 vcc, s23, v13
	s_nop 1
	v_cndmask_b32_e32 v14, 0, v15, vcc
	s_waitcnt vmcnt(0)
	v_pk_mul_f32 v[4:5], v[4:5], v[14:15] op_sel_hi:[1,0]
	s_nop 0
	v_pk_fma_f32 v[4:5], v[0:1], v[12:13], v[4:5] op_sel_hi:[1,0,1]
	s_cbranch_execz .LBB32_16
	s_branch .LBB32_17
.LBB32_15:
                                        ; implicit-def: $vgpr4_vgpr5
                                        ; implicit-def: $sgpr2_sgpr3
                                        ; implicit-def: $vgpr10
                                        ; implicit-def: $sgpr1
                                        ; implicit-def: $sgpr25
.LBB32_16:
	s_add_i32 s1, s24, -1
	s_mov_b64 s[2:3], 0
	s_mov_b32 s25, s6
	v_mov_b32_e32 v10, v9
	s_waitcnt vmcnt(0)
	v_mov_b64_e32 v[4:5], v[0:1]
.LBB32_17:
	s_andn2_b64 vcc, exec, s[2:3]
	s_cbranch_vccz .LBB32_22
; %bb.18:
	s_mov_b32 s6, s25
	s_mov_b32 s24, s1
	v_mov_b32_e32 v9, v10
	s_waitcnt vmcnt(0)
	v_mov_b64_e32 v[0:1], v[4:5]
	s_mul_hi_i32 s1, s24, s11
	s_cmp_lg_u64 s[0:1], 0
	s_mul_i32 s8, s24, s11
	s_cbranch_scc1 .LBB32_9
.LBB32_19:
                                        ; implicit-def: $sgpr4_sgpr5
	s_branch .LBB32_10
.LBB32_20:
                                        ; implicit-def: $sgpr6_sgpr7
	s_load_dwordx4 s[12:15], s[0:1], 0x44
	s_branch .LBB32_2
.LBB32_21:
                                        ; implicit-def: $sgpr18_sgpr19
	s_branch .LBB32_5
.LBB32_22:
	v_div_scale_f32 v0, s[0:1], v4, v4, v5
	s_waitcnt vmcnt(0)
	v_rcp_f32_e32 v1, v0
	v_div_scale_f32 v6, vcc, v5, v4, v5
	v_fma_f32 v7, -v0, v1, 1.0
	v_fmac_f32_e32 v1, v7, v1
	v_mul_f32_e32 v7, v6, v1
	v_fma_f32 v8, -v0, v7, v6
	v_fmac_f32_e32 v7, v8, v1
	v_fma_f32 v0, -v0, v7, v6
	v_div_fmas_f32 v0, v0, v1, v7
	v_div_fixup_f32 v0, v0, v4, v5
	global_store_dword v[2:3], v0, off
.LBB32_23:
	s_endpgm
	.section	.rodata,"a",@progbits
	.p2align	6, 0x0
	.amdhsa_kernel _ZL33flash_attn_stream_k_fixup_generalILi256ELi4ELi4EEvPfPK15HIP_vector_typeIfLj2EEiiiiS1_IjLj3EES5_S5_S5_
		.amdhsa_group_segment_fixed_size 0
		.amdhsa_private_segment_fixed_size 0
		.amdhsa_kernarg_size 336
		.amdhsa_user_sgpr_count 2
		.amdhsa_user_sgpr_dispatch_ptr 0
		.amdhsa_user_sgpr_queue_ptr 0
		.amdhsa_user_sgpr_kernarg_segment_ptr 1
		.amdhsa_user_sgpr_dispatch_id 0
		.amdhsa_user_sgpr_kernarg_preload_length 0
		.amdhsa_user_sgpr_kernarg_preload_offset 0
		.amdhsa_user_sgpr_private_segment_size 0
		.amdhsa_uses_dynamic_stack 0
		.amdhsa_enable_private_segment 0
		.amdhsa_system_sgpr_workgroup_id_x 1
		.amdhsa_system_sgpr_workgroup_id_y 1
		.amdhsa_system_sgpr_workgroup_id_z 1
		.amdhsa_system_sgpr_workgroup_info 0
		.amdhsa_system_vgpr_workitem_id 0
		.amdhsa_next_free_vgpr 18
		.amdhsa_next_free_sgpr 36
		.amdhsa_accum_offset 20
		.amdhsa_reserve_vcc 1
		.amdhsa_float_round_mode_32 0
		.amdhsa_float_round_mode_16_64 0
		.amdhsa_float_denorm_mode_32 3
		.amdhsa_float_denorm_mode_16_64 3
		.amdhsa_dx10_clamp 1
		.amdhsa_ieee_mode 1
		.amdhsa_fp16_overflow 0
		.amdhsa_tg_split 0
		.amdhsa_exception_fp_ieee_invalid_op 0
		.amdhsa_exception_fp_denorm_src 0
		.amdhsa_exception_fp_ieee_div_zero 0
		.amdhsa_exception_fp_ieee_overflow 0
		.amdhsa_exception_fp_ieee_underflow 0
		.amdhsa_exception_fp_ieee_inexact 0
		.amdhsa_exception_int_div_zero 0
	.end_amdhsa_kernel
	.section	.text._ZL33flash_attn_stream_k_fixup_generalILi256ELi4ELi4EEvPfPK15HIP_vector_typeIfLj2EEiiiiS1_IjLj3EES5_S5_S5_,"axG",@progbits,_ZL33flash_attn_stream_k_fixup_generalILi256ELi4ELi4EEvPfPK15HIP_vector_typeIfLj2EEiiiiS1_IjLj3EES5_S5_S5_,comdat
.Lfunc_end32:
	.size	_ZL33flash_attn_stream_k_fixup_generalILi256ELi4ELi4EEvPfPK15HIP_vector_typeIfLj2EEiiiiS1_IjLj3EES5_S5_S5_, .Lfunc_end32-_ZL33flash_attn_stream_k_fixup_generalILi256ELi4ELi4EEvPfPK15HIP_vector_typeIfLj2EEiiiiS1_IjLj3EES5_S5_S5_
                                        ; -- End function
	.set _ZL33flash_attn_stream_k_fixup_generalILi256ELi4ELi4EEvPfPK15HIP_vector_typeIfLj2EEiiiiS1_IjLj3EES5_S5_S5_.num_vgpr, 18
	.set _ZL33flash_attn_stream_k_fixup_generalILi256ELi4ELi4EEvPfPK15HIP_vector_typeIfLj2EEiiiiS1_IjLj3EES5_S5_S5_.num_agpr, 0
	.set _ZL33flash_attn_stream_k_fixup_generalILi256ELi4ELi4EEvPfPK15HIP_vector_typeIfLj2EEiiiiS1_IjLj3EES5_S5_S5_.numbered_sgpr, 36
	.set _ZL33flash_attn_stream_k_fixup_generalILi256ELi4ELi4EEvPfPK15HIP_vector_typeIfLj2EEiiiiS1_IjLj3EES5_S5_S5_.num_named_barrier, 0
	.set _ZL33flash_attn_stream_k_fixup_generalILi256ELi4ELi4EEvPfPK15HIP_vector_typeIfLj2EEiiiiS1_IjLj3EES5_S5_S5_.private_seg_size, 0
	.set _ZL33flash_attn_stream_k_fixup_generalILi256ELi4ELi4EEvPfPK15HIP_vector_typeIfLj2EEiiiiS1_IjLj3EES5_S5_S5_.uses_vcc, 1
	.set _ZL33flash_attn_stream_k_fixup_generalILi256ELi4ELi4EEvPfPK15HIP_vector_typeIfLj2EEiiiiS1_IjLj3EES5_S5_S5_.uses_flat_scratch, 0
	.set _ZL33flash_attn_stream_k_fixup_generalILi256ELi4ELi4EEvPfPK15HIP_vector_typeIfLj2EEiiiiS1_IjLj3EES5_S5_S5_.has_dyn_sized_stack, 0
	.set _ZL33flash_attn_stream_k_fixup_generalILi256ELi4ELi4EEvPfPK15HIP_vector_typeIfLj2EEiiiiS1_IjLj3EES5_S5_S5_.has_recursion, 0
	.set _ZL33flash_attn_stream_k_fixup_generalILi256ELi4ELi4EEvPfPK15HIP_vector_typeIfLj2EEiiiiS1_IjLj3EES5_S5_S5_.has_indirect_call, 0
	.section	.AMDGPU.csdata,"",@progbits
; Kernel info:
; codeLenInByte = 2940
; TotalNumSgprs: 42
; NumVgprs: 18
; NumAgprs: 0
; TotalNumVgprs: 18
; ScratchSize: 0
; MemoryBound: 0
; FloatMode: 240
; IeeeMode: 1
; LDSByteSize: 0 bytes/workgroup (compile time only)
; SGPRBlocks: 5
; VGPRBlocks: 2
; NumSGPRsForWavesPerEU: 42
; NumVGPRsForWavesPerEU: 18
; AccumOffset: 20
; Occupancy: 8
; WaveLimiterHint : 0
; COMPUTE_PGM_RSRC2:SCRATCH_EN: 0
; COMPUTE_PGM_RSRC2:USER_SGPR: 2
; COMPUTE_PGM_RSRC2:TRAP_HANDLER: 0
; COMPUTE_PGM_RSRC2:TGID_X_EN: 1
; COMPUTE_PGM_RSRC2:TGID_Y_EN: 1
; COMPUTE_PGM_RSRC2:TGID_Z_EN: 1
; COMPUTE_PGM_RSRC2:TIDIG_COMP_CNT: 0
; COMPUTE_PGM_RSRC3_GFX90A:ACCUM_OFFSET: 4
; COMPUTE_PGM_RSRC3_GFX90A:TG_SPLIT: 0
	.section	.text._ZL26flash_attn_combine_resultsILi256EEvPKfPK15HIP_vector_typeIfLj2EEPfi,"axG",@progbits,_ZL26flash_attn_combine_resultsILi256EEvPKfPK15HIP_vector_typeIfLj2EEPfi,comdat
	.globl	_ZL26flash_attn_combine_resultsILi256EEvPKfPK15HIP_vector_typeIfLj2EEPfi ; -- Begin function _ZL26flash_attn_combine_resultsILi256EEvPKfPK15HIP_vector_typeIfLj2EEPfi
	.p2align	8
	.type	_ZL26flash_attn_combine_resultsILi256EEvPKfPK15HIP_vector_typeIfLj2EEPfi,@function
_ZL26flash_attn_combine_resultsILi256EEvPKfPK15HIP_vector_typeIfLj2EEPfi: ; @_ZL26flash_attn_combine_resultsILi256EEvPKfPK15HIP_vector_typeIfLj2EEPfi
; %bb.0:
	s_load_dwordx2 s[6:7], s[0:1], 0x20
	s_load_dword s19, s[0:1], 0x18
	s_load_dwordx4 s[8:11], s[0:1], 0x0
	s_load_dwordx2 s[14:15], s[0:1], 0x10
	s_waitcnt lgkmcnt(0)
	s_mul_i32 s0, s6, s4
	s_add_i32 s0, s0, s2
	s_mul_i32 s18, s0, s7
	s_add_i32 s18, s18, s3
	s_lshl_b32 s20, s19, 1
	s_mul_i32 s2, s18, s19
	v_cmp_gt_i32_e32 vcc, s20, v0
	s_and_saveexec_b64 s[0:1], vcc
	s_cbranch_execz .LBB33_13
; %bb.1:
	v_xad_u32 v1, v0, -1, s20
	s_movk_i32 s4, 0xff
	s_ashr_i32 s3, s2, 31
	v_cmp_lt_u32_e32 vcc, s4, v1
	s_mov_b64 s[6:7], -1
	v_mov_b32_e32 v2, v0
	s_and_saveexec_b64 s[4:5], vcc
	s_cbranch_execz .LBB33_10
; %bb.2:
	v_lshrrev_b32_e32 v6, 8, v1
	s_lshl_b64 s[6:7], s[2:3], 3
	v_add_u32_e32 v2, -1, v6
	s_add_u32 s6, s10, s6
	v_or_b32_e32 v1, 0x100, v0
	v_lshrrev_b32_e32 v3, 1, v2
	s_addc_u32 s7, s11, s7
	s_mov_b32 s21, 0
	v_add_u32_e32 v7, 1, v3
	v_cmp_lt_u32_e32 vcc, 13, v2
	v_mov_b32_e32 v4, 0
	v_mov_b64_e32 v[2:3], v[0:1]
	s_and_saveexec_b64 s[12:13], vcc
	s_cbranch_execz .LBB33_6
; %bb.3:
	v_and_b32_e32 v8, -8, v7
	v_lshl_add_u32 v9, v0, 2, 0
	s_mov_b64 s[16:17], 0
	v_mov_b32_e32 v5, 0
	v_mov_b64_e32 v[2:3], v[0:1]
.LBB33_4:                               ; =>This Inner Loop Header: Depth=1
	v_mov_b32_e32 v4, v2
	v_lshl_add_u64 v[24:25], v[4:5], 2, s[6:7]
	v_mov_b32_e32 v4, v3
	v_add_u32_e32 v10, 0x200, v3
	v_mov_b32_e32 v11, v5
	v_lshl_add_u64 v[26:27], v[4:5], 2, s[6:7]
	v_add_u32_e32 v4, 0x200, v2
	v_lshl_add_u64 v[10:11], v[10:11], 2, s[6:7]
	global_load_dword v1, v[24:25], off
	v_lshl_add_u64 v[24:25], v[4:5], 2, s[6:7]
	v_add_u32_e32 v4, 0x400, v2
	global_load_dword v28, v[26:27], off
	global_load_dword v29, v[24:25], off
	;; [unrolled: 1-line block ×3, first 2 shown]
	v_lshl_add_u64 v[10:11], v[4:5], 2, s[6:7]
	v_add_u32_e32 v4, 0x600, v2
	v_add_u32_e32 v12, 0x400, v3
	v_mov_b32_e32 v13, v5
	v_add_u32_e32 v14, 0x600, v3
	v_mov_b32_e32 v15, v5
	v_lshl_add_u64 v[24:25], v[4:5], 2, s[6:7]
	v_add_u32_e32 v4, 0x800, v2
	v_lshl_add_u64 v[12:13], v[12:13], 2, s[6:7]
	v_lshl_add_u64 v[14:15], v[14:15], 2, s[6:7]
	global_load_dword v26, v[10:11], off
	global_load_dword v27, v[12:13], off
	global_load_dword v31, v[24:25], off
	global_load_dword v32, v[14:15], off
	v_lshl_add_u64 v[10:11], v[4:5], 2, s[6:7]
	v_add_u32_e32 v4, 0xa00, v2
	v_add_u32_e32 v16, 0x800, v3
	v_mov_b32_e32 v17, v5
	v_add_u32_e32 v18, 0xa00, v3
	v_mov_b32_e32 v19, v5
	v_lshl_add_u64 v[12:13], v[4:5], 2, s[6:7]
	v_add_u32_e32 v4, 0xc00, v2
	v_add_u32_e32 v20, 0xc00, v3
	v_mov_b32_e32 v21, v5
	v_add_u32_e32 v22, 0xe00, v3
	v_mov_b32_e32 v23, v5
	v_lshl_add_u64 v[16:17], v[16:17], 2, s[6:7]
	v_lshl_add_u64 v[18:19], v[18:19], 2, s[6:7]
	global_load_dword v14, v[10:11], off
	global_load_dword v15, v[16:17], off
	;; [unrolled: 1-line block ×4, first 2 shown]
	v_lshl_add_u64 v[10:11], v[4:5], 2, s[6:7]
	v_add_u32_e32 v4, 0xe00, v2
	v_lshl_add_u64 v[20:21], v[20:21], 2, s[6:7]
	v_lshl_add_u64 v[22:23], v[22:23], 2, s[6:7]
	;; [unrolled: 1-line block ×3, first 2 shown]
	global_load_dword v16, v[10:11], off
	global_load_dword v17, v[20:21], off
	;; [unrolled: 1-line block ×4, first 2 shown]
	v_add_u32_e32 v8, -8, v8
	s_add_i32 s21, s21, 16
	v_cmp_eq_u32_e32 vcc, 0, v8
	v_add_u32_e32 v3, 0x1000, v3
	v_mov_b32_e32 v4, s21
	s_or_b64 s[16:17], vcc, s[16:17]
	v_add_u32_e32 v2, 0x1000, v2
	s_waitcnt vmcnt(14)
	ds_write2st64_b32 v9, v1, v28 offset1:4
	s_waitcnt vmcnt(12)
	ds_write2st64_b32 v9, v29, v30 offset0:8 offset1:12
	s_waitcnt vmcnt(10)
	ds_write2st64_b32 v9, v26, v27 offset0:16 offset1:20
	;; [unrolled: 2-line block ×7, first 2 shown]
	v_add_u32_e32 v9, 0x4000, v9
	s_andn2_b64 exec, exec, s[16:17]
	s_cbranch_execnz .LBB33_4
; %bb.5:
	s_or_b64 exec, exec, s[16:17]
.LBB33_6:
	s_or_b64 exec, exec, s[12:13]
	v_and_b32_e32 v1, 7, v7
	v_cmp_ne_u32_e32 vcc, 0, v1
	s_and_saveexec_b64 s[12:13], vcc
	s_cbranch_execz .LBB33_9
; %bb.7:
	v_lshlrev_b32_e32 v5, 2, v0
	v_lshl_or_b32 v4, v4, 10, v5
	v_add_u32_e32 v7, 0, v4
	s_mov_b64 s[16:17], 0
	v_mov_b32_e32 v5, 0
.LBB33_8:                               ; =>This Inner Loop Header: Depth=1
	v_mov_b32_e32 v4, v2
	v_lshl_add_u64 v[8:9], v[4:5], 2, s[6:7]
	v_mov_b32_e32 v4, v3
	v_lshl_add_u64 v[10:11], v[4:5], 2, s[6:7]
	global_load_dword v4, v[8:9], off
	global_load_dword v12, v[10:11], off
	v_add_u32_e32 v1, -1, v1
	v_cmp_eq_u32_e32 vcc, 0, v1
	v_add_u32_e32 v2, 0x200, v2
	v_add_u32_e32 v3, 0x200, v3
	s_or_b64 s[16:17], vcc, s[16:17]
	s_waitcnt vmcnt(0)
	ds_write2st64_b32 v7, v4, v12 offset1:4
	v_add_u32_e32 v7, 0x800, v7
	s_andn2_b64 exec, exec, s[16:17]
	s_cbranch_execnz .LBB33_8
.LBB33_9:
	s_or_b64 exec, exec, s[12:13]
	v_add_u32_e32 v1, 1, v6
	v_and_b32_e32 v3, 0x1fffffe, v1
	v_cmp_ne_u32_e32 vcc, v1, v3
	v_lshl_or_b32 v2, v3, 8, v0
	s_orn2_b64 s[6:7], vcc, exec
.LBB33_10:
	s_or_b64 exec, exec, s[4:5]
	s_and_b64 exec, exec, s[6:7]
	s_cbranch_execz .LBB33_13
; %bb.11:
	s_lshl_b64 s[4:5], s[2:3], 3
	s_add_u32 s4, s10, s4
	v_mov_b32_e32 v3, 0
	s_addc_u32 s5, s11, s5
	v_lshl_add_u64 v[4:5], v[2:3], 2, s[4:5]
	v_lshl_add_u32 v1, v2, 2, 0
	s_mov_b64 s[4:5], 0
	s_mov_b64 s[6:7], 0x400
.LBB33_12:                              ; =>This Inner Loop Header: Depth=1
	global_load_dword v3, v[4:5], off
	v_add_u32_e32 v2, 0x100, v2
	v_cmp_le_i32_e32 vcc, s20, v2
	v_lshl_add_u64 v[4:5], v[4:5], 0, s[6:7]
	s_or_b64 s[4:5], vcc, s[4:5]
	s_waitcnt vmcnt(0)
	ds_write_b32 v1, v3
	v_add_u32_e32 v1, 0x400, v1
	s_andn2_b64 exec, exec, s[4:5]
	s_cbranch_execnz .LBB33_12
.LBB33_13:
	s_or_b64 exec, exec, s[0:1]
	v_mov_b32_e32 v1, 0
	s_waitcnt lgkmcnt(0)
	s_barrier
	ds_read_b32 v1, v1
	s_cmp_lt_i32 s19, 2
	s_cbranch_scc1 .LBB33_21
; %bb.14:
	s_cmp_eq_u32 s19, 2
	s_cbranch_scc1 .LBB33_18
; %bb.15:
	s_add_i32 s3, s19, -1
	s_and_b32 s4, s3, -2
	s_add_i32 s6, 0, 8
	s_mov_b32 s5, 2
	s_waitcnt lgkmcnt(0)
	v_mov_b32_e32 v4, v1
.LBB33_16:                              ; =>This Inner Loop Header: Depth=1
	v_mov_b32_e32 v2, v1
	v_mov_b32_e32 v1, s6
	;; [unrolled: 1-line block ×3, first 2 shown]
	ds_read2_b32 v[4:5], v1 offset1:2
	s_cmp_lg_u32 s4, s5
	s_cselect_b64 s[10:11], -1, 0
	v_max_f32_e32 v1, v3, v3
	v_max_f32_e32 v6, v2, v2
	s_waitcnt lgkmcnt(0)
	v_cmp_u_f32_e32 vcc, v5, v5
	v_max_f32_e32 v7, v5, v5
	v_max_f32_e32 v8, v4, v4
	v_cndmask_b32_e64 v5, 0, 1, vcc
	v_cmp_u_f32_e32 vcc, v4, v4
	v_readfirstlane_b32 s0, v5
	s_lshl_b32 s0, s0, 1
	v_cndmask_b32_e64 v9, 0, 1, vcc
	v_max_f32_e32 v4, v1, v7
	v_readfirstlane_b32 s1, v9
	s_or_b32 s0, s1, s0
	s_and_b32 s7, s0, 3
	s_cmp_lg_u32 s7, 0
	s_cselect_b64 s[0:1], -1, 0
	s_cmp_eq_u32 s7, 0
	s_cselect_b64 s[12:13], -1, 0
	s_and_b64 s[10:11], s[12:13], s[10:11]
	v_max_f32_e32 v1, v6, v8
	s_add_i32 s5, s5, 2
	s_add_i32 s6, s6, 16
	s_and_b64 vcc, exec, s[10:11]
	s_cbranch_vccnz .LBB33_16
; %bb.17:
	s_add_i32 s5, s5, -4
	s_and_b64 s[6:7], s[0:1], exec
	s_cselect_b32 s5, s5, s3
	s_or_b32 s5, s5, 1
	v_cndmask_b32_e64 v1, v1, v2, s[0:1]
	v_cndmask_b32_e64 v2, v4, v3, s[0:1]
	s_cmp_lg_u32 s3, s4
	v_max_f32_e32 v2, v2, v2
	v_max_f32_e32 v1, v1, v1
	s_cselect_b64 s[6:7], -1, 0
	v_max_f32_e32 v1, v1, v2
	s_or_b64 s[0:1], s[6:7], s[0:1]
	s_and_b64 vcc, exec, s[0:1]
	s_cbranch_vccnz .LBB33_19
	s_branch .LBB33_21
.LBB33_18:
	s_mov_b32 s5, 1
	s_cbranch_execz .LBB33_21
.LBB33_19:
	s_lshl_b32 s1, s5, 3
	s_sub_i32 s0, s19, s5
	s_add_i32 s1, s1, 0
.LBB33_20:                              ; =>This Inner Loop Header: Depth=1
	v_mov_b32_e32 v2, s1
	ds_read_b32 v2, v2
	s_waitcnt lgkmcnt(1)
	v_max_f32_e32 v1, v1, v1
	s_add_i32 s0, s0, -1
	s_add_i32 s1, s1, 8
	s_cmp_eq_u32 s0, 0
	s_waitcnt lgkmcnt(0)
	v_max_f32_e32 v2, v2, v2
	v_max_f32_e32 v1, v1, v2
	s_cbranch_scc0 .LBB33_20
.LBB33_21:
	s_cmp_lt_i32 s19, 1
	s_cbranch_scc1 .LBB33_26
; %bb.22:
	s_lshl_b32 s0, s2, 8
	s_ashr_i32 s1, s0, 31
	s_lshl_b64 s[0:1], s[0:1], 2
	s_add_u32 s16, s8, s0
	s_addc_u32 s17, s9, s1
	s_cmp_lt_u32 s19, 8
	s_cbranch_scc1 .LBB33_27
; %bb.23:
	v_mov_b32_e32 v7, 0
	s_and_b32 s20, s19, 0x7ffffff8
	v_or_b32_e32 v4, 0x700, v0
	s_mov_b32 s21, 0
	s_mov_b32 s22, 0x3fb8aa3b
	;; [unrolled: 1-line block ×4, first 2 shown]
	v_mov_b32_e32 v8, 0x7f800000
	s_mov_b32 s25, 0
	v_mov_b32_e32 v2, v7
	v_mov_b32_e32 v3, v7
.LBB33_24:                              ; =>This Inner Loop Header: Depth=1
	v_add_u32_e32 v6, 0xfffff900, v4
	v_lshl_add_u64 v[26:27], v[6:7], 2, s[16:17]
	v_add_u32_e32 v6, 0xfffffa00, v4
	v_mov_b32_e32 v9, s21
	v_lshl_add_u64 v[30:31], v[6:7], 2, s[16:17]
	v_add_u32_e32 v6, 0xfffffb00, v4
	ds_read2_b64 v[10:13], v9 offset1:1
	ds_read2_b64 v[14:17], v9 offset0:2 offset1:3
	ds_read2_b64 v[18:21], v9 offset0:4 offset1:5
	;; [unrolled: 1-line block ×3, first 2 shown]
	global_load_dword v33, v[26:27], off
	global_load_dword v35, v[30:31], off
	v_lshl_add_u64 v[26:27], v[6:7], 2, s[16:17]
	v_add_u32_e32 v6, 0xfffffc00, v4
	v_lshl_add_u64 v[30:31], v[6:7], 2, s[16:17]
	v_add_u32_e32 v6, 0xfffffd00, v4
	global_load_dword v37, v[26:27], off
	global_load_dword v39, v[30:31], off
	v_lshl_add_u64 v[26:27], v[6:7], 2, s[16:17]
	v_add_u32_e32 v6, 0xfffffe00, v4
	s_waitcnt lgkmcnt(3)
	v_mov_b32_e32 v32, v11
	v_sub_f32_e32 v9, v12, v1
	v_mov_b32_e32 v34, v13
	global_load_dword v11, v[26:27], off
	v_lshl_add_u64 v[12:13], v[6:7], 2, s[16:17]
	s_waitcnt lgkmcnt(2)
	v_mov_b32_e32 v36, v15
	v_add_u32_e32 v6, 0xffffff00, v4
	global_load_dword v15, v[12:13], off
	v_mov_b32_e32 v5, v7
	v_lshl_add_u64 v[12:13], v[6:7], 2, s[16:17]
	v_lshl_add_u64 v[28:29], v[4:5], 2, s[16:17]
	v_sub_f32_e32 v5, v10, v1
	v_mov_b32_e32 v38, v17
	s_waitcnt lgkmcnt(1)
	v_mov_b32_e32 v10, v19
	global_load_dword v17, v[12:13], off
	global_load_dword v19, v[28:29], off
	v_sub_f32_e32 v30, v14, v1
	v_sub_f32_e32 v31, v16, v1
	;; [unrolled: 1-line block ×3, first 2 shown]
	v_mov_b32_e32 v14, v21
	s_waitcnt lgkmcnt(0)
	v_sub_f32_e32 v21, v22, v1
	v_mov_b32_e32 v16, v23
	v_sub_f32_e32 v22, v24, v1
	v_mul_f32_e32 v23, 0x3fb8aa3b, v5
	v_mov_b32_e32 v18, v25
	v_mul_f32_e32 v24, 0x3fb8aa3b, v9
	v_mul_f32_e32 v25, 0x3fb8aa3b, v30
	v_mul_f32_e32 v27, 0x3fb8aa3b, v40
	v_mul_f32_e32 v42, 0x3fb8aa3b, v21
	v_mul_f32_e32 v6, 0x3fb8aa3b, v22
	v_fma_f32 v43, v5, s22, -v23
	v_rndne_f32_e32 v44, v23
	v_sub_f32_e32 v20, v20, v1
	v_fma_f32 v45, v9, s22, -v24
	v_rndne_f32_e32 v46, v24
	v_fma_f32 v47, v30, s22, -v25
	v_rndne_f32_e32 v48, v25
	;; [unrolled: 2-line block ×5, first 2 shown]
	v_fmac_f32_e32 v43, 0x32a5705f, v5
	v_sub_f32_e32 v12, v23, v44
	v_mul_f32_e32 v26, 0x3fb8aa3b, v31
	v_mul_f32_e32 v41, 0x3fb8aa3b, v20
	v_fmac_f32_e32 v45, 0x32a5705f, v9
	v_sub_f32_e32 v23, v24, v46
	v_fmac_f32_e32 v47, 0x32a5705f, v30
	v_sub_f32_e32 v25, v25, v48
	;; [unrolled: 2-line block ×5, first 2 shown]
	v_add_f32_e32 v12, v12, v43
	v_fma_f32 v49, v31, s22, -v26
	v_rndne_f32_e32 v50, v26
	v_fma_f32 v53, v20, s22, -v41
	v_rndne_f32_e32 v54, v41
	v_cvt_i32_f32_e32 v13, v44
	v_add_f32_e32 v23, v23, v45
	v_add_f32_e32 v25, v25, v47
	;; [unrolled: 1-line block ×5, first 2 shown]
	v_exp_f32_e32 v12, v12
	v_cvt_i32_f32_e32 v24, v46
	v_cvt_i32_f32_e32 v28, v48
	v_fmac_f32_e32 v49, 0x32a5705f, v31
	v_sub_f32_e32 v26, v26, v50
	v_cvt_i32_f32_e32 v29, v50
	v_cvt_i32_f32_e32 v44, v52
	v_fmac_f32_e32 v53, 0x32a5705f, v20
	v_sub_f32_e32 v41, v41, v54
	v_cvt_i32_f32_e32 v48, v56
	v_cvt_i32_f32_e32 v50, v58
	v_exp_f32_e32 v23, v23
	v_exp_f32_e32 v25, v25
	;; [unrolled: 1-line block ×5, first 2 shown]
	v_add_f32_e32 v26, v26, v49
	v_add_f32_e32 v41, v41, v53
	v_cvt_i32_f32_e32 v46, v54
	v_exp_f32_e32 v26, v26
	v_exp_f32_e32 v41, v41
	v_ldexp_f32 v12, v12, v13
	v_cmp_ngt_f32_e64 s[12:13], s23, v5
	v_ldexp_f32 v13, v23, v24
	v_cmp_ngt_f32_e32 vcc, s23, v9
	v_ldexp_f32 v23, v25, v28
	v_ldexp_f32 v25, v27, v44
	;; [unrolled: 1-line block ×3, first 2 shown]
	v_cmp_ngt_f32_e64 s[8:9], s23, v21
	v_ldexp_f32 v6, v6, v50
	v_cmp_ngt_f32_e64 s[10:11], s23, v22
	v_cndmask_b32_e64 v12, 0, v12, s[12:13]
	v_cmp_nlt_f32_e64 s[12:13], s24, v5
	v_cmp_ngt_f32_e64 s[0:1], s23, v30
	v_cndmask_b32_e32 v13, 0, v13, vcc
	v_cmp_nlt_f32_e32 vcc, s24, v9
	v_cndmask_b32_e64 v27, 0, v27, s[8:9]
	v_cmp_nlt_f32_e64 s[8:9], s24, v21
	v_cndmask_b32_e64 v21, 0, v6, s[10:11]
	v_cndmask_b32_e64 v6, v8, v12, s[12:13]
	v_ldexp_f32 v24, v26, v29
	v_cmp_ngt_f32_e64 s[2:3], s23, v31
	v_cmp_ngt_f32_e64 s[4:5], s23, v40
	v_ldexp_f32 v26, v41, v46
	v_cmp_ngt_f32_e64 s[6:7], s23, v20
	v_cndmask_b32_e64 v9, 0, v23, s[0:1]
	v_cmp_nlt_f32_e64 s[0:1], s24, v30
	v_cndmask_b32_e32 v12, v8, v13, vcc
	s_waitcnt vmcnt(7)
	v_pk_fma_f32 v[2:3], v[6:7], v[32:33], v[2:3] op_sel_hi:[0,1,1]
	v_cndmask_b32_e64 v23, 0, v24, s[2:3]
	v_cmp_nlt_f32_e64 s[2:3], s24, v31
	v_cndmask_b32_e64 v24, 0, v25, s[4:5]
	v_cndmask_b32_e64 v25, 0, v26, s[6:7]
	v_cmp_nlt_f32_e64 s[6:7], s24, v20
	v_cndmask_b32_e64 v20, v8, v9, s[0:1]
	s_waitcnt vmcnt(6)
	v_pk_fma_f32 v[2:3], v[12:13], v[34:35], v[2:3] op_sel_hi:[0,1,1]
	v_cmp_nlt_f32_e64 s[4:5], s24, v40
	v_cmp_nlt_f32_e64 s[10:11], s24, v22
	v_cndmask_b32_e64 v22, v8, v23, s[2:3]
	s_waitcnt vmcnt(5)
	v_pk_fma_f32 v[2:3], v[20:21], v[36:37], v[2:3] op_sel_hi:[0,1,1]
	v_cndmask_b32_e64 v24, v8, v24, s[4:5]
	s_waitcnt vmcnt(4)
	v_pk_fma_f32 v[2:3], v[22:23], v[38:39], v[2:3] op_sel_hi:[0,1,1]
	;; [unrolled: 3-line block ×4, first 2 shown]
	s_add_i32 s25, s25, 8
	s_add_i32 s21, s21, 64
	v_cndmask_b32_e64 v30, v8, v21, s[10:11]
	s_waitcnt vmcnt(1)
	v_pk_fma_f32 v[2:3], v[28:29], v[16:17], v[2:3] op_sel_hi:[0,1,1]
	s_cmp_eq_u32 s20, s25
	v_add_u32_e32 v4, 0x800, v4
	s_waitcnt vmcnt(0)
	v_pk_fma_f32 v[2:3], v[30:31], v[18:19], v[2:3] op_sel_hi:[0,1,1]
	s_cbranch_scc0 .LBB33_24
; %bb.25:
	s_and_b32 s0, s19, 7
	s_cmp_eq_u32 s0, 0
	s_cbranch_scc0 .LBB33_28
	s_branch .LBB33_30
.LBB33_26:
	s_waitcnt lgkmcnt(0)
	v_mov_b32_e32 v1, 0x7fc00000
	s_branch .LBB33_31
.LBB33_27:
	v_mov_b32_e32 v2, 0
	s_mov_b32 s20, 0
	v_mov_b32_e32 v3, v2
	s_and_b32 s0, s19, 7
	s_cmp_eq_u32 s0, 0
	s_cbranch_scc1 .LBB33_30
.LBB33_28:
	s_lshl_b32 s1, s20, 3
	v_lshl_or_b32 v4, s20, 8, v0
	s_add_i32 s1, s1, 0
	s_mov_b32 s2, 0x3fb8aa3b
	s_mov_b32 s3, 0xc2ce8ed0
	;; [unrolled: 1-line block ×3, first 2 shown]
	v_mov_b32_e32 v6, 0x7f800000
	v_mov_b32_e32 v5, 0
.LBB33_29:                              ; =>This Inner Loop Header: Depth=1
	v_lshl_add_u64 v[8:9], v[4:5], 2, s[16:17]
	global_load_dword v9, v[8:9], off
	v_mov_b32_e32 v7, s1
	ds_read_b64 v[10:11], v7
	s_add_i32 s1, s1, 8
	s_add_i32 s0, s0, -1
	v_add_u32_e32 v4, 0x100, v4
	s_cmp_lg_u32 s0, 0
	s_waitcnt lgkmcnt(0)
	v_sub_f32_e32 v7, v10, v1
	v_mul_f32_e32 v8, 0x3fb8aa3b, v7
	v_fma_f32 v10, v7, s2, -v8
	v_rndne_f32_e32 v12, v8
	v_fmac_f32_e32 v10, 0x32a5705f, v7
	v_sub_f32_e32 v8, v8, v12
	v_add_f32_e32 v8, v8, v10
	v_cvt_i32_f32_e32 v12, v12
	v_exp_f32_e32 v10, v8
	v_cmp_ngt_f32_e32 vcc, s3, v7
	v_mov_b32_e32 v8, v11
	v_ldexp_f32 v10, v10, v12
	v_cndmask_b32_e32 v10, 0, v10, vcc
	v_cmp_nlt_f32_e32 vcc, s4, v7
	s_nop 1
	v_cndmask_b32_e32 v10, v6, v10, vcc
	s_waitcnt vmcnt(0)
	v_pk_fma_f32 v[2:3], v[10:11], v[8:9], v[2:3] op_sel_hi:[0,1,1]
	s_cbranch_scc1 .LBB33_29
.LBB33_30:
	s_waitcnt lgkmcnt(0)
	v_div_scale_f32 v1, s[0:1], v2, v2, v3
	v_rcp_f32_e32 v4, v1
	v_div_scale_f32 v5, vcc, v3, v2, v3
	v_fma_f32 v6, -v1, v4, 1.0
	v_fmac_f32_e32 v4, v6, v4
	v_mul_f32_e32 v6, v5, v4
	v_fma_f32 v7, -v1, v6, v5
	v_fmac_f32_e32 v6, v7, v4
	v_fma_f32 v1, -v1, v6, v5
	v_div_fmas_f32 v1, v1, v4, v6
	v_div_fixup_f32 v1, v1, v2, v3
.LBB33_31:
	s_lshl_b32 s0, s18, 8
	s_ashr_i32 s1, s0, 31
	s_lshl_b64 s[0:1], s[0:1], 2
	s_add_u32 s0, s14, s0
	s_addc_u32 s1, s15, s1
	v_lshlrev_b32_e32 v0, 2, v0
	global_store_dword v0, v1, s[0:1]
	s_endpgm
	.section	.rodata,"a",@progbits
	.p2align	6, 0x0
	.amdhsa_kernel _ZL26flash_attn_combine_resultsILi256EEvPKfPK15HIP_vector_typeIfLj2EEPfi
		.amdhsa_group_segment_fixed_size 0
		.amdhsa_private_segment_fixed_size 0
		.amdhsa_kernarg_size 288
		.amdhsa_user_sgpr_count 2
		.amdhsa_user_sgpr_dispatch_ptr 0
		.amdhsa_user_sgpr_queue_ptr 0
		.amdhsa_user_sgpr_kernarg_segment_ptr 1
		.amdhsa_user_sgpr_dispatch_id 0
		.amdhsa_user_sgpr_kernarg_preload_length 0
		.amdhsa_user_sgpr_kernarg_preload_offset 0
		.amdhsa_user_sgpr_private_segment_size 0
		.amdhsa_uses_dynamic_stack 0
		.amdhsa_enable_private_segment 0
		.amdhsa_system_sgpr_workgroup_id_x 1
		.amdhsa_system_sgpr_workgroup_id_y 1
		.amdhsa_system_sgpr_workgroup_id_z 1
		.amdhsa_system_sgpr_workgroup_info 0
		.amdhsa_system_vgpr_workitem_id 0
		.amdhsa_next_free_vgpr 59
		.amdhsa_next_free_sgpr 26
		.amdhsa_accum_offset 60
		.amdhsa_reserve_vcc 1
		.amdhsa_float_round_mode_32 0
		.amdhsa_float_round_mode_16_64 0
		.amdhsa_float_denorm_mode_32 3
		.amdhsa_float_denorm_mode_16_64 3
		.amdhsa_dx10_clamp 1
		.amdhsa_ieee_mode 1
		.amdhsa_fp16_overflow 0
		.amdhsa_tg_split 0
		.amdhsa_exception_fp_ieee_invalid_op 0
		.amdhsa_exception_fp_denorm_src 0
		.amdhsa_exception_fp_ieee_div_zero 0
		.amdhsa_exception_fp_ieee_overflow 0
		.amdhsa_exception_fp_ieee_underflow 0
		.amdhsa_exception_fp_ieee_inexact 0
		.amdhsa_exception_int_div_zero 0
	.end_amdhsa_kernel
	.section	.text._ZL26flash_attn_combine_resultsILi256EEvPKfPK15HIP_vector_typeIfLj2EEPfi,"axG",@progbits,_ZL26flash_attn_combine_resultsILi256EEvPKfPK15HIP_vector_typeIfLj2EEPfi,comdat
.Lfunc_end33:
	.size	_ZL26flash_attn_combine_resultsILi256EEvPKfPK15HIP_vector_typeIfLj2EEPfi, .Lfunc_end33-_ZL26flash_attn_combine_resultsILi256EEvPKfPK15HIP_vector_typeIfLj2EEPfi
                                        ; -- End function
	.set _ZL26flash_attn_combine_resultsILi256EEvPKfPK15HIP_vector_typeIfLj2EEPfi.num_vgpr, 59
	.set _ZL26flash_attn_combine_resultsILi256EEvPKfPK15HIP_vector_typeIfLj2EEPfi.num_agpr, 0
	.set _ZL26flash_attn_combine_resultsILi256EEvPKfPK15HIP_vector_typeIfLj2EEPfi.numbered_sgpr, 26
	.set _ZL26flash_attn_combine_resultsILi256EEvPKfPK15HIP_vector_typeIfLj2EEPfi.num_named_barrier, 0
	.set _ZL26flash_attn_combine_resultsILi256EEvPKfPK15HIP_vector_typeIfLj2EEPfi.private_seg_size, 0
	.set _ZL26flash_attn_combine_resultsILi256EEvPKfPK15HIP_vector_typeIfLj2EEPfi.uses_vcc, 1
	.set _ZL26flash_attn_combine_resultsILi256EEvPKfPK15HIP_vector_typeIfLj2EEPfi.uses_flat_scratch, 0
	.set _ZL26flash_attn_combine_resultsILi256EEvPKfPK15HIP_vector_typeIfLj2EEPfi.has_dyn_sized_stack, 0
	.set _ZL26flash_attn_combine_resultsILi256EEvPKfPK15HIP_vector_typeIfLj2EEPfi.has_recursion, 0
	.set _ZL26flash_attn_combine_resultsILi256EEvPKfPK15HIP_vector_typeIfLj2EEPfi.has_indirect_call, 0
	.section	.AMDGPU.csdata,"",@progbits
; Kernel info:
; codeLenInByte = 2924
; TotalNumSgprs: 32
; NumVgprs: 59
; NumAgprs: 0
; TotalNumVgprs: 59
; ScratchSize: 0
; MemoryBound: 0
; FloatMode: 240
; IeeeMode: 1
; LDSByteSize: 0 bytes/workgroup (compile time only)
; SGPRBlocks: 3
; VGPRBlocks: 7
; NumSGPRsForWavesPerEU: 32
; NumVGPRsForWavesPerEU: 59
; AccumOffset: 60
; Occupancy: 8
; WaveLimiterHint : 0
; COMPUTE_PGM_RSRC2:SCRATCH_EN: 0
; COMPUTE_PGM_RSRC2:USER_SGPR: 2
; COMPUTE_PGM_RSRC2:TRAP_HANDLER: 0
; COMPUTE_PGM_RSRC2:TGID_X_EN: 1
; COMPUTE_PGM_RSRC2:TGID_Y_EN: 1
; COMPUTE_PGM_RSRC2:TGID_Z_EN: 1
; COMPUTE_PGM_RSRC2:TIDIG_COMP_CNT: 0
; COMPUTE_PGM_RSRC3_GFX90A:ACCUM_OFFSET: 14
; COMPUTE_PGM_RSRC3_GFX90A:TG_SPLIT: 0
	.section	.text._ZL18flash_attn_ext_f16ILi512ELi512ELi4ELi4ELb0ELb0EEvPKcS1_S1_S1_S1_PKiPfP15HIP_vector_typeIfLj2EEffffjfiS5_IjLj3EEiiiiiiiiiiiliiliiiiil,"axG",@progbits,_ZL18flash_attn_ext_f16ILi512ELi512ELi4ELi4ELb0ELb0EEvPKcS1_S1_S1_S1_PKiPfP15HIP_vector_typeIfLj2EEffffjfiS5_IjLj3EEiiiiiiiiiiiliiliiiiil,comdat
	.globl	_ZL18flash_attn_ext_f16ILi512ELi512ELi4ELi4ELb0ELb0EEvPKcS1_S1_S1_S1_PKiPfP15HIP_vector_typeIfLj2EEffffjfiS5_IjLj3EEiiiiiiiiiiiliiliiiiil ; -- Begin function _ZL18flash_attn_ext_f16ILi512ELi512ELi4ELi4ELb0ELb0EEvPKcS1_S1_S1_S1_PKiPfP15HIP_vector_typeIfLj2EEffffjfiS5_IjLj3EEiiiiiiiiiiiliiliiiiil
	.p2align	8
	.type	_ZL18flash_attn_ext_f16ILi512ELi512ELi4ELi4ELb0ELb0EEvPKcS1_S1_S1_S1_PKiPfP15HIP_vector_typeIfLj2EEffffjfiS5_IjLj3EEiiiiiiiiiiiliiliiiiil,@function
_ZL18flash_attn_ext_f16ILi512ELi512ELi4ELi4ELb0ELb0EEvPKcS1_S1_S1_S1_PKiPfP15HIP_vector_typeIfLj2EEffffjfiS5_IjLj3EEiiiiiiiiiiiliiliiiiil: ; @_ZL18flash_attn_ext_f16ILi512ELi512ELi4ELi4ELb0ELb0EEvPKcS1_S1_S1_S1_PKiPfP15HIP_vector_typeIfLj2EEffffjfiS5_IjLj3EEiiiiiiiiiiiliiliiiiil
; %bb.0:
	s_add_u32 s8, s0, 0xd0
	s_addc_u32 s9, s1, 0
	s_getpc_b64 s[0:1]
	s_add_u32 s0, s0, _ZL14no_device_codePKciS0_iS0_@rel32@lo+4
	s_addc_u32 s1, s1, _ZL14no_device_codePKciS0_iS0_@rel32@hi+12
	v_mov_b32_e32 v0, 0x6ea
	s_mov_b32 s32, 0
	s_swappc_b64 s[30:31], s[0:1]
	.section	.rodata,"a",@progbits
	.p2align	6, 0x0
	.amdhsa_kernel _ZL18flash_attn_ext_f16ILi512ELi512ELi4ELi4ELb0ELb0EEvPKcS1_S1_S1_S1_PKiPfP15HIP_vector_typeIfLj2EEffffjfiS5_IjLj3EEiiiiiiiiiiiliiliiiiil
		.amdhsa_group_segment_fixed_size 0
		.amdhsa_private_segment_fixed_size 16
		.amdhsa_kernarg_size 464
		.amdhsa_user_sgpr_count 2
		.amdhsa_user_sgpr_dispatch_ptr 0
		.amdhsa_user_sgpr_queue_ptr 0
		.amdhsa_user_sgpr_kernarg_segment_ptr 1
		.amdhsa_user_sgpr_dispatch_id 0
		.amdhsa_user_sgpr_kernarg_preload_length 0
		.amdhsa_user_sgpr_kernarg_preload_offset 0
		.amdhsa_user_sgpr_private_segment_size 0
		.amdhsa_uses_dynamic_stack 0
		.amdhsa_enable_private_segment 1
		.amdhsa_system_sgpr_workgroup_id_x 1
		.amdhsa_system_sgpr_workgroup_id_y 0
		.amdhsa_system_sgpr_workgroup_id_z 0
		.amdhsa_system_sgpr_workgroup_info 0
		.amdhsa_system_vgpr_workitem_id 0
		.amdhsa_next_free_vgpr 52
		.amdhsa_next_free_sgpr 34
		.amdhsa_accum_offset 52
		.amdhsa_reserve_vcc 1
		.amdhsa_float_round_mode_32 0
		.amdhsa_float_round_mode_16_64 0
		.amdhsa_float_denorm_mode_32 3
		.amdhsa_float_denorm_mode_16_64 3
		.amdhsa_dx10_clamp 1
		.amdhsa_ieee_mode 1
		.amdhsa_fp16_overflow 0
		.amdhsa_tg_split 0
		.amdhsa_exception_fp_ieee_invalid_op 0
		.amdhsa_exception_fp_denorm_src 0
		.amdhsa_exception_fp_ieee_div_zero 0
		.amdhsa_exception_fp_ieee_overflow 0
		.amdhsa_exception_fp_ieee_underflow 0
		.amdhsa_exception_fp_ieee_inexact 0
		.amdhsa_exception_int_div_zero 0
	.end_amdhsa_kernel
	.section	.text._ZL18flash_attn_ext_f16ILi512ELi512ELi4ELi4ELb0ELb0EEvPKcS1_S1_S1_S1_PKiPfP15HIP_vector_typeIfLj2EEffffjfiS5_IjLj3EEiiiiiiiiiiiliiliiiiil,"axG",@progbits,_ZL18flash_attn_ext_f16ILi512ELi512ELi4ELi4ELb0ELb0EEvPKcS1_S1_S1_S1_PKiPfP15HIP_vector_typeIfLj2EEffffjfiS5_IjLj3EEiiiiiiiiiiiliiliiiiil,comdat
.Lfunc_end34:
	.size	_ZL18flash_attn_ext_f16ILi512ELi512ELi4ELi4ELb0ELb0EEvPKcS1_S1_S1_S1_PKiPfP15HIP_vector_typeIfLj2EEffffjfiS5_IjLj3EEiiiiiiiiiiiliiliiiiil, .Lfunc_end34-_ZL18flash_attn_ext_f16ILi512ELi512ELi4ELi4ELb0ELb0EEvPKcS1_S1_S1_S1_PKiPfP15HIP_vector_typeIfLj2EEffffjfiS5_IjLj3EEiiiiiiiiiiiliiliiiiil
                                        ; -- End function
	.set _ZL18flash_attn_ext_f16ILi512ELi512ELi4ELi4ELb0ELb0EEvPKcS1_S1_S1_S1_PKiPfP15HIP_vector_typeIfLj2EEffffjfiS5_IjLj3EEiiiiiiiiiiiliiliiiiil.num_vgpr, max(1, .L_ZL14no_device_codePKciS0_iS0_.num_vgpr)
	.set _ZL18flash_attn_ext_f16ILi512ELi512ELi4ELi4ELb0ELb0EEvPKcS1_S1_S1_S1_PKiPfP15HIP_vector_typeIfLj2EEffffjfiS5_IjLj3EEiiiiiiiiiiiliiliiiiil.num_agpr, max(0, .L_ZL14no_device_codePKciS0_iS0_.num_agpr)
	.set _ZL18flash_attn_ext_f16ILi512ELi512ELi4ELi4ELb0ELb0EEvPKcS1_S1_S1_S1_PKiPfP15HIP_vector_typeIfLj2EEffffjfiS5_IjLj3EEiiiiiiiiiiiliiliiiiil.numbered_sgpr, max(33, .L_ZL14no_device_codePKciS0_iS0_.numbered_sgpr)
	.set _ZL18flash_attn_ext_f16ILi512ELi512ELi4ELi4ELb0ELb0EEvPKcS1_S1_S1_S1_PKiPfP15HIP_vector_typeIfLj2EEffffjfiS5_IjLj3EEiiiiiiiiiiiliiliiiiil.num_named_barrier, max(0, .L_ZL14no_device_codePKciS0_iS0_.num_named_barrier)
	.set _ZL18flash_attn_ext_f16ILi512ELi512ELi4ELi4ELb0ELb0EEvPKcS1_S1_S1_S1_PKiPfP15HIP_vector_typeIfLj2EEffffjfiS5_IjLj3EEiiiiiiiiiiiliiliiiiil.private_seg_size, 0+max(.L_ZL14no_device_codePKciS0_iS0_.private_seg_size)
	.set _ZL18flash_attn_ext_f16ILi512ELi512ELi4ELi4ELb0ELb0EEvPKcS1_S1_S1_S1_PKiPfP15HIP_vector_typeIfLj2EEffffjfiS5_IjLj3EEiiiiiiiiiiiliiliiiiil.uses_vcc, or(1, .L_ZL14no_device_codePKciS0_iS0_.uses_vcc)
	.set _ZL18flash_attn_ext_f16ILi512ELi512ELi4ELi4ELb0ELb0EEvPKcS1_S1_S1_S1_PKiPfP15HIP_vector_typeIfLj2EEffffjfiS5_IjLj3EEiiiiiiiiiiiliiliiiiil.uses_flat_scratch, or(0, .L_ZL14no_device_codePKciS0_iS0_.uses_flat_scratch)
	.set _ZL18flash_attn_ext_f16ILi512ELi512ELi4ELi4ELb0ELb0EEvPKcS1_S1_S1_S1_PKiPfP15HIP_vector_typeIfLj2EEffffjfiS5_IjLj3EEiiiiiiiiiiiliiliiiiil.has_dyn_sized_stack, or(0, .L_ZL14no_device_codePKciS0_iS0_.has_dyn_sized_stack)
	.set _ZL18flash_attn_ext_f16ILi512ELi512ELi4ELi4ELb0ELb0EEvPKcS1_S1_S1_S1_PKiPfP15HIP_vector_typeIfLj2EEffffjfiS5_IjLj3EEiiiiiiiiiiiliiliiiiil.has_recursion, or(0, .L_ZL14no_device_codePKciS0_iS0_.has_recursion)
	.set _ZL18flash_attn_ext_f16ILi512ELi512ELi4ELi4ELb0ELb0EEvPKcS1_S1_S1_S1_PKiPfP15HIP_vector_typeIfLj2EEffffjfiS5_IjLj3EEiiiiiiiiiiiliiliiiiil.has_indirect_call, or(0, .L_ZL14no_device_codePKciS0_iS0_.has_indirect_call)
	.section	.AMDGPU.csdata,"",@progbits
; Kernel info:
; codeLenInByte = 48
; TotalNumSgprs: 40
; NumVgprs: 52
; NumAgprs: 0
; TotalNumVgprs: 52
; ScratchSize: 16
; MemoryBound: 0
; FloatMode: 240
; IeeeMode: 1
; LDSByteSize: 0 bytes/workgroup (compile time only)
; SGPRBlocks: 4
; VGPRBlocks: 6
; NumSGPRsForWavesPerEU: 40
; NumVGPRsForWavesPerEU: 52
; AccumOffset: 52
; Occupancy: 8
; WaveLimiterHint : 1
; COMPUTE_PGM_RSRC2:SCRATCH_EN: 1
; COMPUTE_PGM_RSRC2:USER_SGPR: 2
; COMPUTE_PGM_RSRC2:TRAP_HANDLER: 0
; COMPUTE_PGM_RSRC2:TGID_X_EN: 1
; COMPUTE_PGM_RSRC2:TGID_Y_EN: 0
; COMPUTE_PGM_RSRC2:TGID_Z_EN: 0
; COMPUTE_PGM_RSRC2:TIDIG_COMP_CNT: 0
; COMPUTE_PGM_RSRC3_GFX90A:ACCUM_OFFSET: 12
; COMPUTE_PGM_RSRC3_GFX90A:TG_SPLIT: 0
	.section	.text._ZL18flash_attn_ext_f16ILi512ELi512ELi4ELi4ELb1ELb0EEvPKcS1_S1_S1_S1_PKiPfP15HIP_vector_typeIfLj2EEffffjfiS5_IjLj3EEiiiiiiiiiiiliiliiiiil,"axG",@progbits,_ZL18flash_attn_ext_f16ILi512ELi512ELi4ELi4ELb1ELb0EEvPKcS1_S1_S1_S1_PKiPfP15HIP_vector_typeIfLj2EEffffjfiS5_IjLj3EEiiiiiiiiiiiliiliiiiil,comdat
	.globl	_ZL18flash_attn_ext_f16ILi512ELi512ELi4ELi4ELb1ELb0EEvPKcS1_S1_S1_S1_PKiPfP15HIP_vector_typeIfLj2EEffffjfiS5_IjLj3EEiiiiiiiiiiiliiliiiiil ; -- Begin function _ZL18flash_attn_ext_f16ILi512ELi512ELi4ELi4ELb1ELb0EEvPKcS1_S1_S1_S1_PKiPfP15HIP_vector_typeIfLj2EEffffjfiS5_IjLj3EEiiiiiiiiiiiliiliiiiil
	.p2align	8
	.type	_ZL18flash_attn_ext_f16ILi512ELi512ELi4ELi4ELb1ELb0EEvPKcS1_S1_S1_S1_PKiPfP15HIP_vector_typeIfLj2EEffffjfiS5_IjLj3EEiiiiiiiiiiiliiliiiiil,@function
_ZL18flash_attn_ext_f16ILi512ELi512ELi4ELi4ELb1ELb0EEvPKcS1_S1_S1_S1_PKiPfP15HIP_vector_typeIfLj2EEffffjfiS5_IjLj3EEiiiiiiiiiiiliiliiiiil: ; @_ZL18flash_attn_ext_f16ILi512ELi512ELi4ELi4ELb1ELb0EEvPKcS1_S1_S1_S1_PKiPfP15HIP_vector_typeIfLj2EEffffjfiS5_IjLj3EEiiiiiiiiiiiliiliiiiil
; %bb.0:
	s_add_u32 s8, s0, 0xd0
	s_addc_u32 s9, s1, 0
	s_getpc_b64 s[0:1]
	s_add_u32 s0, s0, _ZL14no_device_codePKciS0_iS0_@rel32@lo+4
	s_addc_u32 s1, s1, _ZL14no_device_codePKciS0_iS0_@rel32@hi+12
	v_mov_b32_e32 v0, 0x6ea
	s_mov_b32 s32, 0
	s_swappc_b64 s[30:31], s[0:1]
	.section	.rodata,"a",@progbits
	.p2align	6, 0x0
	.amdhsa_kernel _ZL18flash_attn_ext_f16ILi512ELi512ELi4ELi4ELb1ELb0EEvPKcS1_S1_S1_S1_PKiPfP15HIP_vector_typeIfLj2EEffffjfiS5_IjLj3EEiiiiiiiiiiiliiliiiiil
		.amdhsa_group_segment_fixed_size 0
		.amdhsa_private_segment_fixed_size 16
		.amdhsa_kernarg_size 464
		.amdhsa_user_sgpr_count 2
		.amdhsa_user_sgpr_dispatch_ptr 0
		.amdhsa_user_sgpr_queue_ptr 0
		.amdhsa_user_sgpr_kernarg_segment_ptr 1
		.amdhsa_user_sgpr_dispatch_id 0
		.amdhsa_user_sgpr_kernarg_preload_length 0
		.amdhsa_user_sgpr_kernarg_preload_offset 0
		.amdhsa_user_sgpr_private_segment_size 0
		.amdhsa_uses_dynamic_stack 0
		.amdhsa_enable_private_segment 1
		.amdhsa_system_sgpr_workgroup_id_x 1
		.amdhsa_system_sgpr_workgroup_id_y 0
		.amdhsa_system_sgpr_workgroup_id_z 0
		.amdhsa_system_sgpr_workgroup_info 0
		.amdhsa_system_vgpr_workitem_id 0
		.amdhsa_next_free_vgpr 52
		.amdhsa_next_free_sgpr 34
		.amdhsa_accum_offset 52
		.amdhsa_reserve_vcc 1
		.amdhsa_float_round_mode_32 0
		.amdhsa_float_round_mode_16_64 0
		.amdhsa_float_denorm_mode_32 3
		.amdhsa_float_denorm_mode_16_64 3
		.amdhsa_dx10_clamp 1
		.amdhsa_ieee_mode 1
		.amdhsa_fp16_overflow 0
		.amdhsa_tg_split 0
		.amdhsa_exception_fp_ieee_invalid_op 0
		.amdhsa_exception_fp_denorm_src 0
		.amdhsa_exception_fp_ieee_div_zero 0
		.amdhsa_exception_fp_ieee_overflow 0
		.amdhsa_exception_fp_ieee_underflow 0
		.amdhsa_exception_fp_ieee_inexact 0
		.amdhsa_exception_int_div_zero 0
	.end_amdhsa_kernel
	.section	.text._ZL18flash_attn_ext_f16ILi512ELi512ELi4ELi4ELb1ELb0EEvPKcS1_S1_S1_S1_PKiPfP15HIP_vector_typeIfLj2EEffffjfiS5_IjLj3EEiiiiiiiiiiiliiliiiiil,"axG",@progbits,_ZL18flash_attn_ext_f16ILi512ELi512ELi4ELi4ELb1ELb0EEvPKcS1_S1_S1_S1_PKiPfP15HIP_vector_typeIfLj2EEffffjfiS5_IjLj3EEiiiiiiiiiiiliiliiiiil,comdat
.Lfunc_end35:
	.size	_ZL18flash_attn_ext_f16ILi512ELi512ELi4ELi4ELb1ELb0EEvPKcS1_S1_S1_S1_PKiPfP15HIP_vector_typeIfLj2EEffffjfiS5_IjLj3EEiiiiiiiiiiiliiliiiiil, .Lfunc_end35-_ZL18flash_attn_ext_f16ILi512ELi512ELi4ELi4ELb1ELb0EEvPKcS1_S1_S1_S1_PKiPfP15HIP_vector_typeIfLj2EEffffjfiS5_IjLj3EEiiiiiiiiiiiliiliiiiil
                                        ; -- End function
	.set _ZL18flash_attn_ext_f16ILi512ELi512ELi4ELi4ELb1ELb0EEvPKcS1_S1_S1_S1_PKiPfP15HIP_vector_typeIfLj2EEffffjfiS5_IjLj3EEiiiiiiiiiiiliiliiiiil.num_vgpr, max(1, .L_ZL14no_device_codePKciS0_iS0_.num_vgpr)
	.set _ZL18flash_attn_ext_f16ILi512ELi512ELi4ELi4ELb1ELb0EEvPKcS1_S1_S1_S1_PKiPfP15HIP_vector_typeIfLj2EEffffjfiS5_IjLj3EEiiiiiiiiiiiliiliiiiil.num_agpr, max(0, .L_ZL14no_device_codePKciS0_iS0_.num_agpr)
	.set _ZL18flash_attn_ext_f16ILi512ELi512ELi4ELi4ELb1ELb0EEvPKcS1_S1_S1_S1_PKiPfP15HIP_vector_typeIfLj2EEffffjfiS5_IjLj3EEiiiiiiiiiiiliiliiiiil.numbered_sgpr, max(33, .L_ZL14no_device_codePKciS0_iS0_.numbered_sgpr)
	.set _ZL18flash_attn_ext_f16ILi512ELi512ELi4ELi4ELb1ELb0EEvPKcS1_S1_S1_S1_PKiPfP15HIP_vector_typeIfLj2EEffffjfiS5_IjLj3EEiiiiiiiiiiiliiliiiiil.num_named_barrier, max(0, .L_ZL14no_device_codePKciS0_iS0_.num_named_barrier)
	.set _ZL18flash_attn_ext_f16ILi512ELi512ELi4ELi4ELb1ELb0EEvPKcS1_S1_S1_S1_PKiPfP15HIP_vector_typeIfLj2EEffffjfiS5_IjLj3EEiiiiiiiiiiiliiliiiiil.private_seg_size, 0+max(.L_ZL14no_device_codePKciS0_iS0_.private_seg_size)
	.set _ZL18flash_attn_ext_f16ILi512ELi512ELi4ELi4ELb1ELb0EEvPKcS1_S1_S1_S1_PKiPfP15HIP_vector_typeIfLj2EEffffjfiS5_IjLj3EEiiiiiiiiiiiliiliiiiil.uses_vcc, or(1, .L_ZL14no_device_codePKciS0_iS0_.uses_vcc)
	.set _ZL18flash_attn_ext_f16ILi512ELi512ELi4ELi4ELb1ELb0EEvPKcS1_S1_S1_S1_PKiPfP15HIP_vector_typeIfLj2EEffffjfiS5_IjLj3EEiiiiiiiiiiiliiliiiiil.uses_flat_scratch, or(0, .L_ZL14no_device_codePKciS0_iS0_.uses_flat_scratch)
	.set _ZL18flash_attn_ext_f16ILi512ELi512ELi4ELi4ELb1ELb0EEvPKcS1_S1_S1_S1_PKiPfP15HIP_vector_typeIfLj2EEffffjfiS5_IjLj3EEiiiiiiiiiiiliiliiiiil.has_dyn_sized_stack, or(0, .L_ZL14no_device_codePKciS0_iS0_.has_dyn_sized_stack)
	.set _ZL18flash_attn_ext_f16ILi512ELi512ELi4ELi4ELb1ELb0EEvPKcS1_S1_S1_S1_PKiPfP15HIP_vector_typeIfLj2EEffffjfiS5_IjLj3EEiiiiiiiiiiiliiliiiiil.has_recursion, or(0, .L_ZL14no_device_codePKciS0_iS0_.has_recursion)
	.set _ZL18flash_attn_ext_f16ILi512ELi512ELi4ELi4ELb1ELb0EEvPKcS1_S1_S1_S1_PKiPfP15HIP_vector_typeIfLj2EEffffjfiS5_IjLj3EEiiiiiiiiiiiliiliiiiil.has_indirect_call, or(0, .L_ZL14no_device_codePKciS0_iS0_.has_indirect_call)
	.section	.AMDGPU.csdata,"",@progbits
; Kernel info:
; codeLenInByte = 48
; TotalNumSgprs: 40
; NumVgprs: 52
; NumAgprs: 0
; TotalNumVgprs: 52
; ScratchSize: 16
; MemoryBound: 0
; FloatMode: 240
; IeeeMode: 1
; LDSByteSize: 0 bytes/workgroup (compile time only)
; SGPRBlocks: 4
; VGPRBlocks: 6
; NumSGPRsForWavesPerEU: 40
; NumVGPRsForWavesPerEU: 52
; AccumOffset: 52
; Occupancy: 8
; WaveLimiterHint : 1
; COMPUTE_PGM_RSRC2:SCRATCH_EN: 1
; COMPUTE_PGM_RSRC2:USER_SGPR: 2
; COMPUTE_PGM_RSRC2:TRAP_HANDLER: 0
; COMPUTE_PGM_RSRC2:TGID_X_EN: 1
; COMPUTE_PGM_RSRC2:TGID_Y_EN: 0
; COMPUTE_PGM_RSRC2:TGID_Z_EN: 0
; COMPUTE_PGM_RSRC2:TIDIG_COMP_CNT: 0
; COMPUTE_PGM_RSRC3_GFX90A:ACCUM_OFFSET: 12
; COMPUTE_PGM_RSRC3_GFX90A:TG_SPLIT: 0
	.section	.text._ZL33flash_attn_stream_k_fixup_uniformILi512ELi4ELi4EEvPfPK15HIP_vector_typeIfLj2EEiiiiiiS1_IjLj3EES5_S5_,"axG",@progbits,_ZL33flash_attn_stream_k_fixup_uniformILi512ELi4ELi4EEvPfPK15HIP_vector_typeIfLj2EEiiiiiiS1_IjLj3EES5_S5_,comdat
	.globl	_ZL33flash_attn_stream_k_fixup_uniformILi512ELi4ELi4EEvPfPK15HIP_vector_typeIfLj2EEiiiiiiS1_IjLj3EES5_S5_ ; -- Begin function _ZL33flash_attn_stream_k_fixup_uniformILi512ELi4ELi4EEvPfPK15HIP_vector_typeIfLj2EEiiiiiiS1_IjLj3EES5_S5_
	.p2align	8
	.type	_ZL33flash_attn_stream_k_fixup_uniformILi512ELi4ELi4EEvPfPK15HIP_vector_typeIfLj2EEiiiiiiS1_IjLj3EES5_S5_,@function
_ZL33flash_attn_stream_k_fixup_uniformILi512ELi4ELi4EEvPfPK15HIP_vector_typeIfLj2EEiiiiiiS1_IjLj3EES5_S5_: ; @_ZL33flash_attn_stream_k_fixup_uniformILi512ELi4ELi4EEvPfPK15HIP_vector_typeIfLj2EEiiiiiiS1_IjLj3EES5_S5_
; %bb.0:
	s_load_dwordx8 s[8:15], s[0:1], 0x1c
	s_load_dwordx2 s[6:7], s[0:1], 0x10
	s_load_dwordx4 s[20:23], s[0:1], 0x3c
	s_waitcnt lgkmcnt(0)
	s_mul_hi_u32 s5, s11, s2
	s_add_i32 s5, s2, s5
	s_lshr_b32 s5, s5, s12
	s_mul_i32 s11, s5, s13
	s_sub_i32 s11, s2, s11
	s_mul_hi_u32 s12, s11, s14
	s_add_i32 s12, s11, s12
	s_lshr_b32 s16, s12, s15
	s_mul_i32 s12, s16, s20
	s_sub_i32 s11, s11, s12
	;; [unrolled: 5-line block ×3, first 2 shown]
	s_lshl_b32 s11, s12, 2
	s_lshl_b32 s12, s17, 2
	s_add_i32 s12, s12, s3
	s_cmp_lt_i32 s12, s6
	s_cselect_b64 s[12:13], -1, 0
	s_add_i32 s14, s11, s4
	s_cmp_lt_i32 s14, s9
	s_cselect_b64 s[14:15], -1, 0
	s_and_b64 s[12:13], s[12:13], s[14:15]
	s_andn2_b64 vcc, exec, s[12:13]
	s_cbranch_vccnz .LBB36_6
; %bb.1:
	s_load_dwordx4 s[12:15], s[0:1], 0x0
	s_mul_i32 s0, s5, s6
	s_add_i32 s0, s0, s3
	s_mul_i32 s0, s0, s7
	s_mul_i32 s16, s16, s9
	s_add_i32 s0, s0, s4
	s_add_i32 s0, s0, s16
	s_mul_i32 s1, s7, s17
	s_add_i32 s0, s0, s11
	s_lshl_b32 s1, s1, 11
	s_lshl_b32 s0, s0, 9
	s_add_i32 s1, s1, s0
	v_or_b32_e32 v4, s1, v0
	s_waitcnt lgkmcnt(0)
	v_mov_b32_e32 v2, s12
	v_mov_b32_e32 v3, s13
	v_ashrrev_i32_e32 v5, 31, v4
	v_lshl_add_u64 v[2:3], v[4:5], 2, v[2:3]
	global_load_dword v5, v[2:3], off
	s_mul_i32 s5, s10, s2
	s_lshl_b32 s11, s3, 2
	s_add_i32 s9, s5, s10
	s_add_i32 s0, s11, s4
	s_lshl_b32 s1, s9, 4
	s_add_i32 s0, s0, s1
	s_add_i32 s0, s0, -16
	s_ashr_i32 s1, s0, 31
	s_lshl_b64 s[0:1], s[0:1], 3
	s_add_u32 s0, s14, s0
	s_addc_u32 s1, s15, s1
	s_load_dword s12, s[0:1], 0x4
	s_add_i32 s6, s9, -2
	s_cmp_lt_i32 s6, s5
	s_cbranch_scc1 .LBB36_4
; %bb.2:
	s_lshl_b32 s6, s8, 6
	s_ashr_i32 s7, s6, 31
	s_lshl_b64 s[6:7], s[6:7], 2
	s_add_u32 s6, s14, s6
	s_addc_u32 s7, s15, s7
	s_add_i32 s2, s2, 1
	s_load_dword s0, s[0:1], 0x0
	s_mul_i32 s1, s10, s2
	s_lshl_b32 s3, s3, 11
	s_lshl_b32 s10, s4, 9
	;; [unrolled: 1-line block ×3, first 2 shown]
	s_add_i32 s3, s10, s3
	s_lshl_b32 s1, s1, 4
	s_add_i32 s3, s3, s2
	s_add_i32 s1, s4, s1
	s_lshl_b32 s2, s8, 4
	s_add_i32 s1, s1, s2
	v_or_b32_e32 v0, s3, v0
	s_add_i32 s1, s1, s11
	s_add_i32 s9, s9, -1
	v_add_u32_e32 v0, 0xffffc000, v0
	s_sub_i32 s2, s1, 32
	s_waitcnt lgkmcnt(0)
	v_mov_b32_e32 v7, s0
	v_mov_b32_e32 v4, s12
	s_mov_b32 s4, 0x3fb8aa3b
	s_mov_b32 s8, 0xc2ce8ed0
	;; [unrolled: 1-line block ×3, first 2 shown]
	v_mov_b32_e32 v6, 0x7f800000
	s_mov_b32 s11, 0xc1a00000
.LBB36_3:                               ; =>This Inner Loop Header: Depth=1
	v_ashrrev_i32_e32 v1, 31, v0
	v_lshl_add_u64 v[8:9], v[0:1], 2, s[6:7]
	global_load_dword v9, v[8:9], off
	s_ashr_i32 s3, s2, 31
	s_lshl_b64 s[0:1], s[2:3], 3
	s_add_u32 s0, s14, s0
	s_addc_u32 s1, s15, s1
	s_load_dwordx2 s[0:1], s[0:1], 0x0
	v_max_f32_e32 v1, v7, v7
	s_add_i32 s9, s9, -1
	s_add_i32 s2, s2, -16
	v_add_u32_e32 v0, 0xffffe000, v0
	s_waitcnt lgkmcnt(0)
	v_max_f32_e64 v10, s0, s0
	v_max_f32_e32 v1, v1, v10
	v_sub_f32_e32 v11, s0, v1
	v_sub_f32_e32 v10, v7, v1
	v_mul_f32_e32 v12, 0x3fb8aa3b, v11
	v_mov_b32_e32 v7, v1
	v_mul_f32_e32 v1, 0x3fb8aa3b, v10
	v_fma_f32 v15, v11, s4, -v12
	v_rndne_f32_e32 v16, v12
	v_fma_f32 v13, v10, s4, -v1
	v_rndne_f32_e32 v14, v1
	v_fmac_f32_e32 v15, 0x32a5705f, v11
	v_sub_f32_e32 v12, v12, v16
	v_fmac_f32_e32 v13, 0x32a5705f, v10
	v_sub_f32_e32 v1, v1, v14
	v_add_f32_e32 v12, v12, v15
	v_cvt_i32_f32_e32 v16, v16
	v_add_f32_e32 v1, v1, v13
	v_exp_f32_e32 v12, v12
	v_cvt_i32_f32_e32 v14, v14
	v_exp_f32_e32 v1, v1
	v_cmp_ngt_f32_e32 vcc, s8, v11
	v_ldexp_f32 v12, v12, v16
	v_mov_b32_e32 v8, s1
	v_ldexp_f32 v1, v1, v14
	v_cmp_ngt_f32_e64 s[0:1], s8, v10
	v_cndmask_b32_e32 v12, 0, v12, vcc
	v_cmp_nlt_f32_e32 vcc, s10, v11
	v_cndmask_b32_e64 v1, 0, v1, s[0:1]
	v_cmp_nlt_f32_e64 s[0:1], s10, v10
	v_cndmask_b32_e32 v12, v6, v12, vcc
	v_cmp_le_f32_e32 vcc, s11, v11
	v_cndmask_b32_e64 v1, v6, v1, s[0:1]
	v_cmp_le_f32_e64 s[0:1], s11, v10
	v_cndmask_b32_e32 v12, 0, v12, vcc
	s_cmp_le_i32 s9, s5
	v_cndmask_b32_e64 v10, 0, v1, s[0:1]
	s_waitcnt vmcnt(0)
	v_pk_mul_f32 v[8:9], v[8:9], v[12:13] op_sel_hi:[1,0]
	s_nop 0
	v_pk_fma_f32 v[4:5], v[4:5], v[10:11], v[8:9] op_sel_hi:[1,0,1]
	s_cbranch_scc0 .LBB36_3
	s_branch .LBB36_5
.LBB36_4:
	s_waitcnt lgkmcnt(0)
	v_mov_b32_e32 v4, s12
.LBB36_5:
	s_waitcnt vmcnt(0)
	v_div_scale_f32 v0, s[0:1], v4, v4, v5
	v_rcp_f32_e32 v1, v0
	v_div_scale_f32 v6, vcc, v5, v4, v5
	v_fma_f32 v7, -v0, v1, 1.0
	v_fmac_f32_e32 v1, v7, v1
	v_mul_f32_e32 v7, v6, v1
	v_fma_f32 v8, -v0, v7, v6
	v_fmac_f32_e32 v7, v8, v1
	v_fma_f32 v0, -v0, v7, v6
	v_div_fmas_f32 v0, v0, v1, v7
	v_div_fixup_f32 v0, v0, v4, v5
	global_store_dword v[2:3], v0, off
.LBB36_6:
	s_endpgm
	.section	.rodata,"a",@progbits
	.p2align	6, 0x0
	.amdhsa_kernel _ZL33flash_attn_stream_k_fixup_uniformILi512ELi4ELi4EEvPfPK15HIP_vector_typeIfLj2EEiiiiiiS1_IjLj3EES5_S5_
		.amdhsa_group_segment_fixed_size 0
		.amdhsa_private_segment_fixed_size 0
		.amdhsa_kernarg_size 76
		.amdhsa_user_sgpr_count 2
		.amdhsa_user_sgpr_dispatch_ptr 0
		.amdhsa_user_sgpr_queue_ptr 0
		.amdhsa_user_sgpr_kernarg_segment_ptr 1
		.amdhsa_user_sgpr_dispatch_id 0
		.amdhsa_user_sgpr_kernarg_preload_length 0
		.amdhsa_user_sgpr_kernarg_preload_offset 0
		.amdhsa_user_sgpr_private_segment_size 0
		.amdhsa_uses_dynamic_stack 0
		.amdhsa_enable_private_segment 0
		.amdhsa_system_sgpr_workgroup_id_x 1
		.amdhsa_system_sgpr_workgroup_id_y 1
		.amdhsa_system_sgpr_workgroup_id_z 1
		.amdhsa_system_sgpr_workgroup_info 0
		.amdhsa_system_vgpr_workitem_id 0
		.amdhsa_next_free_vgpr 17
		.amdhsa_next_free_sgpr 24
		.amdhsa_accum_offset 20
		.amdhsa_reserve_vcc 1
		.amdhsa_float_round_mode_32 0
		.amdhsa_float_round_mode_16_64 0
		.amdhsa_float_denorm_mode_32 3
		.amdhsa_float_denorm_mode_16_64 3
		.amdhsa_dx10_clamp 1
		.amdhsa_ieee_mode 1
		.amdhsa_fp16_overflow 0
		.amdhsa_tg_split 0
		.amdhsa_exception_fp_ieee_invalid_op 0
		.amdhsa_exception_fp_denorm_src 0
		.amdhsa_exception_fp_ieee_div_zero 0
		.amdhsa_exception_fp_ieee_overflow 0
		.amdhsa_exception_fp_ieee_underflow 0
		.amdhsa_exception_fp_ieee_inexact 0
		.amdhsa_exception_int_div_zero 0
	.end_amdhsa_kernel
	.section	.text._ZL33flash_attn_stream_k_fixup_uniformILi512ELi4ELi4EEvPfPK15HIP_vector_typeIfLj2EEiiiiiiS1_IjLj3EES5_S5_,"axG",@progbits,_ZL33flash_attn_stream_k_fixup_uniformILi512ELi4ELi4EEvPfPK15HIP_vector_typeIfLj2EEiiiiiiS1_IjLj3EES5_S5_,comdat
.Lfunc_end36:
	.size	_ZL33flash_attn_stream_k_fixup_uniformILi512ELi4ELi4EEvPfPK15HIP_vector_typeIfLj2EEiiiiiiS1_IjLj3EES5_S5_, .Lfunc_end36-_ZL33flash_attn_stream_k_fixup_uniformILi512ELi4ELi4EEvPfPK15HIP_vector_typeIfLj2EEiiiiiiS1_IjLj3EES5_S5_
                                        ; -- End function
	.set _ZL33flash_attn_stream_k_fixup_uniformILi512ELi4ELi4EEvPfPK15HIP_vector_typeIfLj2EEiiiiiiS1_IjLj3EES5_S5_.num_vgpr, 17
	.set _ZL33flash_attn_stream_k_fixup_uniformILi512ELi4ELi4EEvPfPK15HIP_vector_typeIfLj2EEiiiiiiS1_IjLj3EES5_S5_.num_agpr, 0
	.set _ZL33flash_attn_stream_k_fixup_uniformILi512ELi4ELi4EEvPfPK15HIP_vector_typeIfLj2EEiiiiiiS1_IjLj3EES5_S5_.numbered_sgpr, 24
	.set _ZL33flash_attn_stream_k_fixup_uniformILi512ELi4ELi4EEvPfPK15HIP_vector_typeIfLj2EEiiiiiiS1_IjLj3EES5_S5_.num_named_barrier, 0
	.set _ZL33flash_attn_stream_k_fixup_uniformILi512ELi4ELi4EEvPfPK15HIP_vector_typeIfLj2EEiiiiiiS1_IjLj3EES5_S5_.private_seg_size, 0
	.set _ZL33flash_attn_stream_k_fixup_uniformILi512ELi4ELi4EEvPfPK15HIP_vector_typeIfLj2EEiiiiiiS1_IjLj3EES5_S5_.uses_vcc, 1
	.set _ZL33flash_attn_stream_k_fixup_uniformILi512ELi4ELi4EEvPfPK15HIP_vector_typeIfLj2EEiiiiiiS1_IjLj3EES5_S5_.uses_flat_scratch, 0
	.set _ZL33flash_attn_stream_k_fixup_uniformILi512ELi4ELi4EEvPfPK15HIP_vector_typeIfLj2EEiiiiiiS1_IjLj3EES5_S5_.has_dyn_sized_stack, 0
	.set _ZL33flash_attn_stream_k_fixup_uniformILi512ELi4ELi4EEvPfPK15HIP_vector_typeIfLj2EEiiiiiiS1_IjLj3EES5_S5_.has_recursion, 0
	.set _ZL33flash_attn_stream_k_fixup_uniformILi512ELi4ELi4EEvPfPK15HIP_vector_typeIfLj2EEiiiiiiS1_IjLj3EES5_S5_.has_indirect_call, 0
	.section	.AMDGPU.csdata,"",@progbits
; Kernel info:
; codeLenInByte = 836
; TotalNumSgprs: 30
; NumVgprs: 17
; NumAgprs: 0
; TotalNumVgprs: 17
; ScratchSize: 0
; MemoryBound: 0
; FloatMode: 240
; IeeeMode: 1
; LDSByteSize: 0 bytes/workgroup (compile time only)
; SGPRBlocks: 3
; VGPRBlocks: 2
; NumSGPRsForWavesPerEU: 30
; NumVGPRsForWavesPerEU: 17
; AccumOffset: 20
; Occupancy: 8
; WaveLimiterHint : 0
; COMPUTE_PGM_RSRC2:SCRATCH_EN: 0
; COMPUTE_PGM_RSRC2:USER_SGPR: 2
; COMPUTE_PGM_RSRC2:TRAP_HANDLER: 0
; COMPUTE_PGM_RSRC2:TGID_X_EN: 1
; COMPUTE_PGM_RSRC2:TGID_Y_EN: 1
; COMPUTE_PGM_RSRC2:TGID_Z_EN: 1
; COMPUTE_PGM_RSRC2:TIDIG_COMP_CNT: 0
; COMPUTE_PGM_RSRC3_GFX90A:ACCUM_OFFSET: 4
; COMPUTE_PGM_RSRC3_GFX90A:TG_SPLIT: 0
	.section	.text._ZL33flash_attn_stream_k_fixup_generalILi512ELi4ELi4EEvPfPK15HIP_vector_typeIfLj2EEiiiiS1_IjLj3EES5_S5_S5_,"axG",@progbits,_ZL33flash_attn_stream_k_fixup_generalILi512ELi4ELi4EEvPfPK15HIP_vector_typeIfLj2EEiiiiS1_IjLj3EES5_S5_S5_,comdat
	.globl	_ZL33flash_attn_stream_k_fixup_generalILi512ELi4ELi4EEvPfPK15HIP_vector_typeIfLj2EEiiiiS1_IjLj3EES5_S5_S5_ ; -- Begin function _ZL33flash_attn_stream_k_fixup_generalILi512ELi4ELi4EEvPfPK15HIP_vector_typeIfLj2EEiiiiS1_IjLj3EES5_S5_S5_
	.p2align	8
	.type	_ZL33flash_attn_stream_k_fixup_generalILi512ELi4ELi4EEvPfPK15HIP_vector_typeIfLj2EEiiiiS1_IjLj3EES5_S5_S5_,@function
_ZL33flash_attn_stream_k_fixup_generalILi512ELi4ELi4EEvPfPK15HIP_vector_typeIfLj2EEiiiiS1_IjLj3EES5_S5_S5_: ; @_ZL33flash_attn_stream_k_fixup_generalILi512ELi4ELi4EEvPfPK15HIP_vector_typeIfLj2EEiiiiS1_IjLj3EES5_S5_S5_
; %bb.0:
	s_load_dwordx4 s[8:11], s[0:1], 0x10
	s_load_dword s22, s[0:1], 0x50
	s_mov_b32 s12, 0
	s_waitcnt lgkmcnt(0)
	s_mul_hi_i32 s13, s11, s2
	s_cmp_lg_u64 s[12:13], 0
	s_mul_i32 s5, s11, s2
	s_cbranch_scc0 .LBB37_20
; %bb.1:
	s_add_u32 s6, s22, 0
	s_addc_u32 s7, 0, 0
	s_xor_b64 s[6:7], s[6:7], 0
	v_cvt_f32_u32_e32 v1, s6
	v_cvt_f32_u32_e32 v2, s7
	s_sub_u32 s12, 0, s6
	s_subb_u32 s18, 0, s7
	v_fmamk_f32 v1, v2, 0x4f800000, v1
	v_rcp_f32_e32 v1, v1
	s_nop 0
	v_mul_f32_e32 v1, 0x5f7ffffc, v1
	v_mul_f32_e32 v2, 0x2f800000, v1
	v_trunc_f32_e32 v2, v2
	v_fmamk_f32 v1, v2, 0xcf800000, v1
	v_cvt_u32_f32_e32 v2, v2
	v_cvt_u32_f32_e32 v1, v1
	v_readfirstlane_b32 s19, v2
	v_readfirstlane_b32 s14, v1
	s_mul_i32 s15, s12, s19
	s_mul_hi_u32 s21, s12, s14
	s_mul_i32 s20, s18, s14
	s_add_i32 s15, s21, s15
	s_add_i32 s15, s15, s20
	s_mul_i32 s23, s12, s14
	s_mul_i32 s21, s14, s15
	s_mul_hi_u32 s24, s14, s23
	s_mul_hi_u32 s20, s14, s15
	s_add_u32 s21, s24, s21
	s_addc_u32 s20, 0, s20
	s_mul_hi_u32 s25, s19, s23
	s_mul_i32 s23, s19, s23
	s_add_u32 s21, s21, s23
	s_mul_hi_u32 s24, s19, s15
	s_addc_u32 s20, s20, s25
	s_addc_u32 s21, s24, 0
	s_mul_i32 s15, s19, s15
	s_add_u32 s15, s20, s15
	s_addc_u32 s20, 0, s21
	s_add_u32 s21, s14, s15
	s_cselect_b64 s[14:15], -1, 0
	s_cmp_lg_u64 s[14:15], 0
	s_addc_u32 s19, s19, s20
	s_mul_i32 s14, s12, s19
	s_mul_hi_u32 s15, s12, s21
	s_add_i32 s14, s15, s14
	s_mul_i32 s18, s18, s21
	s_add_i32 s14, s14, s18
	s_mul_i32 s12, s12, s21
	s_mul_hi_u32 s18, s19, s12
	s_mul_i32 s20, s19, s12
	s_mul_i32 s24, s21, s14
	s_mul_hi_u32 s12, s21, s12
	s_mul_hi_u32 s23, s21, s14
	s_add_u32 s12, s12, s24
	s_addc_u32 s23, 0, s23
	s_add_u32 s12, s12, s20
	s_mul_hi_u32 s15, s19, s14
	s_addc_u32 s12, s23, s18
	s_addc_u32 s15, s15, 0
	s_mul_i32 s14, s19, s14
	s_add_u32 s12, s12, s14
	s_addc_u32 s18, 0, s15
	s_add_u32 s20, s21, s12
	s_cselect_b64 s[14:15], -1, 0
	s_cmp_lg_u64 s[14:15], 0
	s_addc_u32 s18, s19, s18
	s_ashr_i32 s14, s13, 31
	s_add_u32 s12, s5, s14
	s_mov_b32 s15, s14
	s_addc_u32 s13, s13, s14
	s_xor_b64 s[12:13], s[12:13], s[14:15]
	s_mul_i32 s21, s12, s18
	s_mul_hi_u32 s23, s12, s20
	s_mul_hi_u32 s19, s12, s18
	s_add_u32 s21, s23, s21
	s_addc_u32 s19, 0, s19
	s_mul_hi_u32 s24, s13, s20
	s_mul_i32 s20, s13, s20
	s_add_u32 s20, s21, s20
	s_mul_hi_u32 s23, s13, s18
	s_addc_u32 s19, s19, s24
	s_addc_u32 s20, s23, 0
	s_mul_i32 s18, s13, s18
	s_add_u32 s23, s19, s18
	s_addc_u32 s24, 0, s20
	s_mul_i32 s18, s6, s24
	s_mul_hi_u32 s19, s6, s23
	s_add_i32 s18, s19, s18
	s_mul_i32 s19, s7, s23
	s_add_i32 s25, s18, s19
	s_sub_i32 s20, s13, s25
	s_mul_i32 s18, s6, s23
	s_sub_u32 s12, s12, s18
	s_cselect_b64 s[18:19], -1, 0
	s_cmp_lg_u64 s[18:19], 0
	s_subb_u32 s26, s20, s7
	s_sub_u32 s27, s12, s6
	s_cselect_b64 s[20:21], -1, 0
	s_cmp_lg_u64 s[20:21], 0
	s_subb_u32 s20, s26, 0
	s_cmp_ge_u32 s20, s7
	s_cselect_b32 s21, -1, 0
	s_cmp_ge_u32 s27, s6
	s_cselect_b32 s26, -1, 0
	s_cmp_eq_u32 s20, s7
	s_cselect_b32 s20, s26, s21
	s_add_u32 s21, s23, 1
	s_addc_u32 s26, s24, 0
	s_add_u32 s27, s23, 2
	s_addc_u32 s28, s24, 0
	s_cmp_lg_u32 s20, 0
	s_cselect_b32 s20, s27, s21
	s_cselect_b32 s21, s28, s26
	s_cmp_lg_u64 s[18:19], 0
	s_subb_u32 s13, s13, s25
	s_cmp_ge_u32 s13, s7
	s_cselect_b32 s18, -1, 0
	s_cmp_ge_u32 s12, s6
	s_cselect_b32 s6, -1, 0
	s_cmp_eq_u32 s13, s7
	s_cselect_b32 s6, s6, s18
	s_cmp_lg_u32 s6, 0
	s_cselect_b32 s7, s21, s24
	s_cselect_b32 s6, s20, s23
	s_xor_b64 s[12:13], s[14:15], 0
	s_xor_b64 s[6:7], s[6:7], s[12:13]
	s_sub_u32 s6, s6, s12
	s_load_dwordx4 s[12:15], s[0:1], 0x44
	s_cbranch_execnz .LBB37_3
.LBB37_2:
	v_cvt_f32_u32_e32 v1, s22
	s_sub_i32 s6, 0, s22
	v_rcp_iflag_f32_e32 v1, v1
	s_nop 0
	v_mul_f32_e32 v1, 0x4f7ffffe, v1
	v_cvt_u32_f32_e32 v1, v1
	s_nop 0
	v_readfirstlane_b32 s7, v1
	s_mul_i32 s6, s6, s7
	s_mul_hi_u32 s6, s7, s6
	s_add_i32 s7, s7, s6
	s_mul_hi_u32 s6, s5, s7
	s_waitcnt lgkmcnt(0)
	s_mul_i32 s15, s6, s22
	s_sub_i32 s5, s5, s15
	s_add_i32 s7, s6, 1
	s_sub_i32 s15, s5, s22
	s_cmp_ge_u32 s5, s22
	s_cselect_b32 s6, s7, s6
	s_cselect_b32 s5, s15, s5
	s_add_i32 s7, s6, 1
	s_cmp_ge_u32 s5, s22
	s_cselect_b32 s6, s7, s6
.LBB37_3:
	s_add_i32 s5, s2, 1
	s_mul_hi_i32 s21, s11, s5
	s_mov_b32 s20, 0
	s_cmp_lg_u64 s[20:21], 0
	s_mul_i32 s5, s11, s5
	s_cbranch_scc0 .LBB37_21
; %bb.4:
	s_add_u32 s16, s22, 0
	s_addc_u32 s17, 0, 0
	s_xor_b64 s[18:19], s[16:17], 0
	v_cvt_f32_u32_e32 v1, s18
	v_cvt_f32_u32_e32 v2, s19
	s_sub_u32 s7, 0, s18
	s_waitcnt lgkmcnt(0)
	s_subb_u32 s15, 0, s19
	v_fmamk_f32 v1, v2, 0x4f800000, v1
	v_rcp_f32_e32 v1, v1
	s_nop 0
	v_mul_f32_e32 v1, 0x5f7ffffc, v1
	v_mul_f32_e32 v2, 0x2f800000, v1
	v_trunc_f32_e32 v2, v2
	v_fmamk_f32 v1, v2, 0xcf800000, v1
	v_cvt_u32_f32_e32 v2, v2
	v_cvt_u32_f32_e32 v1, v1
	v_readfirstlane_b32 s20, v2
	v_readfirstlane_b32 s23, v1
	s_mul_i32 s24, s7, s20
	s_mul_hi_u32 s26, s7, s23
	s_mul_i32 s25, s15, s23
	s_add_i32 s24, s26, s24
	s_add_i32 s24, s24, s25
	s_mul_i32 s27, s7, s23
	s_mul_i32 s26, s23, s24
	s_mul_hi_u32 s28, s23, s27
	s_mul_hi_u32 s25, s23, s24
	s_add_u32 s26, s28, s26
	s_addc_u32 s25, 0, s25
	s_mul_hi_u32 s29, s20, s27
	s_mul_i32 s27, s20, s27
	s_add_u32 s26, s26, s27
	s_mul_hi_u32 s28, s20, s24
	s_addc_u32 s25, s25, s29
	s_addc_u32 s26, s28, 0
	s_mul_i32 s24, s20, s24
	s_add_u32 s24, s25, s24
	s_addc_u32 s26, 0, s26
	s_add_u32 s23, s23, s24
	s_cselect_b64 s[24:25], -1, 0
	s_cmp_lg_u64 s[24:25], 0
	s_addc_u32 s20, s20, s26
	s_mul_i32 s24, s7, s20
	s_mul_hi_u32 s25, s7, s23
	s_add_i32 s24, s25, s24
	s_mul_i32 s15, s15, s23
	s_add_i32 s24, s24, s15
	s_mul_i32 s7, s7, s23
	s_mul_hi_u32 s25, s20, s7
	s_mul_i32 s26, s20, s7
	s_mul_i32 s28, s23, s24
	s_mul_hi_u32 s7, s23, s7
	s_mul_hi_u32 s27, s23, s24
	s_add_u32 s7, s7, s28
	s_addc_u32 s27, 0, s27
	s_add_u32 s7, s7, s26
	s_mul_hi_u32 s15, s20, s24
	s_addc_u32 s7, s27, s25
	s_addc_u32 s15, s15, 0
	s_mul_i32 s24, s20, s24
	s_add_u32 s7, s7, s24
	s_addc_u32 s15, 0, s15
	s_add_u32 s7, s23, s7
	s_cselect_b64 s[24:25], -1, 0
	s_cmp_lg_u64 s[24:25], 0
	s_addc_u32 s15, s20, s15
	s_ashr_i32 s24, s21, 31
	s_add_u32 s20, s5, s24
	s_mov_b32 s25, s24
	s_addc_u32 s21, s21, s24
	s_xor_b64 s[20:21], s[20:21], s[24:25]
	s_mul_i32 s26, s20, s15
	s_mul_hi_u32 s27, s20, s7
	s_mul_hi_u32 s23, s20, s15
	s_add_u32 s26, s27, s26
	s_addc_u32 s23, 0, s23
	s_mul_hi_u32 s28, s21, s7
	s_mul_i32 s7, s21, s7
	s_add_u32 s7, s26, s7
	s_mul_hi_u32 s27, s21, s15
	s_addc_u32 s7, s23, s28
	s_addc_u32 s23, s27, 0
	s_mul_i32 s15, s21, s15
	s_add_u32 s7, s7, s15
	s_addc_u32 s15, 0, s23
	s_mul_i32 s23, s18, s15
	s_mul_hi_u32 s26, s18, s7
	s_add_i32 s23, s26, s23
	s_mul_i32 s26, s19, s7
	s_add_i32 s23, s23, s26
	s_sub_i32 s28, s21, s23
	s_mul_i32 s26, s18, s7
	s_sub_u32 s20, s20, s26
	s_cselect_b64 s[26:27], -1, 0
	s_cmp_lg_u64 s[26:27], 0
	s_subb_u32 s30, s28, s19
	s_sub_u32 s31, s20, s18
	s_cselect_b64 s[28:29], -1, 0
	s_cmp_lg_u64 s[28:29], 0
	s_subb_u32 s28, s30, 0
	s_cmp_ge_u32 s28, s19
	s_cselect_b32 s29, -1, 0
	s_cmp_ge_u32 s31, s18
	s_cselect_b32 s30, -1, 0
	s_cmp_eq_u32 s28, s19
	s_cselect_b32 s28, s30, s29
	s_add_u32 s29, s7, 1
	s_addc_u32 s30, s15, 0
	s_add_u32 s31, s7, 2
	s_addc_u32 s33, s15, 0
	s_cmp_lg_u32 s28, 0
	s_cselect_b32 s28, s31, s29
	s_cselect_b32 s29, s33, s30
	s_cmp_lg_u64 s[26:27], 0
	s_subb_u32 s21, s21, s23
	s_cmp_ge_u32 s21, s19
	s_cselect_b32 s23, -1, 0
	s_cmp_ge_u32 s20, s18
	s_cselect_b32 s18, -1, 0
	s_cmp_eq_u32 s21, s19
	s_cselect_b32 s18, s18, s23
	s_cmp_lg_u32 s18, 0
	s_cselect_b32 s19, s29, s15
	s_cselect_b32 s18, s28, s7
	s_xor_b64 s[20:21], s[24:25], 0
	s_xor_b64 s[18:19], s[18:19], s[20:21]
	s_sub_u32 s18, s18, s20
	s_cbranch_execnz .LBB37_6
.LBB37_5:
	v_cvt_f32_u32_e32 v1, s22
	s_sub_i32 s7, 0, s22
	v_rcp_iflag_f32_e32 v1, v1
	s_nop 0
	v_mul_f32_e32 v1, 0x4f7ffffe, v1
	v_cvt_u32_f32_e32 v1, v1
	s_waitcnt lgkmcnt(0)
	v_readfirstlane_b32 s15, v1
	s_mul_i32 s7, s7, s15
	s_mul_hi_u32 s7, s15, s7
	s_add_i32 s15, s15, s7
	s_mul_hi_u32 s7, s5, s15
	s_mul_i32 s16, s7, s22
	s_sub_i32 s5, s5, s16
	s_add_i32 s15, s7, 1
	s_sub_i32 s16, s5, s22
	s_cmp_ge_u32 s5, s22
	s_cselect_b32 s7, s15, s7
	s_cselect_b32 s5, s16, s5
	s_add_i32 s15, s7, 1
	s_cmp_ge_u32 s5, s22
	s_cselect_b32 s18, s15, s7
.LBB37_6:
	s_cmp_eq_u32 s6, s18
	s_waitcnt lgkmcnt(0)
	s_mul_hi_u32 s5, s6, s12
	s_cselect_b64 s[16:17], -1, 0
	s_add_i32 s5, s5, s6
	s_lshr_b32 s7, s5, s13
	s_mul_i32 s5, s7, s14
	s_cmp_eq_u32 s5, s6
	s_mul_hi_u32 s5, s18, s12
	s_cselect_b64 s[20:21], -1, 0
	s_add_i32 s5, s5, s18
	s_lshr_b32 s5, s5, s13
	s_cmp_eq_u32 s7, s5
	s_mul_i32 s5, s5, s14
	s_cselect_b64 s[24:25], -1, 0
	s_cmp_lg_u32 s5, s18
	s_cselect_b64 s[18:19], -1, 0
	s_and_b64 s[18:19], s[24:25], s[18:19]
	s_or_b64 s[16:17], s[16:17], s[20:21]
	s_or_b64 s[16:17], s[16:17], s[18:19]
	s_and_b64 vcc, exec, s[16:17]
	s_cbranch_vccnz .LBB37_23
; %bb.7:
	s_load_dwordx8 s[24:31], s[0:1], 0x20
	s_load_dword s15, s[0:1], 0x40
	s_waitcnt lgkmcnt(0)
	s_mul_hi_u32 s5, s6, s24
	s_add_i32 s5, s5, s6
	s_lshr_b32 s5, s5, s25
	s_mul_i32 s16, s5, s26
	s_sub_i32 s16, s6, s16
	s_mul_hi_u32 s17, s16, s27
	s_add_i32 s17, s16, s17
	s_lshr_b32 s20, s17, s28
	s_mul_i32 s17, s20, s29
	s_sub_i32 s16, s16, s17
	;; [unrolled: 5-line block ×3, first 2 shown]
	s_mul_hi_u32 s16, s15, s12
	s_add_i32 s15, s15, s16
	s_lshr_b32 s23, s15, s13
	s_lshl_b32 s15, s23, 2
	s_lshl_b32 s21, s17, 2
	s_add_i32 s15, s15, s3
	s_cmp_lt_i32 s15, s8
	s_cselect_b64 s[16:17], -1, 0
	s_add_i32 s15, s21, s4
	s_cmp_lt_i32 s15, s10
	s_cselect_b64 s[18:19], -1, 0
	s_and_b64 s[16:17], s[16:17], s[18:19]
	s_andn2_b64 vcc, exec, s[16:17]
	s_cbranch_vccnz .LBB37_23
; %bb.8:
	s_load_dwordx4 s[16:19], s[0:1], 0x0
	s_mov_b32 s0, 0
	s_lshl_b32 s15, s3, 2
	s_lshl_b32 s24, s22, 6
	s_mov_b32 s25, s0
	s_add_i32 s15, s15, s4
	s_waitcnt lgkmcnt(0)
	v_mov_b32_e32 v2, s16
	v_mov_b32_e32 v3, s17
	s_lshl_b64 s[16:17], s[24:25], 2
	s_add_u32 s16, s18, s16
	s_mul_i32 s1, s5, s8
	s_addc_u32 s17, s19, s17
	s_add_i32 s1, s1, s3
	s_mul_i32 s1, s1, s9
	s_mul_i32 s20, s20, s10
	s_add_i32 s1, s1, s4
	s_add_i32 s1, s1, s20
	s_mul_i32 s5, s9, s23
	s_add_i32 s1, s1, s21
	s_lshl_b32 s5, s5, 11
	s_lshl_b32 s1, s1, 9
	s_add_i32 s5, s5, s1
	v_or_b32_e32 v4, s5, v0
	v_ashrrev_i32_e32 v5, 31, v4
	v_lshl_add_u64 v[2:3], v[4:5], 2, v[2:3]
	global_load_dword v1, v[2:3], off
	v_cvt_f32_u32_e32 v4, s22
	s_lshl_b32 s1, s2, 4
	s_add_i32 s4, s15, s1
	s_ashr_i32 s5, s4, 31
	s_lshl_b64 s[4:5], s[4:5], 3
	v_rcp_iflag_f32_e32 v4, v4
	s_add_u32 s4, s18, s4
	s_addc_u32 s5, s19, s5
	s_load_dwordx2 s[4:5], s[4:5], 0x0
	v_mul_f32_e32 v4, 0x4f7ffffe, v4
	v_cvt_u32_f32_e32 v7, v4
	s_add_i32 s24, s2, -1
	v_lshl_or_b32 v6, s15, 9, v0
	s_waitcnt lgkmcnt(0)
	v_mov_b32_e32 v0, s5
	v_mov_b32_e32 v9, s4
	s_mov_b32 s10, 0x3fb8aa3b
	s_mov_b32 s20, 0xc2ce8ed0
	;; [unrolled: 1-line block ×4, first 2 shown]
	v_mov_b32_e32 v8, 0x7f800000
	s_mul_hi_i32 s1, s24, s11
	s_cmp_lg_u64 s[0:1], 0
	s_mul_i32 s8, s24, s11
	s_cbranch_scc0 .LBB37_19
.LBB37_9:
	s_add_u32 s2, s22, 0
	s_addc_u32 s3, 0, 0
	s_xor_b64 s[2:3], s[2:3], 0
	v_cvt_f32_u32_e32 v4, s2
	v_cvt_f32_u32_e32 v5, s3
	s_sub_u32 s9, 0, s2
	s_subb_u32 s25, 0, s3
	v_fmac_f32_e32 v4, 0x4f800000, v5
	v_rcp_f32_e32 v4, v4
	s_nop 0
	v_mul_f32_e32 v4, 0x5f7ffffc, v4
	v_mul_f32_e32 v5, 0x2f800000, v4
	v_trunc_f32_e32 v5, v5
	v_fmac_f32_e32 v4, 0xcf800000, v5
	v_cvt_u32_f32_e32 v5, v5
	v_cvt_u32_f32_e32 v4, v4
	v_readfirstlane_b32 s26, v5
	v_readfirstlane_b32 s4, v4
	s_mul_i32 s5, s9, s26
	s_mul_hi_u32 s28, s9, s4
	s_mul_i32 s27, s25, s4
	s_add_i32 s5, s28, s5
	s_mul_i32 s29, s9, s4
	s_add_i32 s5, s5, s27
	s_mul_i32 s28, s4, s5
	s_mul_hi_u32 s30, s4, s29
	s_mul_hi_u32 s27, s4, s5
	s_add_u32 s28, s30, s28
	s_addc_u32 s27, 0, s27
	s_mul_hi_u32 s31, s26, s29
	s_mul_i32 s29, s26, s29
	s_add_u32 s28, s28, s29
	s_mul_hi_u32 s30, s26, s5
	s_addc_u32 s27, s27, s31
	s_addc_u32 s28, s30, 0
	s_mul_i32 s5, s26, s5
	s_add_u32 s5, s27, s5
	s_addc_u32 s27, 0, s28
	s_add_u32 s28, s4, s5
	s_cselect_b64 s[4:5], -1, 0
	s_cmp_lg_u64 s[4:5], 0
	s_addc_u32 s26, s26, s27
	s_mul_i32 s4, s9, s26
	s_mul_hi_u32 s5, s9, s28
	s_add_i32 s4, s5, s4
	s_mul_i32 s25, s25, s28
	s_add_i32 s4, s4, s25
	s_mul_i32 s9, s9, s28
	s_mul_hi_u32 s25, s26, s9
	s_mul_i32 s27, s26, s9
	s_mul_i32 s30, s28, s4
	s_mul_hi_u32 s9, s28, s9
	s_mul_hi_u32 s29, s28, s4
	s_add_u32 s9, s9, s30
	s_addc_u32 s29, 0, s29
	s_add_u32 s9, s9, s27
	s_mul_hi_u32 s5, s26, s4
	s_addc_u32 s9, s29, s25
	s_addc_u32 s5, s5, 0
	s_mul_i32 s4, s26, s4
	s_add_u32 s4, s9, s4
	s_addc_u32 s9, 0, s5
	s_add_u32 s25, s28, s4
	s_cselect_b64 s[4:5], -1, 0
	s_cmp_lg_u64 s[4:5], 0
	s_addc_u32 s9, s26, s9
	s_ashr_i32 s4, s1, 31
	s_add_u32 s26, s8, s4
	s_mov_b32 s5, s4
	s_addc_u32 s27, s1, s4
	s_xor_b64 s[26:27], s[26:27], s[4:5]
	s_mul_i32 s28, s26, s9
	s_mul_hi_u32 s29, s26, s25
	s_mul_hi_u32 s1, s26, s9
	s_add_u32 s28, s29, s28
	s_addc_u32 s1, 0, s1
	s_mul_hi_u32 s30, s27, s25
	s_mul_i32 s25, s27, s25
	s_add_u32 s25, s28, s25
	s_mul_hi_u32 s29, s27, s9
	s_addc_u32 s1, s1, s30
	s_addc_u32 s25, s29, 0
	s_mul_i32 s9, s27, s9
	s_add_u32 s1, s1, s9
	s_addc_u32 s9, 0, s25
	s_mul_i32 s25, s2, s9
	s_mul_hi_u32 s28, s2, s1
	s_add_i32 s25, s28, s25
	s_mul_i32 s28, s3, s1
	s_add_i32 s25, s25, s28
	s_sub_i32 s30, s27, s25
	s_mul_i32 s28, s2, s1
	s_sub_u32 s26, s26, s28
	s_cselect_b64 s[28:29], -1, 0
	s_cmp_lg_u64 s[28:29], 0
	s_subb_u32 s33, s30, s3
	s_sub_u32 s34, s26, s2
	s_cselect_b64 s[30:31], -1, 0
	s_cmp_lg_u64 s[30:31], 0
	s_subb_u32 s30, s33, 0
	s_cmp_ge_u32 s30, s3
	s_cselect_b32 s31, -1, 0
	s_cmp_ge_u32 s34, s2
	s_cselect_b32 s33, -1, 0
	s_cmp_eq_u32 s30, s3
	s_cselect_b32 s30, s33, s31
	s_add_u32 s31, s1, 1
	s_addc_u32 s33, s9, 0
	s_add_u32 s34, s1, 2
	s_addc_u32 s35, s9, 0
	s_cmp_lg_u32 s30, 0
	s_cselect_b32 s30, s34, s31
	s_cselect_b32 s31, s35, s33
	s_cmp_lg_u64 s[28:29], 0
	s_subb_u32 s25, s27, s25
	s_cmp_ge_u32 s25, s3
	s_cselect_b32 s27, -1, 0
	s_cmp_ge_u32 s26, s2
	s_cselect_b32 s2, -1, 0
	s_cmp_eq_u32 s25, s3
	s_cselect_b32 s2, s2, s27
	s_cmp_lg_u32 s2, 0
	s_cselect_b32 s3, s31, s9
	s_cselect_b32 s2, s30, s1
	s_xor_b64 s[4:5], s[4:5], 0
	s_xor_b64 s[2:3], s[2:3], s[4:5]
	s_sub_u32 s4, s2, s4
	s_cbranch_execnz .LBB37_11
.LBB37_10:
	s_sub_i32 s1, 0, s22
	v_readfirstlane_b32 s2, v7
	s_mul_i32 s1, s1, s2
	s_mul_hi_u32 s1, s2, s1
	s_add_i32 s2, s2, s1
	s_mul_hi_u32 s1, s8, s2
	s_mul_i32 s3, s1, s22
	s_sub_i32 s3, s8, s3
	s_add_i32 s2, s1, 1
	s_sub_i32 s4, s3, s22
	s_cmp_ge_u32 s3, s22
	s_cselect_b32 s1, s2, s1
	s_cselect_b32 s3, s4, s3
	s_add_i32 s2, s1, 1
	s_cmp_ge_u32 s3, s22
	s_cselect_b32 s4, s2, s1
.LBB37_11:
	s_cmp_lg_u32 s6, s4
	s_cbranch_scc0 .LBB37_15
; %bb.12:
	s_add_i32 s1, s24, s22
	s_lshl_b32 s1, s1, 4
	s_add_i32 s2, s1, s15
	s_mov_b32 s3, s0
	s_lshl_b64 s[2:3], s[2:3], 3
	s_add_u32 s8, s18, s2
	s_mul_hi_u32 s1, s4, s12
	s_addc_u32 s9, s19, s3
	s_add_i32 s1, s1, s4
	s_lshr_b32 s1, s1, s13
	s_mul_i32 s2, s1, s14
	s_cmp_eq_u32 s2, s4
	s_cselect_b64 s[2:3], -1, 0
	s_cmp_lt_u32 s1, s7
	s_cselect_b64 s[26:27], -1, 0
	s_or_b64 s[26:27], s[26:27], s[2:3]
	s_mov_b64 s[2:3], -1
	s_and_b64 vcc, exec, s[26:27]
	s_mov_b32 s1, s24
	s_mov_b32 s25, s6
	s_cbranch_vccnz .LBB37_14
; %bb.13:
	s_add_i32 s1, s24, -1
	s_mov_b64 s[2:3], 0
	s_mov_b32 s25, s4
.LBB37_14:
	v_lshl_add_u32 v4, s24, 13, v6
	v_ashrrev_i32_e32 v5, 31, v4
	v_lshl_add_u64 v[4:5], v[4:5], 2, s[16:17]
	global_load_dword v5, v[4:5], off
	s_load_dwordx2 s[4:5], s[8:9], 0x0
	v_max_f32_e32 v4, v9, v9
	s_waitcnt lgkmcnt(0)
	v_max_f32_e64 v10, s4, s4
	v_max_f32_e32 v10, v4, v10
	v_sub_f32_e32 v11, v9, v10
	v_sub_f32_e32 v13, s4, v10
	v_mul_f32_e32 v4, 0x3fb8aa3b, v11
	v_mul_f32_e32 v12, 0x3fb8aa3b, v13
	v_fma_f32 v14, v11, s10, -v4
	v_rndne_f32_e32 v15, v4
	v_fma_f32 v16, v13, s10, -v12
	v_rndne_f32_e32 v17, v12
	v_fmac_f32_e32 v14, 0x32a5705f, v11
	v_sub_f32_e32 v4, v4, v15
	v_fmac_f32_e32 v16, 0x32a5705f, v13
	v_sub_f32_e32 v12, v12, v17
	v_add_f32_e32 v4, v4, v14
	v_cvt_i32_f32_e32 v15, v15
	v_add_f32_e32 v12, v12, v16
	v_exp_f32_e32 v14, v4
	v_cvt_i32_f32_e32 v17, v17
	v_exp_f32_e32 v12, v12
	v_cmp_ngt_f32_e32 vcc, s20, v11
	v_ldexp_f32 v14, v14, v15
	v_mov_b32_e32 v4, s5
	v_ldexp_f32 v12, v12, v17
	v_cndmask_b32_e32 v14, 0, v14, vcc
	v_cmp_ngt_f32_e32 vcc, s20, v13
	s_nop 1
	v_cndmask_b32_e32 v12, 0, v12, vcc
	v_cmp_nlt_f32_e32 vcc, s21, v11
	s_nop 1
	v_cndmask_b32_e32 v14, v8, v14, vcc
	v_cmp_nlt_f32_e32 vcc, s21, v13
	s_nop 1
	v_cndmask_b32_e32 v15, v8, v12, vcc
	v_cmp_le_f32_e32 vcc, s23, v11
	s_nop 1
	v_cndmask_b32_e32 v12, 0, v14, vcc
	v_cmp_le_f32_e32 vcc, s23, v13
	s_nop 1
	v_cndmask_b32_e32 v14, 0, v15, vcc
	s_waitcnt vmcnt(0)
	v_pk_mul_f32 v[4:5], v[4:5], v[14:15] op_sel_hi:[1,0]
	s_nop 0
	v_pk_fma_f32 v[4:5], v[0:1], v[12:13], v[4:5] op_sel_hi:[1,0,1]
	s_cbranch_execz .LBB37_16
	s_branch .LBB37_17
.LBB37_15:
                                        ; implicit-def: $vgpr4_vgpr5
                                        ; implicit-def: $sgpr2_sgpr3
                                        ; implicit-def: $vgpr10
                                        ; implicit-def: $sgpr1
                                        ; implicit-def: $sgpr25
.LBB37_16:
	s_add_i32 s1, s24, -1
	s_mov_b64 s[2:3], 0
	s_mov_b32 s25, s6
	v_mov_b32_e32 v10, v9
	s_waitcnt vmcnt(0)
	v_mov_b64_e32 v[4:5], v[0:1]
.LBB37_17:
	s_andn2_b64 vcc, exec, s[2:3]
	s_cbranch_vccz .LBB37_22
; %bb.18:
	s_mov_b32 s6, s25
	s_mov_b32 s24, s1
	v_mov_b32_e32 v9, v10
	s_waitcnt vmcnt(0)
	v_mov_b64_e32 v[0:1], v[4:5]
	s_mul_hi_i32 s1, s24, s11
	s_cmp_lg_u64 s[0:1], 0
	s_mul_i32 s8, s24, s11
	s_cbranch_scc1 .LBB37_9
.LBB37_19:
                                        ; implicit-def: $sgpr4_sgpr5
	s_branch .LBB37_10
.LBB37_20:
                                        ; implicit-def: $sgpr6_sgpr7
	s_load_dwordx4 s[12:15], s[0:1], 0x44
	s_branch .LBB37_2
.LBB37_21:
                                        ; implicit-def: $sgpr18_sgpr19
	s_branch .LBB37_5
.LBB37_22:
	v_div_scale_f32 v0, s[0:1], v4, v4, v5
	s_waitcnt vmcnt(0)
	v_rcp_f32_e32 v1, v0
	v_div_scale_f32 v6, vcc, v5, v4, v5
	v_fma_f32 v7, -v0, v1, 1.0
	v_fmac_f32_e32 v1, v7, v1
	v_mul_f32_e32 v7, v6, v1
	v_fma_f32 v8, -v0, v7, v6
	v_fmac_f32_e32 v7, v8, v1
	v_fma_f32 v0, -v0, v7, v6
	v_div_fmas_f32 v0, v0, v1, v7
	v_div_fixup_f32 v0, v0, v4, v5
	global_store_dword v[2:3], v0, off
.LBB37_23:
	s_endpgm
	.section	.rodata,"a",@progbits
	.p2align	6, 0x0
	.amdhsa_kernel _ZL33flash_attn_stream_k_fixup_generalILi512ELi4ELi4EEvPfPK15HIP_vector_typeIfLj2EEiiiiS1_IjLj3EES5_S5_S5_
		.amdhsa_group_segment_fixed_size 0
		.amdhsa_private_segment_fixed_size 0
		.amdhsa_kernarg_size 336
		.amdhsa_user_sgpr_count 2
		.amdhsa_user_sgpr_dispatch_ptr 0
		.amdhsa_user_sgpr_queue_ptr 0
		.amdhsa_user_sgpr_kernarg_segment_ptr 1
		.amdhsa_user_sgpr_dispatch_id 0
		.amdhsa_user_sgpr_kernarg_preload_length 0
		.amdhsa_user_sgpr_kernarg_preload_offset 0
		.amdhsa_user_sgpr_private_segment_size 0
		.amdhsa_uses_dynamic_stack 0
		.amdhsa_enable_private_segment 0
		.amdhsa_system_sgpr_workgroup_id_x 1
		.amdhsa_system_sgpr_workgroup_id_y 1
		.amdhsa_system_sgpr_workgroup_id_z 1
		.amdhsa_system_sgpr_workgroup_info 0
		.amdhsa_system_vgpr_workitem_id 0
		.amdhsa_next_free_vgpr 18
		.amdhsa_next_free_sgpr 36
		.amdhsa_accum_offset 20
		.amdhsa_reserve_vcc 1
		.amdhsa_float_round_mode_32 0
		.amdhsa_float_round_mode_16_64 0
		.amdhsa_float_denorm_mode_32 3
		.amdhsa_float_denorm_mode_16_64 3
		.amdhsa_dx10_clamp 1
		.amdhsa_ieee_mode 1
		.amdhsa_fp16_overflow 0
		.amdhsa_tg_split 0
		.amdhsa_exception_fp_ieee_invalid_op 0
		.amdhsa_exception_fp_denorm_src 0
		.amdhsa_exception_fp_ieee_div_zero 0
		.amdhsa_exception_fp_ieee_overflow 0
		.amdhsa_exception_fp_ieee_underflow 0
		.amdhsa_exception_fp_ieee_inexact 0
		.amdhsa_exception_int_div_zero 0
	.end_amdhsa_kernel
	.section	.text._ZL33flash_attn_stream_k_fixup_generalILi512ELi4ELi4EEvPfPK15HIP_vector_typeIfLj2EEiiiiS1_IjLj3EES5_S5_S5_,"axG",@progbits,_ZL33flash_attn_stream_k_fixup_generalILi512ELi4ELi4EEvPfPK15HIP_vector_typeIfLj2EEiiiiS1_IjLj3EES5_S5_S5_,comdat
.Lfunc_end37:
	.size	_ZL33flash_attn_stream_k_fixup_generalILi512ELi4ELi4EEvPfPK15HIP_vector_typeIfLj2EEiiiiS1_IjLj3EES5_S5_S5_, .Lfunc_end37-_ZL33flash_attn_stream_k_fixup_generalILi512ELi4ELi4EEvPfPK15HIP_vector_typeIfLj2EEiiiiS1_IjLj3EES5_S5_S5_
                                        ; -- End function
	.set _ZL33flash_attn_stream_k_fixup_generalILi512ELi4ELi4EEvPfPK15HIP_vector_typeIfLj2EEiiiiS1_IjLj3EES5_S5_S5_.num_vgpr, 18
	.set _ZL33flash_attn_stream_k_fixup_generalILi512ELi4ELi4EEvPfPK15HIP_vector_typeIfLj2EEiiiiS1_IjLj3EES5_S5_S5_.num_agpr, 0
	.set _ZL33flash_attn_stream_k_fixup_generalILi512ELi4ELi4EEvPfPK15HIP_vector_typeIfLj2EEiiiiS1_IjLj3EES5_S5_S5_.numbered_sgpr, 36
	.set _ZL33flash_attn_stream_k_fixup_generalILi512ELi4ELi4EEvPfPK15HIP_vector_typeIfLj2EEiiiiS1_IjLj3EES5_S5_S5_.num_named_barrier, 0
	.set _ZL33flash_attn_stream_k_fixup_generalILi512ELi4ELi4EEvPfPK15HIP_vector_typeIfLj2EEiiiiS1_IjLj3EES5_S5_S5_.private_seg_size, 0
	.set _ZL33flash_attn_stream_k_fixup_generalILi512ELi4ELi4EEvPfPK15HIP_vector_typeIfLj2EEiiiiS1_IjLj3EES5_S5_S5_.uses_vcc, 1
	.set _ZL33flash_attn_stream_k_fixup_generalILi512ELi4ELi4EEvPfPK15HIP_vector_typeIfLj2EEiiiiS1_IjLj3EES5_S5_S5_.uses_flat_scratch, 0
	.set _ZL33flash_attn_stream_k_fixup_generalILi512ELi4ELi4EEvPfPK15HIP_vector_typeIfLj2EEiiiiS1_IjLj3EES5_S5_S5_.has_dyn_sized_stack, 0
	.set _ZL33flash_attn_stream_k_fixup_generalILi512ELi4ELi4EEvPfPK15HIP_vector_typeIfLj2EEiiiiS1_IjLj3EES5_S5_S5_.has_recursion, 0
	.set _ZL33flash_attn_stream_k_fixup_generalILi512ELi4ELi4EEvPfPK15HIP_vector_typeIfLj2EEiiiiS1_IjLj3EES5_S5_S5_.has_indirect_call, 0
	.section	.AMDGPU.csdata,"",@progbits
; Kernel info:
; codeLenInByte = 2940
; TotalNumSgprs: 42
; NumVgprs: 18
; NumAgprs: 0
; TotalNumVgprs: 18
; ScratchSize: 0
; MemoryBound: 0
; FloatMode: 240
; IeeeMode: 1
; LDSByteSize: 0 bytes/workgroup (compile time only)
; SGPRBlocks: 5
; VGPRBlocks: 2
; NumSGPRsForWavesPerEU: 42
; NumVGPRsForWavesPerEU: 18
; AccumOffset: 20
; Occupancy: 8
; WaveLimiterHint : 0
; COMPUTE_PGM_RSRC2:SCRATCH_EN: 0
; COMPUTE_PGM_RSRC2:USER_SGPR: 2
; COMPUTE_PGM_RSRC2:TRAP_HANDLER: 0
; COMPUTE_PGM_RSRC2:TGID_X_EN: 1
; COMPUTE_PGM_RSRC2:TGID_Y_EN: 1
; COMPUTE_PGM_RSRC2:TGID_Z_EN: 1
; COMPUTE_PGM_RSRC2:TIDIG_COMP_CNT: 0
; COMPUTE_PGM_RSRC3_GFX90A:ACCUM_OFFSET: 4
; COMPUTE_PGM_RSRC3_GFX90A:TG_SPLIT: 0
	.section	.text._ZL26flash_attn_combine_resultsILi512EEvPKfPK15HIP_vector_typeIfLj2EEPfi,"axG",@progbits,_ZL26flash_attn_combine_resultsILi512EEvPKfPK15HIP_vector_typeIfLj2EEPfi,comdat
	.globl	_ZL26flash_attn_combine_resultsILi512EEvPKfPK15HIP_vector_typeIfLj2EEPfi ; -- Begin function _ZL26flash_attn_combine_resultsILi512EEvPKfPK15HIP_vector_typeIfLj2EEPfi
	.p2align	8
	.type	_ZL26flash_attn_combine_resultsILi512EEvPKfPK15HIP_vector_typeIfLj2EEPfi,@function
_ZL26flash_attn_combine_resultsILi512EEvPKfPK15HIP_vector_typeIfLj2EEPfi: ; @_ZL26flash_attn_combine_resultsILi512EEvPKfPK15HIP_vector_typeIfLj2EEPfi
; %bb.0:
	s_load_dwordx2 s[6:7], s[0:1], 0x20
	s_load_dword s19, s[0:1], 0x18
	s_load_dwordx4 s[8:11], s[0:1], 0x0
	s_load_dwordx2 s[14:15], s[0:1], 0x10
	s_waitcnt lgkmcnt(0)
	s_mul_i32 s0, s6, s4
	s_add_i32 s0, s0, s2
	s_mul_i32 s18, s0, s7
	s_add_i32 s18, s18, s3
	s_lshl_b32 s20, s19, 1
	s_mul_i32 s2, s18, s19
	v_cmp_gt_i32_e32 vcc, s20, v0
	s_and_saveexec_b64 s[0:1], vcc
	s_cbranch_execz .LBB38_13
; %bb.1:
	v_xad_u32 v1, v0, -1, s20
	s_movk_i32 s4, 0x1ff
	s_ashr_i32 s3, s2, 31
	v_cmp_lt_u32_e32 vcc, s4, v1
	s_mov_b64 s[6:7], -1
	v_mov_b32_e32 v2, v0
	s_and_saveexec_b64 s[4:5], vcc
	s_cbranch_execz .LBB38_10
; %bb.2:
	v_lshrrev_b32_e32 v6, 9, v1
	s_lshl_b64 s[6:7], s[2:3], 3
	v_add_u32_e32 v2, -1, v6
	s_add_u32 s6, s10, s6
	v_or_b32_e32 v1, 0x200, v0
	v_lshrrev_b32_e32 v3, 1, v2
	s_addc_u32 s7, s11, s7
	s_mov_b32 s21, 0
	v_add_u32_e32 v7, 1, v3
	v_cmp_lt_u32_e32 vcc, 13, v2
	v_mov_b32_e32 v4, 0
	v_mov_b64_e32 v[2:3], v[0:1]
	s_and_saveexec_b64 s[12:13], vcc
	s_cbranch_execz .LBB38_6
; %bb.3:
	v_and_b32_e32 v8, -8, v7
	v_lshl_add_u32 v9, v0, 2, 0
	s_mov_b64 s[16:17], 0
	v_mov_b32_e32 v5, 0
	v_mov_b64_e32 v[2:3], v[0:1]
.LBB38_4:                               ; =>This Inner Loop Header: Depth=1
	v_mov_b32_e32 v4, v2
	v_lshl_add_u64 v[24:25], v[4:5], 2, s[6:7]
	v_mov_b32_e32 v4, v3
	v_add_u32_e32 v10, 0x400, v3
	v_mov_b32_e32 v11, v5
	v_lshl_add_u64 v[26:27], v[4:5], 2, s[6:7]
	v_add_u32_e32 v4, 0x400, v2
	v_lshl_add_u64 v[10:11], v[10:11], 2, s[6:7]
	global_load_dword v1, v[24:25], off
	v_lshl_add_u64 v[24:25], v[4:5], 2, s[6:7]
	v_add_u32_e32 v4, 0x800, v2
	global_load_dword v28, v[26:27], off
	global_load_dword v29, v[24:25], off
	;; [unrolled: 1-line block ×3, first 2 shown]
	v_lshl_add_u64 v[10:11], v[4:5], 2, s[6:7]
	v_add_u32_e32 v4, 0xc00, v2
	v_add_u32_e32 v12, 0x800, v3
	v_mov_b32_e32 v13, v5
	v_add_u32_e32 v14, 0xc00, v3
	v_mov_b32_e32 v15, v5
	v_lshl_add_u64 v[24:25], v[4:5], 2, s[6:7]
	v_add_u32_e32 v4, 0x1000, v2
	v_lshl_add_u64 v[12:13], v[12:13], 2, s[6:7]
	v_lshl_add_u64 v[14:15], v[14:15], 2, s[6:7]
	global_load_dword v26, v[10:11], off
	global_load_dword v27, v[12:13], off
	;; [unrolled: 1-line block ×4, first 2 shown]
	v_lshl_add_u64 v[10:11], v[4:5], 2, s[6:7]
	v_add_u32_e32 v4, 0x1400, v2
	v_add_u32_e32 v16, 0x1000, v3
	v_mov_b32_e32 v17, v5
	v_add_u32_e32 v18, 0x1400, v3
	v_mov_b32_e32 v19, v5
	v_lshl_add_u64 v[12:13], v[4:5], 2, s[6:7]
	v_add_u32_e32 v4, 0x1800, v2
	v_add_u32_e32 v20, 0x1800, v3
	v_mov_b32_e32 v21, v5
	v_add_u32_e32 v22, 0x1c00, v3
	v_mov_b32_e32 v23, v5
	v_lshl_add_u64 v[16:17], v[16:17], 2, s[6:7]
	v_lshl_add_u64 v[18:19], v[18:19], 2, s[6:7]
	global_load_dword v14, v[10:11], off
	global_load_dword v15, v[16:17], off
	;; [unrolled: 1-line block ×4, first 2 shown]
	v_lshl_add_u64 v[10:11], v[4:5], 2, s[6:7]
	v_add_u32_e32 v4, 0x1c00, v2
	v_lshl_add_u64 v[20:21], v[20:21], 2, s[6:7]
	v_lshl_add_u64 v[22:23], v[22:23], 2, s[6:7]
	;; [unrolled: 1-line block ×3, first 2 shown]
	global_load_dword v16, v[10:11], off
	global_load_dword v17, v[20:21], off
	;; [unrolled: 1-line block ×4, first 2 shown]
	v_add_u32_e32 v8, -8, v8
	s_add_i32 s21, s21, 16
	v_cmp_eq_u32_e32 vcc, 0, v8
	v_add_u32_e32 v3, 0x2000, v3
	v_mov_b32_e32 v4, s21
	s_or_b64 s[16:17], vcc, s[16:17]
	v_add_u32_e32 v2, 0x2000, v2
	s_waitcnt vmcnt(14)
	ds_write2st64_b32 v9, v1, v28 offset1:8
	s_waitcnt vmcnt(12)
	ds_write2st64_b32 v9, v29, v30 offset0:16 offset1:24
	s_waitcnt vmcnt(10)
	ds_write2st64_b32 v9, v26, v27 offset0:32 offset1:40
	;; [unrolled: 2-line block ×7, first 2 shown]
	v_add_u32_e32 v9, 0x8000, v9
	s_andn2_b64 exec, exec, s[16:17]
	s_cbranch_execnz .LBB38_4
; %bb.5:
	s_or_b64 exec, exec, s[16:17]
.LBB38_6:
	s_or_b64 exec, exec, s[12:13]
	v_and_b32_e32 v1, 7, v7
	v_cmp_ne_u32_e32 vcc, 0, v1
	s_and_saveexec_b64 s[12:13], vcc
	s_cbranch_execz .LBB38_9
; %bb.7:
	v_lshlrev_b32_e32 v5, 2, v0
	v_lshl_or_b32 v4, v4, 11, v5
	v_add_u32_e32 v7, 0, v4
	s_mov_b64 s[16:17], 0
	v_mov_b32_e32 v5, 0
.LBB38_8:                               ; =>This Inner Loop Header: Depth=1
	v_mov_b32_e32 v4, v2
	v_lshl_add_u64 v[8:9], v[4:5], 2, s[6:7]
	v_mov_b32_e32 v4, v3
	v_lshl_add_u64 v[10:11], v[4:5], 2, s[6:7]
	global_load_dword v4, v[8:9], off
	global_load_dword v12, v[10:11], off
	v_add_u32_e32 v1, -1, v1
	v_cmp_eq_u32_e32 vcc, 0, v1
	v_add_u32_e32 v2, 0x400, v2
	v_add_u32_e32 v3, 0x400, v3
	s_or_b64 s[16:17], vcc, s[16:17]
	s_waitcnt vmcnt(0)
	ds_write2st64_b32 v7, v4, v12 offset1:8
	v_add_u32_e32 v7, 0x1000, v7
	s_andn2_b64 exec, exec, s[16:17]
	s_cbranch_execnz .LBB38_8
.LBB38_9:
	s_or_b64 exec, exec, s[12:13]
	v_add_u32_e32 v1, 1, v6
	v_and_b32_e32 v3, 0xfffffe, v1
	v_cmp_ne_u32_e32 vcc, v1, v3
	v_lshl_or_b32 v2, v3, 9, v0
	s_orn2_b64 s[6:7], vcc, exec
.LBB38_10:
	s_or_b64 exec, exec, s[4:5]
	s_and_b64 exec, exec, s[6:7]
	s_cbranch_execz .LBB38_13
; %bb.11:
	s_lshl_b64 s[4:5], s[2:3], 3
	s_add_u32 s4, s10, s4
	v_mov_b32_e32 v3, 0
	s_addc_u32 s5, s11, s5
	v_lshl_add_u64 v[4:5], v[2:3], 2, s[4:5]
	v_lshl_add_u32 v1, v2, 2, 0
	s_mov_b64 s[4:5], 0
	s_mov_b64 s[6:7], 0x800
.LBB38_12:                              ; =>This Inner Loop Header: Depth=1
	global_load_dword v3, v[4:5], off
	v_add_u32_e32 v2, 0x200, v2
	v_cmp_le_i32_e32 vcc, s20, v2
	v_lshl_add_u64 v[4:5], v[4:5], 0, s[6:7]
	s_or_b64 s[4:5], vcc, s[4:5]
	s_waitcnt vmcnt(0)
	ds_write_b32 v1, v3
	v_add_u32_e32 v1, 0x800, v1
	s_andn2_b64 exec, exec, s[4:5]
	s_cbranch_execnz .LBB38_12
.LBB38_13:
	s_or_b64 exec, exec, s[0:1]
	v_mov_b32_e32 v1, 0
	s_waitcnt lgkmcnt(0)
	s_barrier
	ds_read_b32 v1, v1
	s_cmp_lt_i32 s19, 2
	s_cbranch_scc1 .LBB38_21
; %bb.14:
	s_cmp_eq_u32 s19, 2
	s_cbranch_scc1 .LBB38_18
; %bb.15:
	s_add_i32 s3, s19, -1
	s_and_b32 s4, s3, -2
	s_add_i32 s6, 0, 8
	s_mov_b32 s5, 2
	s_waitcnt lgkmcnt(0)
	v_mov_b32_e32 v4, v1
.LBB38_16:                              ; =>This Inner Loop Header: Depth=1
	v_mov_b32_e32 v2, v1
	v_mov_b32_e32 v1, s6
	;; [unrolled: 1-line block ×3, first 2 shown]
	ds_read2_b32 v[4:5], v1 offset1:2
	s_cmp_lg_u32 s4, s5
	s_cselect_b64 s[10:11], -1, 0
	v_max_f32_e32 v1, v3, v3
	v_max_f32_e32 v6, v2, v2
	s_waitcnt lgkmcnt(0)
	v_cmp_u_f32_e32 vcc, v5, v5
	v_max_f32_e32 v7, v5, v5
	v_max_f32_e32 v8, v4, v4
	v_cndmask_b32_e64 v5, 0, 1, vcc
	v_cmp_u_f32_e32 vcc, v4, v4
	v_readfirstlane_b32 s0, v5
	s_lshl_b32 s0, s0, 1
	v_cndmask_b32_e64 v9, 0, 1, vcc
	v_max_f32_e32 v4, v1, v7
	v_readfirstlane_b32 s1, v9
	s_or_b32 s0, s1, s0
	s_and_b32 s7, s0, 3
	s_cmp_lg_u32 s7, 0
	s_cselect_b64 s[0:1], -1, 0
	s_cmp_eq_u32 s7, 0
	s_cselect_b64 s[12:13], -1, 0
	s_and_b64 s[10:11], s[12:13], s[10:11]
	v_max_f32_e32 v1, v6, v8
	s_add_i32 s5, s5, 2
	s_add_i32 s6, s6, 16
	s_and_b64 vcc, exec, s[10:11]
	s_cbranch_vccnz .LBB38_16
; %bb.17:
	s_add_i32 s5, s5, -4
	s_and_b64 s[6:7], s[0:1], exec
	s_cselect_b32 s5, s5, s3
	s_or_b32 s5, s5, 1
	v_cndmask_b32_e64 v1, v1, v2, s[0:1]
	v_cndmask_b32_e64 v2, v4, v3, s[0:1]
	s_cmp_lg_u32 s3, s4
	v_max_f32_e32 v2, v2, v2
	v_max_f32_e32 v1, v1, v1
	s_cselect_b64 s[6:7], -1, 0
	v_max_f32_e32 v1, v1, v2
	s_or_b64 s[0:1], s[6:7], s[0:1]
	s_and_b64 vcc, exec, s[0:1]
	s_cbranch_vccnz .LBB38_19
	s_branch .LBB38_21
.LBB38_18:
	s_mov_b32 s5, 1
	s_cbranch_execz .LBB38_21
.LBB38_19:
	s_lshl_b32 s1, s5, 3
	s_sub_i32 s0, s19, s5
	s_add_i32 s1, s1, 0
.LBB38_20:                              ; =>This Inner Loop Header: Depth=1
	v_mov_b32_e32 v2, s1
	ds_read_b32 v2, v2
	s_waitcnt lgkmcnt(1)
	v_max_f32_e32 v1, v1, v1
	s_add_i32 s0, s0, -1
	s_add_i32 s1, s1, 8
	s_cmp_eq_u32 s0, 0
	s_waitcnt lgkmcnt(0)
	v_max_f32_e32 v2, v2, v2
	v_max_f32_e32 v1, v1, v2
	s_cbranch_scc0 .LBB38_20
.LBB38_21:
	s_cmp_lt_i32 s19, 1
	s_cbranch_scc1 .LBB38_26
; %bb.22:
	s_lshl_b32 s0, s2, 9
	s_ashr_i32 s1, s0, 31
	s_lshl_b64 s[0:1], s[0:1], 2
	s_add_u32 s16, s8, s0
	s_addc_u32 s17, s9, s1
	s_cmp_lt_u32 s19, 8
	s_cbranch_scc1 .LBB38_27
; %bb.23:
	v_mov_b32_e32 v7, 0
	s_and_b32 s20, s19, 0x7ffffff8
	v_or_b32_e32 v4, 0xe00, v0
	s_mov_b32 s21, 0
	s_mov_b32 s22, 0x3fb8aa3b
	;; [unrolled: 1-line block ×4, first 2 shown]
	v_mov_b32_e32 v8, 0x7f800000
	s_mov_b32 s25, 0
	v_mov_b32_e32 v2, v7
	v_mov_b32_e32 v3, v7
.LBB38_24:                              ; =>This Inner Loop Header: Depth=1
	v_add_u32_e32 v6, 0xfffff200, v4
	v_lshl_add_u64 v[26:27], v[6:7], 2, s[16:17]
	v_add_u32_e32 v6, 0xfffff400, v4
	v_mov_b32_e32 v9, s21
	v_lshl_add_u64 v[30:31], v[6:7], 2, s[16:17]
	v_add_u32_e32 v6, 0xfffff600, v4
	ds_read2_b64 v[10:13], v9 offset1:1
	ds_read2_b64 v[14:17], v9 offset0:2 offset1:3
	ds_read2_b64 v[18:21], v9 offset0:4 offset1:5
	;; [unrolled: 1-line block ×3, first 2 shown]
	global_load_dword v33, v[26:27], off
	global_load_dword v35, v[30:31], off
	v_lshl_add_u64 v[26:27], v[6:7], 2, s[16:17]
	v_add_u32_e32 v6, 0xfffff800, v4
	v_lshl_add_u64 v[30:31], v[6:7], 2, s[16:17]
	v_add_u32_e32 v6, 0xfffffa00, v4
	global_load_dword v37, v[26:27], off
	global_load_dword v39, v[30:31], off
	v_lshl_add_u64 v[26:27], v[6:7], 2, s[16:17]
	v_add_u32_e32 v6, 0xfffffc00, v4
	s_waitcnt lgkmcnt(3)
	v_mov_b32_e32 v32, v11
	v_sub_f32_e32 v9, v12, v1
	v_mov_b32_e32 v34, v13
	global_load_dword v11, v[26:27], off
	v_lshl_add_u64 v[12:13], v[6:7], 2, s[16:17]
	s_waitcnt lgkmcnt(2)
	v_mov_b32_e32 v36, v15
	v_add_u32_e32 v6, 0xfffffe00, v4
	global_load_dword v15, v[12:13], off
	v_mov_b32_e32 v5, v7
	v_lshl_add_u64 v[12:13], v[6:7], 2, s[16:17]
	v_lshl_add_u64 v[28:29], v[4:5], 2, s[16:17]
	v_sub_f32_e32 v5, v10, v1
	v_mov_b32_e32 v38, v17
	s_waitcnt lgkmcnt(1)
	v_mov_b32_e32 v10, v19
	global_load_dword v17, v[12:13], off
	global_load_dword v19, v[28:29], off
	v_sub_f32_e32 v30, v14, v1
	v_sub_f32_e32 v31, v16, v1
	;; [unrolled: 1-line block ×3, first 2 shown]
	v_mov_b32_e32 v14, v21
	s_waitcnt lgkmcnt(0)
	v_sub_f32_e32 v21, v22, v1
	v_mov_b32_e32 v16, v23
	v_sub_f32_e32 v22, v24, v1
	v_mul_f32_e32 v23, 0x3fb8aa3b, v5
	v_mov_b32_e32 v18, v25
	v_mul_f32_e32 v24, 0x3fb8aa3b, v9
	v_mul_f32_e32 v25, 0x3fb8aa3b, v30
	;; [unrolled: 1-line block ×5, first 2 shown]
	v_fma_f32 v43, v5, s22, -v23
	v_rndne_f32_e32 v44, v23
	v_sub_f32_e32 v20, v20, v1
	v_fma_f32 v45, v9, s22, -v24
	v_rndne_f32_e32 v46, v24
	v_fma_f32 v47, v30, s22, -v25
	v_rndne_f32_e32 v48, v25
	;; [unrolled: 2-line block ×5, first 2 shown]
	v_fmac_f32_e32 v43, 0x32a5705f, v5
	v_sub_f32_e32 v12, v23, v44
	v_mul_f32_e32 v26, 0x3fb8aa3b, v31
	v_mul_f32_e32 v41, 0x3fb8aa3b, v20
	v_fmac_f32_e32 v45, 0x32a5705f, v9
	v_sub_f32_e32 v23, v24, v46
	v_fmac_f32_e32 v47, 0x32a5705f, v30
	v_sub_f32_e32 v25, v25, v48
	;; [unrolled: 2-line block ×5, first 2 shown]
	v_add_f32_e32 v12, v12, v43
	v_fma_f32 v49, v31, s22, -v26
	v_rndne_f32_e32 v50, v26
	v_fma_f32 v53, v20, s22, -v41
	v_rndne_f32_e32 v54, v41
	v_cvt_i32_f32_e32 v13, v44
	v_add_f32_e32 v23, v23, v45
	v_add_f32_e32 v25, v25, v47
	;; [unrolled: 1-line block ×5, first 2 shown]
	v_exp_f32_e32 v12, v12
	v_cvt_i32_f32_e32 v24, v46
	v_cvt_i32_f32_e32 v28, v48
	v_fmac_f32_e32 v49, 0x32a5705f, v31
	v_sub_f32_e32 v26, v26, v50
	v_cvt_i32_f32_e32 v29, v50
	v_cvt_i32_f32_e32 v44, v52
	v_fmac_f32_e32 v53, 0x32a5705f, v20
	v_sub_f32_e32 v41, v41, v54
	v_cvt_i32_f32_e32 v48, v56
	v_cvt_i32_f32_e32 v50, v58
	v_exp_f32_e32 v23, v23
	v_exp_f32_e32 v25, v25
	;; [unrolled: 1-line block ×5, first 2 shown]
	v_add_f32_e32 v26, v26, v49
	v_add_f32_e32 v41, v41, v53
	v_cvt_i32_f32_e32 v46, v54
	v_exp_f32_e32 v26, v26
	v_exp_f32_e32 v41, v41
	v_ldexp_f32 v12, v12, v13
	v_cmp_ngt_f32_e64 s[12:13], s23, v5
	v_ldexp_f32 v13, v23, v24
	v_cmp_ngt_f32_e32 vcc, s23, v9
	v_ldexp_f32 v23, v25, v28
	v_ldexp_f32 v25, v27, v44
	;; [unrolled: 1-line block ×3, first 2 shown]
	v_cmp_ngt_f32_e64 s[8:9], s23, v21
	v_ldexp_f32 v6, v6, v50
	v_cmp_ngt_f32_e64 s[10:11], s23, v22
	v_cndmask_b32_e64 v12, 0, v12, s[12:13]
	v_cmp_nlt_f32_e64 s[12:13], s24, v5
	v_cmp_ngt_f32_e64 s[0:1], s23, v30
	v_cndmask_b32_e32 v13, 0, v13, vcc
	v_cmp_nlt_f32_e32 vcc, s24, v9
	v_cndmask_b32_e64 v27, 0, v27, s[8:9]
	v_cmp_nlt_f32_e64 s[8:9], s24, v21
	v_cndmask_b32_e64 v21, 0, v6, s[10:11]
	v_cndmask_b32_e64 v6, v8, v12, s[12:13]
	v_ldexp_f32 v24, v26, v29
	v_cmp_ngt_f32_e64 s[2:3], s23, v31
	v_cmp_ngt_f32_e64 s[4:5], s23, v40
	v_ldexp_f32 v26, v41, v46
	v_cmp_ngt_f32_e64 s[6:7], s23, v20
	v_cndmask_b32_e64 v9, 0, v23, s[0:1]
	v_cmp_nlt_f32_e64 s[0:1], s24, v30
	v_cndmask_b32_e32 v12, v8, v13, vcc
	s_waitcnt vmcnt(7)
	v_pk_fma_f32 v[2:3], v[6:7], v[32:33], v[2:3] op_sel_hi:[0,1,1]
	v_cndmask_b32_e64 v23, 0, v24, s[2:3]
	v_cmp_nlt_f32_e64 s[2:3], s24, v31
	v_cndmask_b32_e64 v24, 0, v25, s[4:5]
	v_cndmask_b32_e64 v25, 0, v26, s[6:7]
	v_cmp_nlt_f32_e64 s[6:7], s24, v20
	v_cndmask_b32_e64 v20, v8, v9, s[0:1]
	s_waitcnt vmcnt(6)
	v_pk_fma_f32 v[2:3], v[12:13], v[34:35], v[2:3] op_sel_hi:[0,1,1]
	v_cmp_nlt_f32_e64 s[4:5], s24, v40
	v_cmp_nlt_f32_e64 s[10:11], s24, v22
	v_cndmask_b32_e64 v22, v8, v23, s[2:3]
	s_waitcnt vmcnt(5)
	v_pk_fma_f32 v[2:3], v[20:21], v[36:37], v[2:3] op_sel_hi:[0,1,1]
	v_cndmask_b32_e64 v24, v8, v24, s[4:5]
	s_waitcnt vmcnt(4)
	v_pk_fma_f32 v[2:3], v[22:23], v[38:39], v[2:3] op_sel_hi:[0,1,1]
	;; [unrolled: 3-line block ×4, first 2 shown]
	s_add_i32 s25, s25, 8
	s_add_i32 s21, s21, 64
	v_cndmask_b32_e64 v30, v8, v21, s[10:11]
	s_waitcnt vmcnt(1)
	v_pk_fma_f32 v[2:3], v[28:29], v[16:17], v[2:3] op_sel_hi:[0,1,1]
	s_cmp_eq_u32 s20, s25
	v_add_u32_e32 v4, 0x1000, v4
	s_waitcnt vmcnt(0)
	v_pk_fma_f32 v[2:3], v[30:31], v[18:19], v[2:3] op_sel_hi:[0,1,1]
	s_cbranch_scc0 .LBB38_24
; %bb.25:
	s_and_b32 s0, s19, 7
	s_cmp_eq_u32 s0, 0
	s_cbranch_scc0 .LBB38_28
	s_branch .LBB38_30
.LBB38_26:
	s_waitcnt lgkmcnt(0)
	v_mov_b32_e32 v1, 0x7fc00000
	s_branch .LBB38_31
.LBB38_27:
	v_mov_b32_e32 v2, 0
	s_mov_b32 s20, 0
	v_mov_b32_e32 v3, v2
	s_and_b32 s0, s19, 7
	s_cmp_eq_u32 s0, 0
	s_cbranch_scc1 .LBB38_30
.LBB38_28:
	s_lshl_b32 s1, s20, 3
	v_lshl_or_b32 v4, s20, 9, v0
	s_add_i32 s1, s1, 0
	s_mov_b32 s2, 0x3fb8aa3b
	s_mov_b32 s3, 0xc2ce8ed0
	;; [unrolled: 1-line block ×3, first 2 shown]
	v_mov_b32_e32 v6, 0x7f800000
	v_mov_b32_e32 v5, 0
.LBB38_29:                              ; =>This Inner Loop Header: Depth=1
	v_lshl_add_u64 v[8:9], v[4:5], 2, s[16:17]
	global_load_dword v9, v[8:9], off
	v_mov_b32_e32 v7, s1
	ds_read_b64 v[10:11], v7
	s_add_i32 s1, s1, 8
	s_add_i32 s0, s0, -1
	v_add_u32_e32 v4, 0x200, v4
	s_cmp_lg_u32 s0, 0
	s_waitcnt lgkmcnt(0)
	v_sub_f32_e32 v7, v10, v1
	v_mul_f32_e32 v8, 0x3fb8aa3b, v7
	v_fma_f32 v10, v7, s2, -v8
	v_rndne_f32_e32 v12, v8
	v_fmac_f32_e32 v10, 0x32a5705f, v7
	v_sub_f32_e32 v8, v8, v12
	v_add_f32_e32 v8, v8, v10
	v_cvt_i32_f32_e32 v12, v12
	v_exp_f32_e32 v10, v8
	v_cmp_ngt_f32_e32 vcc, s3, v7
	v_mov_b32_e32 v8, v11
	v_ldexp_f32 v10, v10, v12
	v_cndmask_b32_e32 v10, 0, v10, vcc
	v_cmp_nlt_f32_e32 vcc, s4, v7
	s_nop 1
	v_cndmask_b32_e32 v10, v6, v10, vcc
	s_waitcnt vmcnt(0)
	v_pk_fma_f32 v[2:3], v[10:11], v[8:9], v[2:3] op_sel_hi:[0,1,1]
	s_cbranch_scc1 .LBB38_29
.LBB38_30:
	s_waitcnt lgkmcnt(0)
	v_div_scale_f32 v1, s[0:1], v2, v2, v3
	v_rcp_f32_e32 v4, v1
	v_div_scale_f32 v5, vcc, v3, v2, v3
	v_fma_f32 v6, -v1, v4, 1.0
	v_fmac_f32_e32 v4, v6, v4
	v_mul_f32_e32 v6, v5, v4
	v_fma_f32 v7, -v1, v6, v5
	v_fmac_f32_e32 v6, v7, v4
	v_fma_f32 v1, -v1, v6, v5
	v_div_fmas_f32 v1, v1, v4, v6
	v_div_fixup_f32 v1, v1, v2, v3
.LBB38_31:
	s_lshl_b32 s0, s18, 9
	s_ashr_i32 s1, s0, 31
	s_lshl_b64 s[0:1], s[0:1], 2
	s_add_u32 s0, s14, s0
	s_addc_u32 s1, s15, s1
	v_lshlrev_b32_e32 v0, 2, v0
	global_store_dword v0, v1, s[0:1]
	s_endpgm
	.section	.rodata,"a",@progbits
	.p2align	6, 0x0
	.amdhsa_kernel _ZL26flash_attn_combine_resultsILi512EEvPKfPK15HIP_vector_typeIfLj2EEPfi
		.amdhsa_group_segment_fixed_size 0
		.amdhsa_private_segment_fixed_size 0
		.amdhsa_kernarg_size 288
		.amdhsa_user_sgpr_count 2
		.amdhsa_user_sgpr_dispatch_ptr 0
		.amdhsa_user_sgpr_queue_ptr 0
		.amdhsa_user_sgpr_kernarg_segment_ptr 1
		.amdhsa_user_sgpr_dispatch_id 0
		.amdhsa_user_sgpr_kernarg_preload_length 0
		.amdhsa_user_sgpr_kernarg_preload_offset 0
		.amdhsa_user_sgpr_private_segment_size 0
		.amdhsa_uses_dynamic_stack 0
		.amdhsa_enable_private_segment 0
		.amdhsa_system_sgpr_workgroup_id_x 1
		.amdhsa_system_sgpr_workgroup_id_y 1
		.amdhsa_system_sgpr_workgroup_id_z 1
		.amdhsa_system_sgpr_workgroup_info 0
		.amdhsa_system_vgpr_workitem_id 0
		.amdhsa_next_free_vgpr 59
		.amdhsa_next_free_sgpr 26
		.amdhsa_accum_offset 60
		.amdhsa_reserve_vcc 1
		.amdhsa_float_round_mode_32 0
		.amdhsa_float_round_mode_16_64 0
		.amdhsa_float_denorm_mode_32 3
		.amdhsa_float_denorm_mode_16_64 3
		.amdhsa_dx10_clamp 1
		.amdhsa_ieee_mode 1
		.amdhsa_fp16_overflow 0
		.amdhsa_tg_split 0
		.amdhsa_exception_fp_ieee_invalid_op 0
		.amdhsa_exception_fp_denorm_src 0
		.amdhsa_exception_fp_ieee_div_zero 0
		.amdhsa_exception_fp_ieee_overflow 0
		.amdhsa_exception_fp_ieee_underflow 0
		.amdhsa_exception_fp_ieee_inexact 0
		.amdhsa_exception_int_div_zero 0
	.end_amdhsa_kernel
	.section	.text._ZL26flash_attn_combine_resultsILi512EEvPKfPK15HIP_vector_typeIfLj2EEPfi,"axG",@progbits,_ZL26flash_attn_combine_resultsILi512EEvPKfPK15HIP_vector_typeIfLj2EEPfi,comdat
.Lfunc_end38:
	.size	_ZL26flash_attn_combine_resultsILi512EEvPKfPK15HIP_vector_typeIfLj2EEPfi, .Lfunc_end38-_ZL26flash_attn_combine_resultsILi512EEvPKfPK15HIP_vector_typeIfLj2EEPfi
                                        ; -- End function
	.set _ZL26flash_attn_combine_resultsILi512EEvPKfPK15HIP_vector_typeIfLj2EEPfi.num_vgpr, 59
	.set _ZL26flash_attn_combine_resultsILi512EEvPKfPK15HIP_vector_typeIfLj2EEPfi.num_agpr, 0
	.set _ZL26flash_attn_combine_resultsILi512EEvPKfPK15HIP_vector_typeIfLj2EEPfi.numbered_sgpr, 26
	.set _ZL26flash_attn_combine_resultsILi512EEvPKfPK15HIP_vector_typeIfLj2EEPfi.num_named_barrier, 0
	.set _ZL26flash_attn_combine_resultsILi512EEvPKfPK15HIP_vector_typeIfLj2EEPfi.private_seg_size, 0
	.set _ZL26flash_attn_combine_resultsILi512EEvPKfPK15HIP_vector_typeIfLj2EEPfi.uses_vcc, 1
	.set _ZL26flash_attn_combine_resultsILi512EEvPKfPK15HIP_vector_typeIfLj2EEPfi.uses_flat_scratch, 0
	.set _ZL26flash_attn_combine_resultsILi512EEvPKfPK15HIP_vector_typeIfLj2EEPfi.has_dyn_sized_stack, 0
	.set _ZL26flash_attn_combine_resultsILi512EEvPKfPK15HIP_vector_typeIfLj2EEPfi.has_recursion, 0
	.set _ZL26flash_attn_combine_resultsILi512EEvPKfPK15HIP_vector_typeIfLj2EEPfi.has_indirect_call, 0
	.section	.AMDGPU.csdata,"",@progbits
; Kernel info:
; codeLenInByte = 2924
; TotalNumSgprs: 32
; NumVgprs: 59
; NumAgprs: 0
; TotalNumVgprs: 59
; ScratchSize: 0
; MemoryBound: 0
; FloatMode: 240
; IeeeMode: 1
; LDSByteSize: 0 bytes/workgroup (compile time only)
; SGPRBlocks: 3
; VGPRBlocks: 7
; NumSGPRsForWavesPerEU: 32
; NumVGPRsForWavesPerEU: 59
; AccumOffset: 60
; Occupancy: 8
; WaveLimiterHint : 0
; COMPUTE_PGM_RSRC2:SCRATCH_EN: 0
; COMPUTE_PGM_RSRC2:USER_SGPR: 2
; COMPUTE_PGM_RSRC2:TRAP_HANDLER: 0
; COMPUTE_PGM_RSRC2:TGID_X_EN: 1
; COMPUTE_PGM_RSRC2:TGID_Y_EN: 1
; COMPUTE_PGM_RSRC2:TGID_Z_EN: 1
; COMPUTE_PGM_RSRC2:TIDIG_COMP_CNT: 0
; COMPUTE_PGM_RSRC3_GFX90A:ACCUM_OFFSET: 14
; COMPUTE_PGM_RSRC3_GFX90A:TG_SPLIT: 0
	.section	.text._ZL18flash_attn_ext_f16ILi576ELi512ELi4ELi4ELb0ELb1EEvPKcS1_S1_S1_S1_PKiPfP15HIP_vector_typeIfLj2EEffffjfiS5_IjLj3EEiiiiiiiiiiiliiliiiiil,"axG",@progbits,_ZL18flash_attn_ext_f16ILi576ELi512ELi4ELi4ELb0ELb1EEvPKcS1_S1_S1_S1_PKiPfP15HIP_vector_typeIfLj2EEffffjfiS5_IjLj3EEiiiiiiiiiiiliiliiiiil,comdat
	.globl	_ZL18flash_attn_ext_f16ILi576ELi512ELi4ELi4ELb0ELb1EEvPKcS1_S1_S1_S1_PKiPfP15HIP_vector_typeIfLj2EEffffjfiS5_IjLj3EEiiiiiiiiiiiliiliiiiil ; -- Begin function _ZL18flash_attn_ext_f16ILi576ELi512ELi4ELi4ELb0ELb1EEvPKcS1_S1_S1_S1_PKiPfP15HIP_vector_typeIfLj2EEffffjfiS5_IjLj3EEiiiiiiiiiiiliiliiiiil
	.p2align	8
	.type	_ZL18flash_attn_ext_f16ILi576ELi512ELi4ELi4ELb0ELb1EEvPKcS1_S1_S1_S1_PKiPfP15HIP_vector_typeIfLj2EEffffjfiS5_IjLj3EEiiiiiiiiiiiliiliiiiil,@function
_ZL18flash_attn_ext_f16ILi576ELi512ELi4ELi4ELb0ELb1EEvPKcS1_S1_S1_S1_PKiPfP15HIP_vector_typeIfLj2EEffffjfiS5_IjLj3EEiiiiiiiiiiiliiliiiiil: ; @_ZL18flash_attn_ext_f16ILi576ELi512ELi4ELi4ELb0ELb1EEvPKcS1_S1_S1_S1_PKiPfP15HIP_vector_typeIfLj2EEffffjfiS5_IjLj3EEiiiiiiiiiiiliiliiiiil
; %bb.0:
	s_add_u32 s8, s0, 0xd0
	s_addc_u32 s9, s1, 0
	s_getpc_b64 s[0:1]
	s_add_u32 s0, s0, _ZL14no_device_codePKciS0_iS0_@rel32@lo+4
	s_addc_u32 s1, s1, _ZL14no_device_codePKciS0_iS0_@rel32@hi+12
	v_mov_b32_e32 v0, 0x6ea
	s_mov_b32 s32, 0
	s_swappc_b64 s[30:31], s[0:1]
	.section	.rodata,"a",@progbits
	.p2align	6, 0x0
	.amdhsa_kernel _ZL18flash_attn_ext_f16ILi576ELi512ELi4ELi4ELb0ELb1EEvPKcS1_S1_S1_S1_PKiPfP15HIP_vector_typeIfLj2EEffffjfiS5_IjLj3EEiiiiiiiiiiiliiliiiiil
		.amdhsa_group_segment_fixed_size 0
		.amdhsa_private_segment_fixed_size 16
		.amdhsa_kernarg_size 464
		.amdhsa_user_sgpr_count 2
		.amdhsa_user_sgpr_dispatch_ptr 0
		.amdhsa_user_sgpr_queue_ptr 0
		.amdhsa_user_sgpr_kernarg_segment_ptr 1
		.amdhsa_user_sgpr_dispatch_id 0
		.amdhsa_user_sgpr_kernarg_preload_length 0
		.amdhsa_user_sgpr_kernarg_preload_offset 0
		.amdhsa_user_sgpr_private_segment_size 0
		.amdhsa_uses_dynamic_stack 0
		.amdhsa_enable_private_segment 1
		.amdhsa_system_sgpr_workgroup_id_x 1
		.amdhsa_system_sgpr_workgroup_id_y 0
		.amdhsa_system_sgpr_workgroup_id_z 0
		.amdhsa_system_sgpr_workgroup_info 0
		.amdhsa_system_vgpr_workitem_id 0
		.amdhsa_next_free_vgpr 52
		.amdhsa_next_free_sgpr 34
		.amdhsa_accum_offset 52
		.amdhsa_reserve_vcc 1
		.amdhsa_float_round_mode_32 0
		.amdhsa_float_round_mode_16_64 0
		.amdhsa_float_denorm_mode_32 3
		.amdhsa_float_denorm_mode_16_64 3
		.amdhsa_dx10_clamp 1
		.amdhsa_ieee_mode 1
		.amdhsa_fp16_overflow 0
		.amdhsa_tg_split 0
		.amdhsa_exception_fp_ieee_invalid_op 0
		.amdhsa_exception_fp_denorm_src 0
		.amdhsa_exception_fp_ieee_div_zero 0
		.amdhsa_exception_fp_ieee_overflow 0
		.amdhsa_exception_fp_ieee_underflow 0
		.amdhsa_exception_fp_ieee_inexact 0
		.amdhsa_exception_int_div_zero 0
	.end_amdhsa_kernel
	.section	.text._ZL18flash_attn_ext_f16ILi576ELi512ELi4ELi4ELb0ELb1EEvPKcS1_S1_S1_S1_PKiPfP15HIP_vector_typeIfLj2EEffffjfiS5_IjLj3EEiiiiiiiiiiiliiliiiiil,"axG",@progbits,_ZL18flash_attn_ext_f16ILi576ELi512ELi4ELi4ELb0ELb1EEvPKcS1_S1_S1_S1_PKiPfP15HIP_vector_typeIfLj2EEffffjfiS5_IjLj3EEiiiiiiiiiiiliiliiiiil,comdat
.Lfunc_end39:
	.size	_ZL18flash_attn_ext_f16ILi576ELi512ELi4ELi4ELb0ELb1EEvPKcS1_S1_S1_S1_PKiPfP15HIP_vector_typeIfLj2EEffffjfiS5_IjLj3EEiiiiiiiiiiiliiliiiiil, .Lfunc_end39-_ZL18flash_attn_ext_f16ILi576ELi512ELi4ELi4ELb0ELb1EEvPKcS1_S1_S1_S1_PKiPfP15HIP_vector_typeIfLj2EEffffjfiS5_IjLj3EEiiiiiiiiiiiliiliiiiil
                                        ; -- End function
	.set _ZL18flash_attn_ext_f16ILi576ELi512ELi4ELi4ELb0ELb1EEvPKcS1_S1_S1_S1_PKiPfP15HIP_vector_typeIfLj2EEffffjfiS5_IjLj3EEiiiiiiiiiiiliiliiiiil.num_vgpr, max(1, .L_ZL14no_device_codePKciS0_iS0_.num_vgpr)
	.set _ZL18flash_attn_ext_f16ILi576ELi512ELi4ELi4ELb0ELb1EEvPKcS1_S1_S1_S1_PKiPfP15HIP_vector_typeIfLj2EEffffjfiS5_IjLj3EEiiiiiiiiiiiliiliiiiil.num_agpr, max(0, .L_ZL14no_device_codePKciS0_iS0_.num_agpr)
	.set _ZL18flash_attn_ext_f16ILi576ELi512ELi4ELi4ELb0ELb1EEvPKcS1_S1_S1_S1_PKiPfP15HIP_vector_typeIfLj2EEffffjfiS5_IjLj3EEiiiiiiiiiiiliiliiiiil.numbered_sgpr, max(33, .L_ZL14no_device_codePKciS0_iS0_.numbered_sgpr)
	.set _ZL18flash_attn_ext_f16ILi576ELi512ELi4ELi4ELb0ELb1EEvPKcS1_S1_S1_S1_PKiPfP15HIP_vector_typeIfLj2EEffffjfiS5_IjLj3EEiiiiiiiiiiiliiliiiiil.num_named_barrier, max(0, .L_ZL14no_device_codePKciS0_iS0_.num_named_barrier)
	.set _ZL18flash_attn_ext_f16ILi576ELi512ELi4ELi4ELb0ELb1EEvPKcS1_S1_S1_S1_PKiPfP15HIP_vector_typeIfLj2EEffffjfiS5_IjLj3EEiiiiiiiiiiiliiliiiiil.private_seg_size, 0+max(.L_ZL14no_device_codePKciS0_iS0_.private_seg_size)
	.set _ZL18flash_attn_ext_f16ILi576ELi512ELi4ELi4ELb0ELb1EEvPKcS1_S1_S1_S1_PKiPfP15HIP_vector_typeIfLj2EEffffjfiS5_IjLj3EEiiiiiiiiiiiliiliiiiil.uses_vcc, or(1, .L_ZL14no_device_codePKciS0_iS0_.uses_vcc)
	.set _ZL18flash_attn_ext_f16ILi576ELi512ELi4ELi4ELb0ELb1EEvPKcS1_S1_S1_S1_PKiPfP15HIP_vector_typeIfLj2EEffffjfiS5_IjLj3EEiiiiiiiiiiiliiliiiiil.uses_flat_scratch, or(0, .L_ZL14no_device_codePKciS0_iS0_.uses_flat_scratch)
	.set _ZL18flash_attn_ext_f16ILi576ELi512ELi4ELi4ELb0ELb1EEvPKcS1_S1_S1_S1_PKiPfP15HIP_vector_typeIfLj2EEffffjfiS5_IjLj3EEiiiiiiiiiiiliiliiiiil.has_dyn_sized_stack, or(0, .L_ZL14no_device_codePKciS0_iS0_.has_dyn_sized_stack)
	.set _ZL18flash_attn_ext_f16ILi576ELi512ELi4ELi4ELb0ELb1EEvPKcS1_S1_S1_S1_PKiPfP15HIP_vector_typeIfLj2EEffffjfiS5_IjLj3EEiiiiiiiiiiiliiliiiiil.has_recursion, or(0, .L_ZL14no_device_codePKciS0_iS0_.has_recursion)
	.set _ZL18flash_attn_ext_f16ILi576ELi512ELi4ELi4ELb0ELb1EEvPKcS1_S1_S1_S1_PKiPfP15HIP_vector_typeIfLj2EEffffjfiS5_IjLj3EEiiiiiiiiiiiliiliiiiil.has_indirect_call, or(0, .L_ZL14no_device_codePKciS0_iS0_.has_indirect_call)
	.section	.AMDGPU.csdata,"",@progbits
; Kernel info:
; codeLenInByte = 48
; TotalNumSgprs: 40
; NumVgprs: 52
; NumAgprs: 0
; TotalNumVgprs: 52
; ScratchSize: 16
; MemoryBound: 0
; FloatMode: 240
; IeeeMode: 1
; LDSByteSize: 0 bytes/workgroup (compile time only)
; SGPRBlocks: 4
; VGPRBlocks: 6
; NumSGPRsForWavesPerEU: 40
; NumVGPRsForWavesPerEU: 52
; AccumOffset: 52
; Occupancy: 8
; WaveLimiterHint : 1
; COMPUTE_PGM_RSRC2:SCRATCH_EN: 1
; COMPUTE_PGM_RSRC2:USER_SGPR: 2
; COMPUTE_PGM_RSRC2:TRAP_HANDLER: 0
; COMPUTE_PGM_RSRC2:TGID_X_EN: 1
; COMPUTE_PGM_RSRC2:TGID_Y_EN: 0
; COMPUTE_PGM_RSRC2:TGID_Z_EN: 0
; COMPUTE_PGM_RSRC2:TIDIG_COMP_CNT: 0
; COMPUTE_PGM_RSRC3_GFX90A:ACCUM_OFFSET: 12
; COMPUTE_PGM_RSRC3_GFX90A:TG_SPLIT: 0
	.section	.text._ZL18flash_attn_ext_f16ILi576ELi512ELi4ELi4ELb1ELb1EEvPKcS1_S1_S1_S1_PKiPfP15HIP_vector_typeIfLj2EEffffjfiS5_IjLj3EEiiiiiiiiiiiliiliiiiil,"axG",@progbits,_ZL18flash_attn_ext_f16ILi576ELi512ELi4ELi4ELb1ELb1EEvPKcS1_S1_S1_S1_PKiPfP15HIP_vector_typeIfLj2EEffffjfiS5_IjLj3EEiiiiiiiiiiiliiliiiiil,comdat
	.globl	_ZL18flash_attn_ext_f16ILi576ELi512ELi4ELi4ELb1ELb1EEvPKcS1_S1_S1_S1_PKiPfP15HIP_vector_typeIfLj2EEffffjfiS5_IjLj3EEiiiiiiiiiiiliiliiiiil ; -- Begin function _ZL18flash_attn_ext_f16ILi576ELi512ELi4ELi4ELb1ELb1EEvPKcS1_S1_S1_S1_PKiPfP15HIP_vector_typeIfLj2EEffffjfiS5_IjLj3EEiiiiiiiiiiiliiliiiiil
	.p2align	8
	.type	_ZL18flash_attn_ext_f16ILi576ELi512ELi4ELi4ELb1ELb1EEvPKcS1_S1_S1_S1_PKiPfP15HIP_vector_typeIfLj2EEffffjfiS5_IjLj3EEiiiiiiiiiiiliiliiiiil,@function
_ZL18flash_attn_ext_f16ILi576ELi512ELi4ELi4ELb1ELb1EEvPKcS1_S1_S1_S1_PKiPfP15HIP_vector_typeIfLj2EEffffjfiS5_IjLj3EEiiiiiiiiiiiliiliiiiil: ; @_ZL18flash_attn_ext_f16ILi576ELi512ELi4ELi4ELb1ELb1EEvPKcS1_S1_S1_S1_PKiPfP15HIP_vector_typeIfLj2EEffffjfiS5_IjLj3EEiiiiiiiiiiiliiliiiiil
; %bb.0:
	s_add_u32 s8, s0, 0xd0
	s_addc_u32 s9, s1, 0
	s_getpc_b64 s[0:1]
	s_add_u32 s0, s0, _ZL14no_device_codePKciS0_iS0_@rel32@lo+4
	s_addc_u32 s1, s1, _ZL14no_device_codePKciS0_iS0_@rel32@hi+12
	v_mov_b32_e32 v0, 0x6cc
	s_mov_b32 s32, 0
	s_swappc_b64 s[30:31], s[0:1]
	.section	.rodata,"a",@progbits
	.p2align	6, 0x0
	.amdhsa_kernel _ZL18flash_attn_ext_f16ILi576ELi512ELi4ELi4ELb1ELb1EEvPKcS1_S1_S1_S1_PKiPfP15HIP_vector_typeIfLj2EEffffjfiS5_IjLj3EEiiiiiiiiiiiliiliiiiil
		.amdhsa_group_segment_fixed_size 0
		.amdhsa_private_segment_fixed_size 16
		.amdhsa_kernarg_size 464
		.amdhsa_user_sgpr_count 2
		.amdhsa_user_sgpr_dispatch_ptr 0
		.amdhsa_user_sgpr_queue_ptr 0
		.amdhsa_user_sgpr_kernarg_segment_ptr 1
		.amdhsa_user_sgpr_dispatch_id 0
		.amdhsa_user_sgpr_kernarg_preload_length 0
		.amdhsa_user_sgpr_kernarg_preload_offset 0
		.amdhsa_user_sgpr_private_segment_size 0
		.amdhsa_uses_dynamic_stack 0
		.amdhsa_enable_private_segment 1
		.amdhsa_system_sgpr_workgroup_id_x 1
		.amdhsa_system_sgpr_workgroup_id_y 0
		.amdhsa_system_sgpr_workgroup_id_z 0
		.amdhsa_system_sgpr_workgroup_info 0
		.amdhsa_system_vgpr_workitem_id 0
		.amdhsa_next_free_vgpr 52
		.amdhsa_next_free_sgpr 34
		.amdhsa_accum_offset 52
		.amdhsa_reserve_vcc 1
		.amdhsa_float_round_mode_32 0
		.amdhsa_float_round_mode_16_64 0
		.amdhsa_float_denorm_mode_32 3
		.amdhsa_float_denorm_mode_16_64 3
		.amdhsa_dx10_clamp 1
		.amdhsa_ieee_mode 1
		.amdhsa_fp16_overflow 0
		.amdhsa_tg_split 0
		.amdhsa_exception_fp_ieee_invalid_op 0
		.amdhsa_exception_fp_denorm_src 0
		.amdhsa_exception_fp_ieee_div_zero 0
		.amdhsa_exception_fp_ieee_overflow 0
		.amdhsa_exception_fp_ieee_underflow 0
		.amdhsa_exception_fp_ieee_inexact 0
		.amdhsa_exception_int_div_zero 0
	.end_amdhsa_kernel
	.section	.text._ZL18flash_attn_ext_f16ILi576ELi512ELi4ELi4ELb1ELb1EEvPKcS1_S1_S1_S1_PKiPfP15HIP_vector_typeIfLj2EEffffjfiS5_IjLj3EEiiiiiiiiiiiliiliiiiil,"axG",@progbits,_ZL18flash_attn_ext_f16ILi576ELi512ELi4ELi4ELb1ELb1EEvPKcS1_S1_S1_S1_PKiPfP15HIP_vector_typeIfLj2EEffffjfiS5_IjLj3EEiiiiiiiiiiiliiliiiiil,comdat
.Lfunc_end40:
	.size	_ZL18flash_attn_ext_f16ILi576ELi512ELi4ELi4ELb1ELb1EEvPKcS1_S1_S1_S1_PKiPfP15HIP_vector_typeIfLj2EEffffjfiS5_IjLj3EEiiiiiiiiiiiliiliiiiil, .Lfunc_end40-_ZL18flash_attn_ext_f16ILi576ELi512ELi4ELi4ELb1ELb1EEvPKcS1_S1_S1_S1_PKiPfP15HIP_vector_typeIfLj2EEffffjfiS5_IjLj3EEiiiiiiiiiiiliiliiiiil
                                        ; -- End function
	.set _ZL18flash_attn_ext_f16ILi576ELi512ELi4ELi4ELb1ELb1EEvPKcS1_S1_S1_S1_PKiPfP15HIP_vector_typeIfLj2EEffffjfiS5_IjLj3EEiiiiiiiiiiiliiliiiiil.num_vgpr, max(1, .L_ZL14no_device_codePKciS0_iS0_.num_vgpr)
	.set _ZL18flash_attn_ext_f16ILi576ELi512ELi4ELi4ELb1ELb1EEvPKcS1_S1_S1_S1_PKiPfP15HIP_vector_typeIfLj2EEffffjfiS5_IjLj3EEiiiiiiiiiiiliiliiiiil.num_agpr, max(0, .L_ZL14no_device_codePKciS0_iS0_.num_agpr)
	.set _ZL18flash_attn_ext_f16ILi576ELi512ELi4ELi4ELb1ELb1EEvPKcS1_S1_S1_S1_PKiPfP15HIP_vector_typeIfLj2EEffffjfiS5_IjLj3EEiiiiiiiiiiiliiliiiiil.numbered_sgpr, max(33, .L_ZL14no_device_codePKciS0_iS0_.numbered_sgpr)
	.set _ZL18flash_attn_ext_f16ILi576ELi512ELi4ELi4ELb1ELb1EEvPKcS1_S1_S1_S1_PKiPfP15HIP_vector_typeIfLj2EEffffjfiS5_IjLj3EEiiiiiiiiiiiliiliiiiil.num_named_barrier, max(0, .L_ZL14no_device_codePKciS0_iS0_.num_named_barrier)
	.set _ZL18flash_attn_ext_f16ILi576ELi512ELi4ELi4ELb1ELb1EEvPKcS1_S1_S1_S1_PKiPfP15HIP_vector_typeIfLj2EEffffjfiS5_IjLj3EEiiiiiiiiiiiliiliiiiil.private_seg_size, 0+max(.L_ZL14no_device_codePKciS0_iS0_.private_seg_size)
	.set _ZL18flash_attn_ext_f16ILi576ELi512ELi4ELi4ELb1ELb1EEvPKcS1_S1_S1_S1_PKiPfP15HIP_vector_typeIfLj2EEffffjfiS5_IjLj3EEiiiiiiiiiiiliiliiiiil.uses_vcc, or(1, .L_ZL14no_device_codePKciS0_iS0_.uses_vcc)
	.set _ZL18flash_attn_ext_f16ILi576ELi512ELi4ELi4ELb1ELb1EEvPKcS1_S1_S1_S1_PKiPfP15HIP_vector_typeIfLj2EEffffjfiS5_IjLj3EEiiiiiiiiiiiliiliiiiil.uses_flat_scratch, or(0, .L_ZL14no_device_codePKciS0_iS0_.uses_flat_scratch)
	.set _ZL18flash_attn_ext_f16ILi576ELi512ELi4ELi4ELb1ELb1EEvPKcS1_S1_S1_S1_PKiPfP15HIP_vector_typeIfLj2EEffffjfiS5_IjLj3EEiiiiiiiiiiiliiliiiiil.has_dyn_sized_stack, or(0, .L_ZL14no_device_codePKciS0_iS0_.has_dyn_sized_stack)
	.set _ZL18flash_attn_ext_f16ILi576ELi512ELi4ELi4ELb1ELb1EEvPKcS1_S1_S1_S1_PKiPfP15HIP_vector_typeIfLj2EEffffjfiS5_IjLj3EEiiiiiiiiiiiliiliiiiil.has_recursion, or(0, .L_ZL14no_device_codePKciS0_iS0_.has_recursion)
	.set _ZL18flash_attn_ext_f16ILi576ELi512ELi4ELi4ELb1ELb1EEvPKcS1_S1_S1_S1_PKiPfP15HIP_vector_typeIfLj2EEffffjfiS5_IjLj3EEiiiiiiiiiiiliiliiiiil.has_indirect_call, or(0, .L_ZL14no_device_codePKciS0_iS0_.has_indirect_call)
	.section	.AMDGPU.csdata,"",@progbits
; Kernel info:
; codeLenInByte = 48
; TotalNumSgprs: 40
; NumVgprs: 52
; NumAgprs: 0
; TotalNumVgprs: 52
; ScratchSize: 16
; MemoryBound: 0
; FloatMode: 240
; IeeeMode: 1
; LDSByteSize: 0 bytes/workgroup (compile time only)
; SGPRBlocks: 4
; VGPRBlocks: 6
; NumSGPRsForWavesPerEU: 40
; NumVGPRsForWavesPerEU: 52
; AccumOffset: 52
; Occupancy: 8
; WaveLimiterHint : 1
; COMPUTE_PGM_RSRC2:SCRATCH_EN: 1
; COMPUTE_PGM_RSRC2:USER_SGPR: 2
; COMPUTE_PGM_RSRC2:TRAP_HANDLER: 0
; COMPUTE_PGM_RSRC2:TGID_X_EN: 1
; COMPUTE_PGM_RSRC2:TGID_Y_EN: 0
; COMPUTE_PGM_RSRC2:TGID_Z_EN: 0
; COMPUTE_PGM_RSRC2:TIDIG_COMP_CNT: 0
; COMPUTE_PGM_RSRC3_GFX90A:ACCUM_OFFSET: 12
; COMPUTE_PGM_RSRC3_GFX90A:TG_SPLIT: 0
	.text
	.p2alignl 6, 3212836864
	.fill 256, 4, 3212836864
	.section	.AMDGPU.gpr_maximums,"",@progbits
	.set amdgpu.max_num_vgpr, 52
	.set amdgpu.max_num_agpr, 0
	.set amdgpu.max_num_sgpr, 34
	.text
	.type	.str.3,@object                  ; @.str.3
	.section	.rodata.str1.1,"aMS",@progbits,1
.str.3:
	.asciz	"/root/src/amdgpu-assembly/repos/ggml-org__llama.cpp/ggml/src/ggml-cuda/template-instances/../fattn-mma-f16.cuh"
	.size	.str.3, 111

	.type	__FUNCTION__._ZL18flash_attn_ext_f16ILi64ELi64ELi4ELi4ELb1ELb0EEvPKcS1_S1_S1_S1_PKiPfP15HIP_vector_typeIfLj2EEffffjfiS5_IjLj3EEiiiiiiiiiiiliiliiiiil,@object ; @__FUNCTION__._ZL18flash_attn_ext_f16ILi64ELi64ELi4ELi4ELb1ELb0EEvPKcS1_S1_S1_S1_PKiPfP15HIP_vector_typeIfLj2EEffffjfiS5_IjLj3EEiiiiiiiiiiiliiliiiiil
__FUNCTION__._ZL18flash_attn_ext_f16ILi64ELi64ELi4ELi4ELb1ELb0EEvPKcS1_S1_S1_S1_PKiPfP15HIP_vector_typeIfLj2EEffffjfiS5_IjLj3EEiiiiiiiiiiiliiliiiiil:
	.asciz	"flash_attn_ext_f16"
	.size	__FUNCTION__._ZL18flash_attn_ext_f16ILi64ELi64ELi4ELi4ELb1ELb0EEvPKcS1_S1_S1_S1_PKiPfP15HIP_vector_typeIfLj2EEffffjfiS5_IjLj3EEiiiiiiiiiiiliiliiiiil, 19

	.type	.str.5,@object                  ; @.str.5
.str.5:
	.asciz	"%s:%d: ERROR: HIP kernel %s has no device code compatible with HIP arch %d.\n"
	.size	.str.5, 77

	.type	__hip_cuid_3dd55f7693ce1369,@object ; @__hip_cuid_3dd55f7693ce1369
	.section	.bss,"aw",@nobits
	.globl	__hip_cuid_3dd55f7693ce1369
__hip_cuid_3dd55f7693ce1369:
	.byte	0                               ; 0x0
	.size	__hip_cuid_3dd55f7693ce1369, 1

	.ident	"AMD clang version 22.0.0git (https://github.com/RadeonOpenCompute/llvm-project roc-7.2.4 26084 f58b06dce1f9c15707c5f808fd002e18c2accf7e)"
	.section	".note.GNU-stack","",@progbits
	.addrsig
	.addrsig_sym __hip_cuid_3dd55f7693ce1369
	.amdgpu_metadata
---
amdhsa.kernels:
  - .agpr_count:     0
    .args:
      - .address_space:  global
        .offset:         0
        .size:           8
        .value_kind:     global_buffer
      - .address_space:  global
        .offset:         8
        .size:           8
        .value_kind:     global_buffer
      - .address_space:  global
        .offset:         16
        .size:           8
        .value_kind:     global_buffer
      - .address_space:  global
        .offset:         24
        .size:           8
        .value_kind:     global_buffer
      - .address_space:  global
        .offset:         32
        .size:           8
        .value_kind:     global_buffer
      - .address_space:  global
        .offset:         40
        .size:           8
        .value_kind:     global_buffer
      - .address_space:  global
        .offset:         48
        .size:           8
        .value_kind:     global_buffer
      - .address_space:  global
        .offset:         56
        .size:           8
        .value_kind:     global_buffer
      - .offset:         64
        .size:           4
        .value_kind:     by_value
      - .offset:         68
        .size:           4
        .value_kind:     by_value
      - .offset:         72
        .size:           4
        .value_kind:     by_value
      - .offset:         76
        .size:           4
        .value_kind:     by_value
      - .offset:         80
        .size:           4
        .value_kind:     by_value
      - .offset:         84
        .size:           4
        .value_kind:     by_value
      - .offset:         88
        .size:           4
        .value_kind:     by_value
      - .offset:         92
        .size:           12
        .value_kind:     by_value
      - .offset:         104
        .size:           4
        .value_kind:     by_value
      - .offset:         108
        .size:           4
        .value_kind:     by_value
      - .offset:         112
        .size:           4
        .value_kind:     by_value
      - .offset:         116
        .size:           4
        .value_kind:     by_value
      - .offset:         120
        .size:           4
        .value_kind:     by_value
      - .offset:         124
        .size:           4
        .value_kind:     by_value
      - .offset:         128
        .size:           4
        .value_kind:     by_value
      - .offset:         132
        .size:           4
        .value_kind:     by_value
      - .offset:         136
        .size:           4
        .value_kind:     by_value
      - .offset:         140
        .size:           4
        .value_kind:     by_value
      - .offset:         144
        .size:           4
        .value_kind:     by_value
      - .offset:         152
        .size:           8
        .value_kind:     by_value
      - .offset:         160
        .size:           4
        .value_kind:     by_value
      - .offset:         164
        .size:           4
        .value_kind:     by_value
      - .offset:         168
        .size:           8
        .value_kind:     by_value
      - .offset:         176
        .size:           4
        .value_kind:     by_value
      - .offset:         180
        .size:           4
        .value_kind:     by_value
      - .offset:         184
        .size:           4
        .value_kind:     by_value
      - .offset:         188
        .size:           4
        .value_kind:     by_value
      - .offset:         192
        .size:           4
        .value_kind:     by_value
      - .offset:         200
        .size:           8
        .value_kind:     by_value
      - .offset:         208
        .size:           4
        .value_kind:     hidden_block_count_x
      - .offset:         212
        .size:           4
        .value_kind:     hidden_block_count_y
      - .offset:         216
        .size:           4
        .value_kind:     hidden_block_count_z
      - .offset:         220
        .size:           2
        .value_kind:     hidden_group_size_x
      - .offset:         222
        .size:           2
        .value_kind:     hidden_group_size_y
      - .offset:         224
        .size:           2
        .value_kind:     hidden_group_size_z
      - .offset:         226
        .size:           2
        .value_kind:     hidden_remainder_x
      - .offset:         228
        .size:           2
        .value_kind:     hidden_remainder_y
      - .offset:         230
        .size:           2
        .value_kind:     hidden_remainder_z
      - .offset:         248
        .size:           8
        .value_kind:     hidden_global_offset_x
      - .offset:         256
        .size:           8
        .value_kind:     hidden_global_offset_y
      - .offset:         264
        .size:           8
        .value_kind:     hidden_global_offset_z
      - .offset:         272
        .size:           2
        .value_kind:     hidden_grid_dims
      - .offset:         328
        .size:           4
        .value_kind:     hidden_dynamic_lds_size
    .group_segment_fixed_size: 0
    .kernarg_segment_align: 8
    .kernarg_segment_size: 464
    .language:       OpenCL C
    .language_version:
      - 2
      - 0
    .max_flat_workgroup_size: 256
    .name:           _ZL18flash_attn_ext_f16ILi64ELi64ELi4ELi4ELb0ELb0EEvPKcS1_S1_S1_S1_PKiPfP15HIP_vector_typeIfLj2EEffffjfiS5_IjLj3EEiiiiiiiiiiiliiliiiiil
    .private_segment_fixed_size: 0
    .sgpr_count:     106
    .sgpr_spill_count: 24
    .symbol:         _ZL18flash_attn_ext_f16ILi64ELi64ELi4ELi4ELb0ELb0EEvPKcS1_S1_S1_S1_PKiPfP15HIP_vector_typeIfLj2EEffffjfiS5_IjLj3EEiiiiiiiiiiiliiliiiiil.kd
    .uniform_work_group_size: 1
    .uses_dynamic_stack: false
    .vgpr_count:     125
    .vgpr_spill_count: 0
    .wavefront_size: 64
  - .agpr_count:     0
    .args:
      - .address_space:  global
        .offset:         0
        .size:           8
        .value_kind:     global_buffer
      - .address_space:  global
        .offset:         8
        .size:           8
        .value_kind:     global_buffer
      - .address_space:  global
        .offset:         16
        .size:           8
        .value_kind:     global_buffer
      - .address_space:  global
        .offset:         24
        .size:           8
        .value_kind:     global_buffer
      - .address_space:  global
        .offset:         32
        .size:           8
        .value_kind:     global_buffer
      - .address_space:  global
        .offset:         40
        .size:           8
        .value_kind:     global_buffer
      - .address_space:  global
        .offset:         48
        .size:           8
        .value_kind:     global_buffer
      - .address_space:  global
        .offset:         56
        .size:           8
        .value_kind:     global_buffer
      - .offset:         64
        .size:           4
        .value_kind:     by_value
      - .offset:         68
        .size:           4
        .value_kind:     by_value
      - .offset:         72
        .size:           4
        .value_kind:     by_value
      - .offset:         76
        .size:           4
        .value_kind:     by_value
      - .offset:         80
        .size:           4
        .value_kind:     by_value
      - .offset:         84
        .size:           4
        .value_kind:     by_value
      - .offset:         88
        .size:           4
        .value_kind:     by_value
      - .offset:         92
        .size:           12
        .value_kind:     by_value
      - .offset:         104
        .size:           4
        .value_kind:     by_value
      - .offset:         108
        .size:           4
        .value_kind:     by_value
      - .offset:         112
        .size:           4
        .value_kind:     by_value
      - .offset:         116
        .size:           4
        .value_kind:     by_value
      - .offset:         120
        .size:           4
        .value_kind:     by_value
      - .offset:         124
        .size:           4
        .value_kind:     by_value
      - .offset:         128
        .size:           4
        .value_kind:     by_value
      - .offset:         132
        .size:           4
        .value_kind:     by_value
      - .offset:         136
        .size:           4
        .value_kind:     by_value
      - .offset:         140
        .size:           4
        .value_kind:     by_value
      - .offset:         144
        .size:           4
        .value_kind:     by_value
      - .offset:         152
        .size:           8
        .value_kind:     by_value
      - .offset:         160
        .size:           4
        .value_kind:     by_value
      - .offset:         164
        .size:           4
        .value_kind:     by_value
      - .offset:         168
        .size:           8
        .value_kind:     by_value
      - .offset:         176
        .size:           4
        .value_kind:     by_value
      - .offset:         180
        .size:           4
        .value_kind:     by_value
      - .offset:         184
        .size:           4
        .value_kind:     by_value
      - .offset:         188
        .size:           4
        .value_kind:     by_value
      - .offset:         192
        .size:           4
        .value_kind:     by_value
      - .offset:         200
        .size:           8
        .value_kind:     by_value
      - .offset:         208
        .size:           4
        .value_kind:     hidden_block_count_x
      - .offset:         212
        .size:           4
        .value_kind:     hidden_block_count_y
      - .offset:         216
        .size:           4
        .value_kind:     hidden_block_count_z
      - .offset:         220
        .size:           2
        .value_kind:     hidden_group_size_x
      - .offset:         222
        .size:           2
        .value_kind:     hidden_group_size_y
      - .offset:         224
        .size:           2
        .value_kind:     hidden_group_size_z
      - .offset:         226
        .size:           2
        .value_kind:     hidden_remainder_x
      - .offset:         228
        .size:           2
        .value_kind:     hidden_remainder_y
      - .offset:         230
        .size:           2
        .value_kind:     hidden_remainder_z
      - .offset:         248
        .size:           8
        .value_kind:     hidden_global_offset_x
      - .offset:         256
        .size:           8
        .value_kind:     hidden_global_offset_y
      - .offset:         264
        .size:           8
        .value_kind:     hidden_global_offset_z
      - .offset:         272
        .size:           2
        .value_kind:     hidden_grid_dims
      - .offset:         288
        .size:           8
        .value_kind:     hidden_hostcall_buffer
    .group_segment_fixed_size: 0
    .kernarg_segment_align: 8
    .kernarg_segment_size: 464
    .language:       OpenCL C
    .language_version:
      - 2
      - 0
    .max_flat_workgroup_size: 256
    .name:           _ZL18flash_attn_ext_f16ILi64ELi64ELi4ELi4ELb1ELb0EEvPKcS1_S1_S1_S1_PKiPfP15HIP_vector_typeIfLj2EEffffjfiS5_IjLj3EEiiiiiiiiiiiliiliiiiil
    .private_segment_fixed_size: 16
    .sgpr_count:     40
    .sgpr_spill_count: 0
    .symbol:         _ZL18flash_attn_ext_f16ILi64ELi64ELi4ELi4ELb1ELb0EEvPKcS1_S1_S1_S1_PKiPfP15HIP_vector_typeIfLj2EEffffjfiS5_IjLj3EEiiiiiiiiiiiliiliiiiil.kd
    .uniform_work_group_size: 1
    .uses_dynamic_stack: false
    .vgpr_count:     52
    .vgpr_spill_count: 0
    .wavefront_size: 64
  - .agpr_count:     0
    .args:
      - .actual_access:  read_only
        .address_space:  global
        .offset:         0
        .size:           8
        .value_kind:     global_buffer
      - .actual_access:  write_only
        .address_space:  global
        .offset:         8
        .size:           8
        .value_kind:     global_buffer
      - .offset:         16
        .size:           4
        .value_kind:     by_value
      - .offset:         20
        .size:           4
        .value_kind:     by_value
      - .offset:         24
        .size:           4
        .value_kind:     by_value
      - .offset:         32
        .size:           4
        .value_kind:     hidden_block_count_x
      - .offset:         36
        .size:           4
        .value_kind:     hidden_block_count_y
      - .offset:         40
        .size:           4
        .value_kind:     hidden_block_count_z
      - .offset:         44
        .size:           2
        .value_kind:     hidden_group_size_x
      - .offset:         46
        .size:           2
        .value_kind:     hidden_group_size_y
      - .offset:         48
        .size:           2
        .value_kind:     hidden_group_size_z
      - .offset:         50
        .size:           2
        .value_kind:     hidden_remainder_x
      - .offset:         52
        .size:           2
        .value_kind:     hidden_remainder_y
      - .offset:         54
        .size:           2
        .value_kind:     hidden_remainder_z
      - .offset:         72
        .size:           8
        .value_kind:     hidden_global_offset_x
      - .offset:         80
        .size:           8
        .value_kind:     hidden_global_offset_y
      - .offset:         88
        .size:           8
        .value_kind:     hidden_global_offset_z
      - .offset:         96
        .size:           2
        .value_kind:     hidden_grid_dims
    .group_segment_fixed_size: 128
    .kernarg_segment_align: 8
    .kernarg_segment_size: 288
    .language:       OpenCL C
    .language_version:
      - 2
      - 0
    .max_flat_workgroup_size: 128
    .name:           _ZL25flash_attn_mask_to_KV_maxILi4EEvPK7__half2Piiii
    .private_segment_fixed_size: 0
    .sgpr_count:     36
    .sgpr_spill_count: 0
    .symbol:         _ZL25flash_attn_mask_to_KV_maxILi4EEvPK7__half2Piiii.kd
    .uniform_work_group_size: 1
    .uses_dynamic_stack: false
    .vgpr_count:     17
    .vgpr_spill_count: 0
    .wavefront_size: 64
  - .agpr_count:     0
    .args:
      - .address_space:  global
        .offset:         0
        .size:           8
        .value_kind:     global_buffer
      - .address_space:  global
        .offset:         8
        .size:           8
        .value_kind:     global_buffer
      - .offset:         16
        .size:           4
        .value_kind:     by_value
      - .offset:         20
        .size:           4
        .value_kind:     by_value
      - .offset:         24
        .size:           4
        .value_kind:     by_value
      - .offset:         28
        .size:           4
        .value_kind:     by_value
      - .offset:         32
        .size:           4
        .value_kind:     by_value
      - .offset:         36
        .size:           4
        .value_kind:     by_value
      - .offset:         40
        .size:           12
        .value_kind:     by_value
      - .offset:         52
        .size:           12
        .value_kind:     by_value
      - .offset:         64
        .size:           12
        .value_kind:     by_value
    .group_segment_fixed_size: 0
    .kernarg_segment_align: 8
    .kernarg_segment_size: 76
    .language:       OpenCL C
    .language_version:
      - 2
      - 0
    .max_flat_workgroup_size: 64
    .name:           _ZL33flash_attn_stream_k_fixup_uniformILi64ELi4ELi4EEvPfPK15HIP_vector_typeIfLj2EEiiiiiiS1_IjLj3EES5_S5_
    .private_segment_fixed_size: 0
    .sgpr_count:     30
    .sgpr_spill_count: 0
    .symbol:         _ZL33flash_attn_stream_k_fixup_uniformILi64ELi4ELi4EEvPfPK15HIP_vector_typeIfLj2EEiiiiiiS1_IjLj3EES5_S5_.kd
    .uniform_work_group_size: 1
    .uses_dynamic_stack: false
    .vgpr_count:     17
    .vgpr_spill_count: 0
    .wavefront_size: 64
  - .agpr_count:     0
    .args:
      - .address_space:  global
        .offset:         0
        .size:           8
        .value_kind:     global_buffer
      - .address_space:  global
        .offset:         8
        .size:           8
        .value_kind:     global_buffer
      - .offset:         16
        .size:           4
        .value_kind:     by_value
      - .offset:         20
        .size:           4
        .value_kind:     by_value
      - .offset:         24
        .size:           4
        .value_kind:     by_value
      - .offset:         28
        .size:           4
        .value_kind:     by_value
      - .offset:         32
        .size:           12
        .value_kind:     by_value
      - .offset:         44
        .size:           12
        .value_kind:     by_value
      - .offset:         56
        .size:           12
        .value_kind:     by_value
      - .offset:         68
        .size:           12
        .value_kind:     by_value
      - .offset:         80
        .size:           4
        .value_kind:     hidden_block_count_x
      - .offset:         84
        .size:           4
        .value_kind:     hidden_block_count_y
      - .offset:         88
        .size:           4
        .value_kind:     hidden_block_count_z
      - .offset:         92
        .size:           2
        .value_kind:     hidden_group_size_x
      - .offset:         94
        .size:           2
        .value_kind:     hidden_group_size_y
      - .offset:         96
        .size:           2
        .value_kind:     hidden_group_size_z
      - .offset:         98
        .size:           2
        .value_kind:     hidden_remainder_x
      - .offset:         100
        .size:           2
        .value_kind:     hidden_remainder_y
      - .offset:         102
        .size:           2
        .value_kind:     hidden_remainder_z
      - .offset:         120
        .size:           8
        .value_kind:     hidden_global_offset_x
      - .offset:         128
        .size:           8
        .value_kind:     hidden_global_offset_y
      - .offset:         136
        .size:           8
        .value_kind:     hidden_global_offset_z
      - .offset:         144
        .size:           2
        .value_kind:     hidden_grid_dims
    .group_segment_fixed_size: 0
    .kernarg_segment_align: 8
    .kernarg_segment_size: 336
    .language:       OpenCL C
    .language_version:
      - 2
      - 0
    .max_flat_workgroup_size: 64
    .name:           _ZL33flash_attn_stream_k_fixup_generalILi64ELi4ELi4EEvPfPK15HIP_vector_typeIfLj2EEiiiiS1_IjLj3EES5_S5_S5_
    .private_segment_fixed_size: 0
    .sgpr_count:     42
    .sgpr_spill_count: 0
    .symbol:         _ZL33flash_attn_stream_k_fixup_generalILi64ELi4ELi4EEvPfPK15HIP_vector_typeIfLj2EEiiiiS1_IjLj3EES5_S5_S5_.kd
    .uniform_work_group_size: 1
    .uses_dynamic_stack: false
    .vgpr_count:     18
    .vgpr_spill_count: 0
    .wavefront_size: 64
  - .agpr_count:     0
    .args:
      - .address_space:  global
        .offset:         0
        .size:           8
        .value_kind:     global_buffer
      - .address_space:  global
        .offset:         8
        .size:           8
        .value_kind:     global_buffer
      - .address_space:  global
        .offset:         16
        .size:           8
        .value_kind:     global_buffer
      - .offset:         24
        .size:           4
        .value_kind:     by_value
      - .offset:         32
        .size:           4
        .value_kind:     hidden_block_count_x
      - .offset:         36
        .size:           4
        .value_kind:     hidden_block_count_y
      - .offset:         40
        .size:           4
        .value_kind:     hidden_block_count_z
      - .offset:         44
        .size:           2
        .value_kind:     hidden_group_size_x
      - .offset:         46
        .size:           2
        .value_kind:     hidden_group_size_y
      - .offset:         48
        .size:           2
        .value_kind:     hidden_group_size_z
      - .offset:         50
        .size:           2
        .value_kind:     hidden_remainder_x
      - .offset:         52
        .size:           2
        .value_kind:     hidden_remainder_y
      - .offset:         54
        .size:           2
        .value_kind:     hidden_remainder_z
      - .offset:         72
        .size:           8
        .value_kind:     hidden_global_offset_x
      - .offset:         80
        .size:           8
        .value_kind:     hidden_global_offset_y
      - .offset:         88
        .size:           8
        .value_kind:     hidden_global_offset_z
      - .offset:         96
        .size:           2
        .value_kind:     hidden_grid_dims
      - .offset:         152
        .size:           4
        .value_kind:     hidden_dynamic_lds_size
    .group_segment_fixed_size: 0
    .kernarg_segment_align: 8
    .kernarg_segment_size: 288
    .language:       OpenCL C
    .language_version:
      - 2
      - 0
    .max_flat_workgroup_size: 64
    .name:           _ZL26flash_attn_combine_resultsILi64EEvPKfPK15HIP_vector_typeIfLj2EEPfi
    .private_segment_fixed_size: 0
    .sgpr_count:     32
    .sgpr_spill_count: 0
    .symbol:         _ZL26flash_attn_combine_resultsILi64EEvPKfPK15HIP_vector_typeIfLj2EEPfi.kd
    .uniform_work_group_size: 1
    .uses_dynamic_stack: false
    .vgpr_count:     59
    .vgpr_spill_count: 0
    .wavefront_size: 64
  - .agpr_count:     0
    .args:
      - .address_space:  global
        .offset:         0
        .size:           8
        .value_kind:     global_buffer
      - .address_space:  global
        .offset:         8
        .size:           8
        .value_kind:     global_buffer
      - .address_space:  global
        .offset:         16
        .size:           8
        .value_kind:     global_buffer
      - .address_space:  global
        .offset:         24
        .size:           8
        .value_kind:     global_buffer
      - .address_space:  global
        .offset:         32
        .size:           8
        .value_kind:     global_buffer
      - .address_space:  global
        .offset:         40
        .size:           8
        .value_kind:     global_buffer
      - .address_space:  global
        .offset:         48
        .size:           8
        .value_kind:     global_buffer
      - .address_space:  global
        .offset:         56
        .size:           8
        .value_kind:     global_buffer
      - .offset:         64
        .size:           4
        .value_kind:     by_value
      - .offset:         68
        .size:           4
        .value_kind:     by_value
      - .offset:         72
        .size:           4
        .value_kind:     by_value
      - .offset:         76
        .size:           4
        .value_kind:     by_value
      - .offset:         80
        .size:           4
        .value_kind:     by_value
      - .offset:         84
        .size:           4
        .value_kind:     by_value
      - .offset:         88
        .size:           4
        .value_kind:     by_value
      - .offset:         92
        .size:           12
        .value_kind:     by_value
      - .offset:         104
        .size:           4
        .value_kind:     by_value
      - .offset:         108
        .size:           4
        .value_kind:     by_value
      - .offset:         112
        .size:           4
        .value_kind:     by_value
      - .offset:         116
        .size:           4
        .value_kind:     by_value
      - .offset:         120
        .size:           4
        .value_kind:     by_value
      - .offset:         124
        .size:           4
        .value_kind:     by_value
      - .offset:         128
        .size:           4
        .value_kind:     by_value
      - .offset:         132
        .size:           4
        .value_kind:     by_value
      - .offset:         136
        .size:           4
        .value_kind:     by_value
      - .offset:         140
        .size:           4
        .value_kind:     by_value
      - .offset:         144
        .size:           4
        .value_kind:     by_value
      - .offset:         152
        .size:           8
        .value_kind:     by_value
      - .offset:         160
        .size:           4
        .value_kind:     by_value
      - .offset:         164
        .size:           4
        .value_kind:     by_value
      - .offset:         168
        .size:           8
        .value_kind:     by_value
      - .offset:         176
        .size:           4
        .value_kind:     by_value
      - .offset:         180
        .size:           4
        .value_kind:     by_value
      - .offset:         184
        .size:           4
        .value_kind:     by_value
      - .offset:         188
        .size:           4
        .value_kind:     by_value
      - .offset:         192
        .size:           4
        .value_kind:     by_value
      - .offset:         200
        .size:           8
        .value_kind:     by_value
      - .offset:         208
        .size:           4
        .value_kind:     hidden_block_count_x
      - .offset:         212
        .size:           4
        .value_kind:     hidden_block_count_y
      - .offset:         216
        .size:           4
        .value_kind:     hidden_block_count_z
      - .offset:         220
        .size:           2
        .value_kind:     hidden_group_size_x
      - .offset:         222
        .size:           2
        .value_kind:     hidden_group_size_y
      - .offset:         224
        .size:           2
        .value_kind:     hidden_group_size_z
      - .offset:         226
        .size:           2
        .value_kind:     hidden_remainder_x
      - .offset:         228
        .size:           2
        .value_kind:     hidden_remainder_y
      - .offset:         230
        .size:           2
        .value_kind:     hidden_remainder_z
      - .offset:         248
        .size:           8
        .value_kind:     hidden_global_offset_x
      - .offset:         256
        .size:           8
        .value_kind:     hidden_global_offset_y
      - .offset:         264
        .size:           8
        .value_kind:     hidden_global_offset_z
      - .offset:         272
        .size:           2
        .value_kind:     hidden_grid_dims
      - .offset:         328
        .size:           4
        .value_kind:     hidden_dynamic_lds_size
    .group_segment_fixed_size: 0
    .kernarg_segment_align: 8
    .kernarg_segment_size: 464
    .language:       OpenCL C
    .language_version:
      - 2
      - 0
    .max_flat_workgroup_size: 256
    .name:           _ZL18flash_attn_ext_f16ILi80ELi80ELi4ELi4ELb0ELb0EEvPKcS1_S1_S1_S1_PKiPfP15HIP_vector_typeIfLj2EEffffjfiS5_IjLj3EEiiiiiiiiiiiliiliiiiil
    .private_segment_fixed_size: 0
    .sgpr_count:     106
    .sgpr_spill_count: 32
    .symbol:         _ZL18flash_attn_ext_f16ILi80ELi80ELi4ELi4ELb0ELb0EEvPKcS1_S1_S1_S1_PKiPfP15HIP_vector_typeIfLj2EEffffjfiS5_IjLj3EEiiiiiiiiiiiliiliiiiil.kd
    .uniform_work_group_size: 1
    .uses_dynamic_stack: false
    .vgpr_count:     164
    .vgpr_spill_count: 0
    .wavefront_size: 64
  - .agpr_count:     0
    .args:
      - .address_space:  global
        .offset:         0
        .size:           8
        .value_kind:     global_buffer
      - .address_space:  global
        .offset:         8
        .size:           8
        .value_kind:     global_buffer
      - .address_space:  global
        .offset:         16
        .size:           8
        .value_kind:     global_buffer
      - .address_space:  global
        .offset:         24
        .size:           8
        .value_kind:     global_buffer
      - .address_space:  global
        .offset:         32
        .size:           8
        .value_kind:     global_buffer
      - .address_space:  global
        .offset:         40
        .size:           8
        .value_kind:     global_buffer
      - .address_space:  global
        .offset:         48
        .size:           8
        .value_kind:     global_buffer
      - .address_space:  global
        .offset:         56
        .size:           8
        .value_kind:     global_buffer
      - .offset:         64
        .size:           4
        .value_kind:     by_value
      - .offset:         68
        .size:           4
        .value_kind:     by_value
      - .offset:         72
        .size:           4
        .value_kind:     by_value
      - .offset:         76
        .size:           4
        .value_kind:     by_value
      - .offset:         80
        .size:           4
        .value_kind:     by_value
      - .offset:         84
        .size:           4
        .value_kind:     by_value
      - .offset:         88
        .size:           4
        .value_kind:     by_value
      - .offset:         92
        .size:           12
        .value_kind:     by_value
      - .offset:         104
        .size:           4
        .value_kind:     by_value
      - .offset:         108
        .size:           4
        .value_kind:     by_value
      - .offset:         112
        .size:           4
        .value_kind:     by_value
      - .offset:         116
        .size:           4
        .value_kind:     by_value
      - .offset:         120
        .size:           4
        .value_kind:     by_value
      - .offset:         124
        .size:           4
        .value_kind:     by_value
      - .offset:         128
        .size:           4
        .value_kind:     by_value
      - .offset:         132
        .size:           4
        .value_kind:     by_value
      - .offset:         136
        .size:           4
        .value_kind:     by_value
      - .offset:         140
        .size:           4
        .value_kind:     by_value
      - .offset:         144
        .size:           4
        .value_kind:     by_value
      - .offset:         152
        .size:           8
        .value_kind:     by_value
      - .offset:         160
        .size:           4
        .value_kind:     by_value
      - .offset:         164
        .size:           4
        .value_kind:     by_value
      - .offset:         168
        .size:           8
        .value_kind:     by_value
      - .offset:         176
        .size:           4
        .value_kind:     by_value
      - .offset:         180
        .size:           4
        .value_kind:     by_value
      - .offset:         184
        .size:           4
        .value_kind:     by_value
      - .offset:         188
        .size:           4
        .value_kind:     by_value
      - .offset:         192
        .size:           4
        .value_kind:     by_value
      - .offset:         200
        .size:           8
        .value_kind:     by_value
      - .offset:         208
        .size:           4
        .value_kind:     hidden_block_count_x
      - .offset:         212
        .size:           4
        .value_kind:     hidden_block_count_y
      - .offset:         216
        .size:           4
        .value_kind:     hidden_block_count_z
      - .offset:         220
        .size:           2
        .value_kind:     hidden_group_size_x
      - .offset:         222
        .size:           2
        .value_kind:     hidden_group_size_y
      - .offset:         224
        .size:           2
        .value_kind:     hidden_group_size_z
      - .offset:         226
        .size:           2
        .value_kind:     hidden_remainder_x
      - .offset:         228
        .size:           2
        .value_kind:     hidden_remainder_y
      - .offset:         230
        .size:           2
        .value_kind:     hidden_remainder_z
      - .offset:         248
        .size:           8
        .value_kind:     hidden_global_offset_x
      - .offset:         256
        .size:           8
        .value_kind:     hidden_global_offset_y
      - .offset:         264
        .size:           8
        .value_kind:     hidden_global_offset_z
      - .offset:         272
        .size:           2
        .value_kind:     hidden_grid_dims
      - .offset:         288
        .size:           8
        .value_kind:     hidden_hostcall_buffer
    .group_segment_fixed_size: 0
    .kernarg_segment_align: 8
    .kernarg_segment_size: 464
    .language:       OpenCL C
    .language_version:
      - 2
      - 0
    .max_flat_workgroup_size: 256
    .name:           _ZL18flash_attn_ext_f16ILi80ELi80ELi4ELi4ELb1ELb0EEvPKcS1_S1_S1_S1_PKiPfP15HIP_vector_typeIfLj2EEffffjfiS5_IjLj3EEiiiiiiiiiiiliiliiiiil
    .private_segment_fixed_size: 16
    .sgpr_count:     40
    .sgpr_spill_count: 0
    .symbol:         _ZL18flash_attn_ext_f16ILi80ELi80ELi4ELi4ELb1ELb0EEvPKcS1_S1_S1_S1_PKiPfP15HIP_vector_typeIfLj2EEffffjfiS5_IjLj3EEiiiiiiiiiiiliiliiiiil.kd
    .uniform_work_group_size: 1
    .uses_dynamic_stack: false
    .vgpr_count:     52
    .vgpr_spill_count: 0
    .wavefront_size: 64
  - .agpr_count:     0
    .args:
      - .address_space:  global
        .offset:         0
        .size:           8
        .value_kind:     global_buffer
      - .address_space:  global
        .offset:         8
        .size:           8
        .value_kind:     global_buffer
      - .offset:         16
        .size:           4
        .value_kind:     by_value
      - .offset:         20
        .size:           4
        .value_kind:     by_value
      - .offset:         24
        .size:           4
        .value_kind:     by_value
      - .offset:         28
        .size:           4
        .value_kind:     by_value
      - .offset:         32
        .size:           4
        .value_kind:     by_value
      - .offset:         36
        .size:           4
        .value_kind:     by_value
      - .offset:         40
        .size:           12
        .value_kind:     by_value
      - .offset:         52
        .size:           12
        .value_kind:     by_value
      - .offset:         64
        .size:           12
        .value_kind:     by_value
    .group_segment_fixed_size: 0
    .kernarg_segment_align: 8
    .kernarg_segment_size: 76
    .language:       OpenCL C
    .language_version:
      - 2
      - 0
    .max_flat_workgroup_size: 80
    .name:           _ZL33flash_attn_stream_k_fixup_uniformILi80ELi4ELi4EEvPfPK15HIP_vector_typeIfLj2EEiiiiiiS1_IjLj3EES5_S5_
    .private_segment_fixed_size: 0
    .sgpr_count:     26
    .sgpr_spill_count: 0
    .symbol:         _ZL33flash_attn_stream_k_fixup_uniformILi80ELi4ELi4EEvPfPK15HIP_vector_typeIfLj2EEiiiiiiS1_IjLj3EES5_S5_.kd
    .uniform_work_group_size: 1
    .uses_dynamic_stack: false
    .vgpr_count:     17
    .vgpr_spill_count: 0
    .wavefront_size: 64
  - .agpr_count:     0
    .args:
      - .address_space:  global
        .offset:         0
        .size:           8
        .value_kind:     global_buffer
      - .address_space:  global
        .offset:         8
        .size:           8
        .value_kind:     global_buffer
      - .offset:         16
        .size:           4
        .value_kind:     by_value
      - .offset:         20
        .size:           4
        .value_kind:     by_value
      - .offset:         24
        .size:           4
        .value_kind:     by_value
      - .offset:         28
        .size:           4
        .value_kind:     by_value
      - .offset:         32
        .size:           12
        .value_kind:     by_value
      - .offset:         44
        .size:           12
        .value_kind:     by_value
      - .offset:         56
        .size:           12
        .value_kind:     by_value
      - .offset:         68
        .size:           12
        .value_kind:     by_value
      - .offset:         80
        .size:           4
        .value_kind:     hidden_block_count_x
      - .offset:         84
        .size:           4
        .value_kind:     hidden_block_count_y
      - .offset:         88
        .size:           4
        .value_kind:     hidden_block_count_z
      - .offset:         92
        .size:           2
        .value_kind:     hidden_group_size_x
      - .offset:         94
        .size:           2
        .value_kind:     hidden_group_size_y
      - .offset:         96
        .size:           2
        .value_kind:     hidden_group_size_z
      - .offset:         98
        .size:           2
        .value_kind:     hidden_remainder_x
      - .offset:         100
        .size:           2
        .value_kind:     hidden_remainder_y
      - .offset:         102
        .size:           2
        .value_kind:     hidden_remainder_z
      - .offset:         120
        .size:           8
        .value_kind:     hidden_global_offset_x
      - .offset:         128
        .size:           8
        .value_kind:     hidden_global_offset_y
      - .offset:         136
        .size:           8
        .value_kind:     hidden_global_offset_z
      - .offset:         144
        .size:           2
        .value_kind:     hidden_grid_dims
    .group_segment_fixed_size: 0
    .kernarg_segment_align: 8
    .kernarg_segment_size: 336
    .language:       OpenCL C
    .language_version:
      - 2
      - 0
    .max_flat_workgroup_size: 80
    .name:           _ZL33flash_attn_stream_k_fixup_generalILi80ELi4ELi4EEvPfPK15HIP_vector_typeIfLj2EEiiiiS1_IjLj3EES5_S5_S5_
    .private_segment_fixed_size: 0
    .sgpr_count:     42
    .sgpr_spill_count: 0
    .symbol:         _ZL33flash_attn_stream_k_fixup_generalILi80ELi4ELi4EEvPfPK15HIP_vector_typeIfLj2EEiiiiS1_IjLj3EES5_S5_S5_.kd
    .uniform_work_group_size: 1
    .uses_dynamic_stack: false
    .vgpr_count:     18
    .vgpr_spill_count: 0
    .wavefront_size: 64
  - .agpr_count:     0
    .args:
      - .address_space:  global
        .offset:         0
        .size:           8
        .value_kind:     global_buffer
      - .address_space:  global
        .offset:         8
        .size:           8
        .value_kind:     global_buffer
      - .address_space:  global
        .offset:         16
        .size:           8
        .value_kind:     global_buffer
      - .offset:         24
        .size:           4
        .value_kind:     by_value
      - .offset:         32
        .size:           4
        .value_kind:     hidden_block_count_x
      - .offset:         36
        .size:           4
        .value_kind:     hidden_block_count_y
      - .offset:         40
        .size:           4
        .value_kind:     hidden_block_count_z
      - .offset:         44
        .size:           2
        .value_kind:     hidden_group_size_x
      - .offset:         46
        .size:           2
        .value_kind:     hidden_group_size_y
      - .offset:         48
        .size:           2
        .value_kind:     hidden_group_size_z
      - .offset:         50
        .size:           2
        .value_kind:     hidden_remainder_x
      - .offset:         52
        .size:           2
        .value_kind:     hidden_remainder_y
      - .offset:         54
        .size:           2
        .value_kind:     hidden_remainder_z
      - .offset:         72
        .size:           8
        .value_kind:     hidden_global_offset_x
      - .offset:         80
        .size:           8
        .value_kind:     hidden_global_offset_y
      - .offset:         88
        .size:           8
        .value_kind:     hidden_global_offset_z
      - .offset:         96
        .size:           2
        .value_kind:     hidden_grid_dims
      - .offset:         152
        .size:           4
        .value_kind:     hidden_dynamic_lds_size
    .group_segment_fixed_size: 0
    .kernarg_segment_align: 8
    .kernarg_segment_size: 288
    .language:       OpenCL C
    .language_version:
      - 2
      - 0
    .max_flat_workgroup_size: 80
    .name:           _ZL26flash_attn_combine_resultsILi80EEvPKfPK15HIP_vector_typeIfLj2EEPfi
    .private_segment_fixed_size: 0
    .sgpr_count:     36
    .sgpr_spill_count: 0
    .symbol:         _ZL26flash_attn_combine_resultsILi80EEvPKfPK15HIP_vector_typeIfLj2EEPfi.kd
    .uniform_work_group_size: 1
    .uses_dynamic_stack: false
    .vgpr_count:     57
    .vgpr_spill_count: 0
    .wavefront_size: 64
  - .agpr_count:     0
    .args:
      - .address_space:  global
        .offset:         0
        .size:           8
        .value_kind:     global_buffer
      - .address_space:  global
        .offset:         8
        .size:           8
        .value_kind:     global_buffer
      - .address_space:  global
        .offset:         16
        .size:           8
        .value_kind:     global_buffer
      - .address_space:  global
        .offset:         24
        .size:           8
        .value_kind:     global_buffer
      - .address_space:  global
        .offset:         32
        .size:           8
        .value_kind:     global_buffer
      - .address_space:  global
        .offset:         40
        .size:           8
        .value_kind:     global_buffer
      - .address_space:  global
        .offset:         48
        .size:           8
        .value_kind:     global_buffer
      - .address_space:  global
        .offset:         56
        .size:           8
        .value_kind:     global_buffer
      - .offset:         64
        .size:           4
        .value_kind:     by_value
      - .offset:         68
        .size:           4
        .value_kind:     by_value
      - .offset:         72
        .size:           4
        .value_kind:     by_value
      - .offset:         76
        .size:           4
        .value_kind:     by_value
      - .offset:         80
        .size:           4
        .value_kind:     by_value
      - .offset:         84
        .size:           4
        .value_kind:     by_value
      - .offset:         88
        .size:           4
        .value_kind:     by_value
      - .offset:         92
        .size:           12
        .value_kind:     by_value
      - .offset:         104
        .size:           4
        .value_kind:     by_value
      - .offset:         108
        .size:           4
        .value_kind:     by_value
      - .offset:         112
        .size:           4
        .value_kind:     by_value
      - .offset:         116
        .size:           4
        .value_kind:     by_value
      - .offset:         120
        .size:           4
        .value_kind:     by_value
      - .offset:         124
        .size:           4
        .value_kind:     by_value
      - .offset:         128
        .size:           4
        .value_kind:     by_value
      - .offset:         132
        .size:           4
        .value_kind:     by_value
      - .offset:         136
        .size:           4
        .value_kind:     by_value
      - .offset:         140
        .size:           4
        .value_kind:     by_value
      - .offset:         144
        .size:           4
        .value_kind:     by_value
      - .offset:         152
        .size:           8
        .value_kind:     by_value
      - .offset:         160
        .size:           4
        .value_kind:     by_value
      - .offset:         164
        .size:           4
        .value_kind:     by_value
      - .offset:         168
        .size:           8
        .value_kind:     by_value
      - .offset:         176
        .size:           4
        .value_kind:     by_value
      - .offset:         180
        .size:           4
        .value_kind:     by_value
      - .offset:         184
        .size:           4
        .value_kind:     by_value
      - .offset:         188
        .size:           4
        .value_kind:     by_value
      - .offset:         192
        .size:           4
        .value_kind:     by_value
      - .offset:         200
        .size:           8
        .value_kind:     by_value
      - .offset:         208
        .size:           4
        .value_kind:     hidden_block_count_x
      - .offset:         212
        .size:           4
        .value_kind:     hidden_block_count_y
      - .offset:         216
        .size:           4
        .value_kind:     hidden_block_count_z
      - .offset:         220
        .size:           2
        .value_kind:     hidden_group_size_x
      - .offset:         222
        .size:           2
        .value_kind:     hidden_group_size_y
      - .offset:         224
        .size:           2
        .value_kind:     hidden_group_size_z
      - .offset:         226
        .size:           2
        .value_kind:     hidden_remainder_x
      - .offset:         228
        .size:           2
        .value_kind:     hidden_remainder_y
      - .offset:         230
        .size:           2
        .value_kind:     hidden_remainder_z
      - .offset:         248
        .size:           8
        .value_kind:     hidden_global_offset_x
      - .offset:         256
        .size:           8
        .value_kind:     hidden_global_offset_y
      - .offset:         264
        .size:           8
        .value_kind:     hidden_global_offset_z
      - .offset:         272
        .size:           2
        .value_kind:     hidden_grid_dims
      - .offset:         328
        .size:           4
        .value_kind:     hidden_dynamic_lds_size
    .group_segment_fixed_size: 0
    .kernarg_segment_align: 8
    .kernarg_segment_size: 464
    .language:       OpenCL C
    .language_version:
      - 2
      - 0
    .max_flat_workgroup_size: 256
    .name:           _ZL18flash_attn_ext_f16ILi96ELi96ELi4ELi4ELb0ELb0EEvPKcS1_S1_S1_S1_PKiPfP15HIP_vector_typeIfLj2EEffffjfiS5_IjLj3EEiiiiiiiiiiiliiliiiiil
    .private_segment_fixed_size: 0
    .sgpr_count:     106
    .sgpr_spill_count: 28
    .symbol:         _ZL18flash_attn_ext_f16ILi96ELi96ELi4ELi4ELb0ELb0EEvPKcS1_S1_S1_S1_PKiPfP15HIP_vector_typeIfLj2EEffffjfiS5_IjLj3EEiiiiiiiiiiiliiliiiiil.kd
    .uniform_work_group_size: 1
    .uses_dynamic_stack: false
    .vgpr_count:     165
    .vgpr_spill_count: 0
    .wavefront_size: 64
  - .agpr_count:     0
    .args:
      - .address_space:  global
        .offset:         0
        .size:           8
        .value_kind:     global_buffer
      - .address_space:  global
        .offset:         8
        .size:           8
        .value_kind:     global_buffer
      - .address_space:  global
        .offset:         16
        .size:           8
        .value_kind:     global_buffer
      - .address_space:  global
        .offset:         24
        .size:           8
        .value_kind:     global_buffer
      - .address_space:  global
        .offset:         32
        .size:           8
        .value_kind:     global_buffer
      - .address_space:  global
        .offset:         40
        .size:           8
        .value_kind:     global_buffer
      - .address_space:  global
        .offset:         48
        .size:           8
        .value_kind:     global_buffer
      - .address_space:  global
        .offset:         56
        .size:           8
        .value_kind:     global_buffer
      - .offset:         64
        .size:           4
        .value_kind:     by_value
      - .offset:         68
        .size:           4
        .value_kind:     by_value
      - .offset:         72
        .size:           4
        .value_kind:     by_value
      - .offset:         76
        .size:           4
        .value_kind:     by_value
      - .offset:         80
        .size:           4
        .value_kind:     by_value
      - .offset:         84
        .size:           4
        .value_kind:     by_value
      - .offset:         88
        .size:           4
        .value_kind:     by_value
      - .offset:         92
        .size:           12
        .value_kind:     by_value
      - .offset:         104
        .size:           4
        .value_kind:     by_value
      - .offset:         108
        .size:           4
        .value_kind:     by_value
      - .offset:         112
        .size:           4
        .value_kind:     by_value
      - .offset:         116
        .size:           4
        .value_kind:     by_value
      - .offset:         120
        .size:           4
        .value_kind:     by_value
      - .offset:         124
        .size:           4
        .value_kind:     by_value
      - .offset:         128
        .size:           4
        .value_kind:     by_value
      - .offset:         132
        .size:           4
        .value_kind:     by_value
      - .offset:         136
        .size:           4
        .value_kind:     by_value
      - .offset:         140
        .size:           4
        .value_kind:     by_value
      - .offset:         144
        .size:           4
        .value_kind:     by_value
      - .offset:         152
        .size:           8
        .value_kind:     by_value
      - .offset:         160
        .size:           4
        .value_kind:     by_value
      - .offset:         164
        .size:           4
        .value_kind:     by_value
      - .offset:         168
        .size:           8
        .value_kind:     by_value
      - .offset:         176
        .size:           4
        .value_kind:     by_value
      - .offset:         180
        .size:           4
        .value_kind:     by_value
      - .offset:         184
        .size:           4
        .value_kind:     by_value
      - .offset:         188
        .size:           4
        .value_kind:     by_value
      - .offset:         192
        .size:           4
        .value_kind:     by_value
      - .offset:         200
        .size:           8
        .value_kind:     by_value
      - .offset:         208
        .size:           4
        .value_kind:     hidden_block_count_x
      - .offset:         212
        .size:           4
        .value_kind:     hidden_block_count_y
      - .offset:         216
        .size:           4
        .value_kind:     hidden_block_count_z
      - .offset:         220
        .size:           2
        .value_kind:     hidden_group_size_x
      - .offset:         222
        .size:           2
        .value_kind:     hidden_group_size_y
      - .offset:         224
        .size:           2
        .value_kind:     hidden_group_size_z
      - .offset:         226
        .size:           2
        .value_kind:     hidden_remainder_x
      - .offset:         228
        .size:           2
        .value_kind:     hidden_remainder_y
      - .offset:         230
        .size:           2
        .value_kind:     hidden_remainder_z
      - .offset:         248
        .size:           8
        .value_kind:     hidden_global_offset_x
      - .offset:         256
        .size:           8
        .value_kind:     hidden_global_offset_y
      - .offset:         264
        .size:           8
        .value_kind:     hidden_global_offset_z
      - .offset:         272
        .size:           2
        .value_kind:     hidden_grid_dims
      - .offset:         288
        .size:           8
        .value_kind:     hidden_hostcall_buffer
    .group_segment_fixed_size: 0
    .kernarg_segment_align: 8
    .kernarg_segment_size: 464
    .language:       OpenCL C
    .language_version:
      - 2
      - 0
    .max_flat_workgroup_size: 256
    .name:           _ZL18flash_attn_ext_f16ILi96ELi96ELi4ELi4ELb1ELb0EEvPKcS1_S1_S1_S1_PKiPfP15HIP_vector_typeIfLj2EEffffjfiS5_IjLj3EEiiiiiiiiiiiliiliiiiil
    .private_segment_fixed_size: 16
    .sgpr_count:     40
    .sgpr_spill_count: 0
    .symbol:         _ZL18flash_attn_ext_f16ILi96ELi96ELi4ELi4ELb1ELb0EEvPKcS1_S1_S1_S1_PKiPfP15HIP_vector_typeIfLj2EEffffjfiS5_IjLj3EEiiiiiiiiiiiliiliiiiil.kd
    .uniform_work_group_size: 1
    .uses_dynamic_stack: false
    .vgpr_count:     52
    .vgpr_spill_count: 0
    .wavefront_size: 64
  - .agpr_count:     0
    .args:
      - .address_space:  global
        .offset:         0
        .size:           8
        .value_kind:     global_buffer
      - .address_space:  global
        .offset:         8
        .size:           8
        .value_kind:     global_buffer
      - .offset:         16
        .size:           4
        .value_kind:     by_value
      - .offset:         20
        .size:           4
        .value_kind:     by_value
      - .offset:         24
        .size:           4
        .value_kind:     by_value
      - .offset:         28
        .size:           4
        .value_kind:     by_value
      - .offset:         32
        .size:           4
        .value_kind:     by_value
      - .offset:         36
        .size:           4
        .value_kind:     by_value
      - .offset:         40
        .size:           12
        .value_kind:     by_value
      - .offset:         52
        .size:           12
        .value_kind:     by_value
      - .offset:         64
        .size:           12
        .value_kind:     by_value
    .group_segment_fixed_size: 0
    .kernarg_segment_align: 8
    .kernarg_segment_size: 76
    .language:       OpenCL C
    .language_version:
      - 2
      - 0
    .max_flat_workgroup_size: 96
    .name:           _ZL33flash_attn_stream_k_fixup_uniformILi96ELi4ELi4EEvPfPK15HIP_vector_typeIfLj2EEiiiiiiS1_IjLj3EES5_S5_
    .private_segment_fixed_size: 0
    .sgpr_count:     26
    .sgpr_spill_count: 0
    .symbol:         _ZL33flash_attn_stream_k_fixup_uniformILi96ELi4ELi4EEvPfPK15HIP_vector_typeIfLj2EEiiiiiiS1_IjLj3EES5_S5_.kd
    .uniform_work_group_size: 1
    .uses_dynamic_stack: false
    .vgpr_count:     17
    .vgpr_spill_count: 0
    .wavefront_size: 64
  - .agpr_count:     0
    .args:
      - .address_space:  global
        .offset:         0
        .size:           8
        .value_kind:     global_buffer
      - .address_space:  global
        .offset:         8
        .size:           8
        .value_kind:     global_buffer
      - .offset:         16
        .size:           4
        .value_kind:     by_value
      - .offset:         20
        .size:           4
        .value_kind:     by_value
      - .offset:         24
        .size:           4
        .value_kind:     by_value
      - .offset:         28
        .size:           4
        .value_kind:     by_value
      - .offset:         32
        .size:           12
        .value_kind:     by_value
      - .offset:         44
        .size:           12
        .value_kind:     by_value
      - .offset:         56
        .size:           12
        .value_kind:     by_value
      - .offset:         68
        .size:           12
        .value_kind:     by_value
      - .offset:         80
        .size:           4
        .value_kind:     hidden_block_count_x
      - .offset:         84
        .size:           4
        .value_kind:     hidden_block_count_y
      - .offset:         88
        .size:           4
        .value_kind:     hidden_block_count_z
      - .offset:         92
        .size:           2
        .value_kind:     hidden_group_size_x
      - .offset:         94
        .size:           2
        .value_kind:     hidden_group_size_y
      - .offset:         96
        .size:           2
        .value_kind:     hidden_group_size_z
      - .offset:         98
        .size:           2
        .value_kind:     hidden_remainder_x
      - .offset:         100
        .size:           2
        .value_kind:     hidden_remainder_y
      - .offset:         102
        .size:           2
        .value_kind:     hidden_remainder_z
      - .offset:         120
        .size:           8
        .value_kind:     hidden_global_offset_x
      - .offset:         128
        .size:           8
        .value_kind:     hidden_global_offset_y
      - .offset:         136
        .size:           8
        .value_kind:     hidden_global_offset_z
      - .offset:         144
        .size:           2
        .value_kind:     hidden_grid_dims
    .group_segment_fixed_size: 0
    .kernarg_segment_align: 8
    .kernarg_segment_size: 336
    .language:       OpenCL C
    .language_version:
      - 2
      - 0
    .max_flat_workgroup_size: 96
    .name:           _ZL33flash_attn_stream_k_fixup_generalILi96ELi4ELi4EEvPfPK15HIP_vector_typeIfLj2EEiiiiS1_IjLj3EES5_S5_S5_
    .private_segment_fixed_size: 0
    .sgpr_count:     42
    .sgpr_spill_count: 0
    .symbol:         _ZL33flash_attn_stream_k_fixup_generalILi96ELi4ELi4EEvPfPK15HIP_vector_typeIfLj2EEiiiiS1_IjLj3EES5_S5_S5_.kd
    .uniform_work_group_size: 1
    .uses_dynamic_stack: false
    .vgpr_count:     18
    .vgpr_spill_count: 0
    .wavefront_size: 64
  - .agpr_count:     0
    .args:
      - .address_space:  global
        .offset:         0
        .size:           8
        .value_kind:     global_buffer
      - .address_space:  global
        .offset:         8
        .size:           8
        .value_kind:     global_buffer
      - .address_space:  global
        .offset:         16
        .size:           8
        .value_kind:     global_buffer
      - .offset:         24
        .size:           4
        .value_kind:     by_value
      - .offset:         32
        .size:           4
        .value_kind:     hidden_block_count_x
      - .offset:         36
        .size:           4
        .value_kind:     hidden_block_count_y
      - .offset:         40
        .size:           4
        .value_kind:     hidden_block_count_z
      - .offset:         44
        .size:           2
        .value_kind:     hidden_group_size_x
      - .offset:         46
        .size:           2
        .value_kind:     hidden_group_size_y
      - .offset:         48
        .size:           2
        .value_kind:     hidden_group_size_z
      - .offset:         50
        .size:           2
        .value_kind:     hidden_remainder_x
      - .offset:         52
        .size:           2
        .value_kind:     hidden_remainder_y
      - .offset:         54
        .size:           2
        .value_kind:     hidden_remainder_z
      - .offset:         72
        .size:           8
        .value_kind:     hidden_global_offset_x
      - .offset:         80
        .size:           8
        .value_kind:     hidden_global_offset_y
      - .offset:         88
        .size:           8
        .value_kind:     hidden_global_offset_z
      - .offset:         96
        .size:           2
        .value_kind:     hidden_grid_dims
      - .offset:         152
        .size:           4
        .value_kind:     hidden_dynamic_lds_size
    .group_segment_fixed_size: 0
    .kernarg_segment_align: 8
    .kernarg_segment_size: 288
    .language:       OpenCL C
    .language_version:
      - 2
      - 0
    .max_flat_workgroup_size: 96
    .name:           _ZL26flash_attn_combine_resultsILi96EEvPKfPK15HIP_vector_typeIfLj2EEPfi
    .private_segment_fixed_size: 0
    .sgpr_count:     38
    .sgpr_spill_count: 0
    .symbol:         _ZL26flash_attn_combine_resultsILi96EEvPKfPK15HIP_vector_typeIfLj2EEPfi.kd
    .uniform_work_group_size: 1
    .uses_dynamic_stack: false
    .vgpr_count:     57
    .vgpr_spill_count: 0
    .wavefront_size: 64
  - .agpr_count:     0
    .args:
      - .address_space:  global
        .offset:         0
        .size:           8
        .value_kind:     global_buffer
      - .address_space:  global
        .offset:         8
        .size:           8
        .value_kind:     global_buffer
      - .address_space:  global
        .offset:         16
        .size:           8
        .value_kind:     global_buffer
      - .address_space:  global
        .offset:         24
        .size:           8
        .value_kind:     global_buffer
      - .address_space:  global
        .offset:         32
        .size:           8
        .value_kind:     global_buffer
      - .address_space:  global
        .offset:         40
        .size:           8
        .value_kind:     global_buffer
      - .address_space:  global
        .offset:         48
        .size:           8
        .value_kind:     global_buffer
      - .address_space:  global
        .offset:         56
        .size:           8
        .value_kind:     global_buffer
      - .offset:         64
        .size:           4
        .value_kind:     by_value
      - .offset:         68
        .size:           4
        .value_kind:     by_value
      - .offset:         72
        .size:           4
        .value_kind:     by_value
      - .offset:         76
        .size:           4
        .value_kind:     by_value
      - .offset:         80
        .size:           4
        .value_kind:     by_value
      - .offset:         84
        .size:           4
        .value_kind:     by_value
      - .offset:         88
        .size:           4
        .value_kind:     by_value
      - .offset:         92
        .size:           12
        .value_kind:     by_value
      - .offset:         104
        .size:           4
        .value_kind:     by_value
      - .offset:         108
        .size:           4
        .value_kind:     by_value
      - .offset:         112
        .size:           4
        .value_kind:     by_value
      - .offset:         116
        .size:           4
        .value_kind:     by_value
      - .offset:         120
        .size:           4
        .value_kind:     by_value
      - .offset:         124
        .size:           4
        .value_kind:     by_value
      - .offset:         128
        .size:           4
        .value_kind:     by_value
      - .offset:         132
        .size:           4
        .value_kind:     by_value
      - .offset:         136
        .size:           4
        .value_kind:     by_value
      - .offset:         140
        .size:           4
        .value_kind:     by_value
      - .offset:         144
        .size:           4
        .value_kind:     by_value
      - .offset:         152
        .size:           8
        .value_kind:     by_value
      - .offset:         160
        .size:           4
        .value_kind:     by_value
      - .offset:         164
        .size:           4
        .value_kind:     by_value
      - .offset:         168
        .size:           8
        .value_kind:     by_value
      - .offset:         176
        .size:           4
        .value_kind:     by_value
      - .offset:         180
        .size:           4
        .value_kind:     by_value
      - .offset:         184
        .size:           4
        .value_kind:     by_value
      - .offset:         188
        .size:           4
        .value_kind:     by_value
      - .offset:         192
        .size:           4
        .value_kind:     by_value
      - .offset:         200
        .size:           8
        .value_kind:     by_value
      - .offset:         208
        .size:           4
        .value_kind:     hidden_block_count_x
      - .offset:         212
        .size:           4
        .value_kind:     hidden_block_count_y
      - .offset:         216
        .size:           4
        .value_kind:     hidden_block_count_z
      - .offset:         220
        .size:           2
        .value_kind:     hidden_group_size_x
      - .offset:         222
        .size:           2
        .value_kind:     hidden_group_size_y
      - .offset:         224
        .size:           2
        .value_kind:     hidden_group_size_z
      - .offset:         226
        .size:           2
        .value_kind:     hidden_remainder_x
      - .offset:         228
        .size:           2
        .value_kind:     hidden_remainder_y
      - .offset:         230
        .size:           2
        .value_kind:     hidden_remainder_z
      - .offset:         248
        .size:           8
        .value_kind:     hidden_global_offset_x
      - .offset:         256
        .size:           8
        .value_kind:     hidden_global_offset_y
      - .offset:         264
        .size:           8
        .value_kind:     hidden_global_offset_z
      - .offset:         272
        .size:           2
        .value_kind:     hidden_grid_dims
      - .offset:         328
        .size:           4
        .value_kind:     hidden_dynamic_lds_size
    .group_segment_fixed_size: 0
    .kernarg_segment_align: 8
    .kernarg_segment_size: 464
    .language:       OpenCL C
    .language_version:
      - 2
      - 0
    .max_flat_workgroup_size: 256
    .name:           _ZL18flash_attn_ext_f16ILi112ELi112ELi4ELi4ELb0ELb0EEvPKcS1_S1_S1_S1_PKiPfP15HIP_vector_typeIfLj2EEffffjfiS5_IjLj3EEiiiiiiiiiiiliiliiiiil
    .private_segment_fixed_size: 0
    .sgpr_count:     106
    .sgpr_spill_count: 33
    .symbol:         _ZL18flash_attn_ext_f16ILi112ELi112ELi4ELi4ELb0ELb0EEvPKcS1_S1_S1_S1_PKiPfP15HIP_vector_typeIfLj2EEffffjfiS5_IjLj3EEiiiiiiiiiiiliiliiiiil.kd
    .uniform_work_group_size: 1
    .uses_dynamic_stack: false
    .vgpr_count:     195
    .vgpr_spill_count: 0
    .wavefront_size: 64
  - .agpr_count:     0
    .args:
      - .address_space:  global
        .offset:         0
        .size:           8
        .value_kind:     global_buffer
      - .address_space:  global
        .offset:         8
        .size:           8
        .value_kind:     global_buffer
      - .address_space:  global
        .offset:         16
        .size:           8
        .value_kind:     global_buffer
      - .address_space:  global
        .offset:         24
        .size:           8
        .value_kind:     global_buffer
      - .address_space:  global
        .offset:         32
        .size:           8
        .value_kind:     global_buffer
      - .address_space:  global
        .offset:         40
        .size:           8
        .value_kind:     global_buffer
      - .address_space:  global
        .offset:         48
        .size:           8
        .value_kind:     global_buffer
      - .address_space:  global
        .offset:         56
        .size:           8
        .value_kind:     global_buffer
      - .offset:         64
        .size:           4
        .value_kind:     by_value
      - .offset:         68
        .size:           4
        .value_kind:     by_value
      - .offset:         72
        .size:           4
        .value_kind:     by_value
      - .offset:         76
        .size:           4
        .value_kind:     by_value
      - .offset:         80
        .size:           4
        .value_kind:     by_value
      - .offset:         84
        .size:           4
        .value_kind:     by_value
      - .offset:         88
        .size:           4
        .value_kind:     by_value
      - .offset:         92
        .size:           12
        .value_kind:     by_value
      - .offset:         104
        .size:           4
        .value_kind:     by_value
      - .offset:         108
        .size:           4
        .value_kind:     by_value
      - .offset:         112
        .size:           4
        .value_kind:     by_value
      - .offset:         116
        .size:           4
        .value_kind:     by_value
      - .offset:         120
        .size:           4
        .value_kind:     by_value
      - .offset:         124
        .size:           4
        .value_kind:     by_value
      - .offset:         128
        .size:           4
        .value_kind:     by_value
      - .offset:         132
        .size:           4
        .value_kind:     by_value
      - .offset:         136
        .size:           4
        .value_kind:     by_value
      - .offset:         140
        .size:           4
        .value_kind:     by_value
      - .offset:         144
        .size:           4
        .value_kind:     by_value
      - .offset:         152
        .size:           8
        .value_kind:     by_value
      - .offset:         160
        .size:           4
        .value_kind:     by_value
      - .offset:         164
        .size:           4
        .value_kind:     by_value
      - .offset:         168
        .size:           8
        .value_kind:     by_value
      - .offset:         176
        .size:           4
        .value_kind:     by_value
      - .offset:         180
        .size:           4
        .value_kind:     by_value
      - .offset:         184
        .size:           4
        .value_kind:     by_value
      - .offset:         188
        .size:           4
        .value_kind:     by_value
      - .offset:         192
        .size:           4
        .value_kind:     by_value
      - .offset:         200
        .size:           8
        .value_kind:     by_value
      - .offset:         208
        .size:           4
        .value_kind:     hidden_block_count_x
      - .offset:         212
        .size:           4
        .value_kind:     hidden_block_count_y
      - .offset:         216
        .size:           4
        .value_kind:     hidden_block_count_z
      - .offset:         220
        .size:           2
        .value_kind:     hidden_group_size_x
      - .offset:         222
        .size:           2
        .value_kind:     hidden_group_size_y
      - .offset:         224
        .size:           2
        .value_kind:     hidden_group_size_z
      - .offset:         226
        .size:           2
        .value_kind:     hidden_remainder_x
      - .offset:         228
        .size:           2
        .value_kind:     hidden_remainder_y
      - .offset:         230
        .size:           2
        .value_kind:     hidden_remainder_z
      - .offset:         248
        .size:           8
        .value_kind:     hidden_global_offset_x
      - .offset:         256
        .size:           8
        .value_kind:     hidden_global_offset_y
      - .offset:         264
        .size:           8
        .value_kind:     hidden_global_offset_z
      - .offset:         272
        .size:           2
        .value_kind:     hidden_grid_dims
      - .offset:         288
        .size:           8
        .value_kind:     hidden_hostcall_buffer
    .group_segment_fixed_size: 0
    .kernarg_segment_align: 8
    .kernarg_segment_size: 464
    .language:       OpenCL C
    .language_version:
      - 2
      - 0
    .max_flat_workgroup_size: 256
    .name:           _ZL18flash_attn_ext_f16ILi112ELi112ELi4ELi4ELb1ELb0EEvPKcS1_S1_S1_S1_PKiPfP15HIP_vector_typeIfLj2EEffffjfiS5_IjLj3EEiiiiiiiiiiiliiliiiiil
    .private_segment_fixed_size: 16
    .sgpr_count:     40
    .sgpr_spill_count: 0
    .symbol:         _ZL18flash_attn_ext_f16ILi112ELi112ELi4ELi4ELb1ELb0EEvPKcS1_S1_S1_S1_PKiPfP15HIP_vector_typeIfLj2EEffffjfiS5_IjLj3EEiiiiiiiiiiiliiliiiiil.kd
    .uniform_work_group_size: 1
    .uses_dynamic_stack: false
    .vgpr_count:     52
    .vgpr_spill_count: 0
    .wavefront_size: 64
  - .agpr_count:     0
    .args:
      - .address_space:  global
        .offset:         0
        .size:           8
        .value_kind:     global_buffer
      - .address_space:  global
        .offset:         8
        .size:           8
        .value_kind:     global_buffer
      - .offset:         16
        .size:           4
        .value_kind:     by_value
      - .offset:         20
        .size:           4
        .value_kind:     by_value
      - .offset:         24
        .size:           4
        .value_kind:     by_value
      - .offset:         28
        .size:           4
        .value_kind:     by_value
      - .offset:         32
        .size:           4
        .value_kind:     by_value
      - .offset:         36
        .size:           4
        .value_kind:     by_value
      - .offset:         40
        .size:           12
        .value_kind:     by_value
      - .offset:         52
        .size:           12
        .value_kind:     by_value
      - .offset:         64
        .size:           12
        .value_kind:     by_value
    .group_segment_fixed_size: 0
    .kernarg_segment_align: 8
    .kernarg_segment_size: 76
    .language:       OpenCL C
    .language_version:
      - 2
      - 0
    .max_flat_workgroup_size: 112
    .name:           _ZL33flash_attn_stream_k_fixup_uniformILi112ELi4ELi4EEvPfPK15HIP_vector_typeIfLj2EEiiiiiiS1_IjLj3EES5_S5_
    .private_segment_fixed_size: 0
    .sgpr_count:     26
    .sgpr_spill_count: 0
    .symbol:         _ZL33flash_attn_stream_k_fixup_uniformILi112ELi4ELi4EEvPfPK15HIP_vector_typeIfLj2EEiiiiiiS1_IjLj3EES5_S5_.kd
    .uniform_work_group_size: 1
    .uses_dynamic_stack: false
    .vgpr_count:     17
    .vgpr_spill_count: 0
    .wavefront_size: 64
  - .agpr_count:     0
    .args:
      - .address_space:  global
        .offset:         0
        .size:           8
        .value_kind:     global_buffer
      - .address_space:  global
        .offset:         8
        .size:           8
        .value_kind:     global_buffer
      - .offset:         16
        .size:           4
        .value_kind:     by_value
      - .offset:         20
        .size:           4
        .value_kind:     by_value
      - .offset:         24
        .size:           4
        .value_kind:     by_value
      - .offset:         28
        .size:           4
        .value_kind:     by_value
      - .offset:         32
        .size:           12
        .value_kind:     by_value
      - .offset:         44
        .size:           12
        .value_kind:     by_value
      - .offset:         56
        .size:           12
        .value_kind:     by_value
      - .offset:         68
        .size:           12
        .value_kind:     by_value
      - .offset:         80
        .size:           4
        .value_kind:     hidden_block_count_x
      - .offset:         84
        .size:           4
        .value_kind:     hidden_block_count_y
      - .offset:         88
        .size:           4
        .value_kind:     hidden_block_count_z
      - .offset:         92
        .size:           2
        .value_kind:     hidden_group_size_x
      - .offset:         94
        .size:           2
        .value_kind:     hidden_group_size_y
      - .offset:         96
        .size:           2
        .value_kind:     hidden_group_size_z
      - .offset:         98
        .size:           2
        .value_kind:     hidden_remainder_x
      - .offset:         100
        .size:           2
        .value_kind:     hidden_remainder_y
      - .offset:         102
        .size:           2
        .value_kind:     hidden_remainder_z
      - .offset:         120
        .size:           8
        .value_kind:     hidden_global_offset_x
      - .offset:         128
        .size:           8
        .value_kind:     hidden_global_offset_y
      - .offset:         136
        .size:           8
        .value_kind:     hidden_global_offset_z
      - .offset:         144
        .size:           2
        .value_kind:     hidden_grid_dims
    .group_segment_fixed_size: 0
    .kernarg_segment_align: 8
    .kernarg_segment_size: 336
    .language:       OpenCL C
    .language_version:
      - 2
      - 0
    .max_flat_workgroup_size: 112
    .name:           _ZL33flash_attn_stream_k_fixup_generalILi112ELi4ELi4EEvPfPK15HIP_vector_typeIfLj2EEiiiiS1_IjLj3EES5_S5_S5_
    .private_segment_fixed_size: 0
    .sgpr_count:     42
    .sgpr_spill_count: 0
    .symbol:         _ZL33flash_attn_stream_k_fixup_generalILi112ELi4ELi4EEvPfPK15HIP_vector_typeIfLj2EEiiiiS1_IjLj3EES5_S5_S5_.kd
    .uniform_work_group_size: 1
    .uses_dynamic_stack: false
    .vgpr_count:     18
    .vgpr_spill_count: 0
    .wavefront_size: 64
  - .agpr_count:     0
    .args:
      - .address_space:  global
        .offset:         0
        .size:           8
        .value_kind:     global_buffer
      - .address_space:  global
        .offset:         8
        .size:           8
        .value_kind:     global_buffer
      - .address_space:  global
        .offset:         16
        .size:           8
        .value_kind:     global_buffer
      - .offset:         24
        .size:           4
        .value_kind:     by_value
      - .offset:         32
        .size:           4
        .value_kind:     hidden_block_count_x
      - .offset:         36
        .size:           4
        .value_kind:     hidden_block_count_y
      - .offset:         40
        .size:           4
        .value_kind:     hidden_block_count_z
      - .offset:         44
        .size:           2
        .value_kind:     hidden_group_size_x
      - .offset:         46
        .size:           2
        .value_kind:     hidden_group_size_y
      - .offset:         48
        .size:           2
        .value_kind:     hidden_group_size_z
      - .offset:         50
        .size:           2
        .value_kind:     hidden_remainder_x
      - .offset:         52
        .size:           2
        .value_kind:     hidden_remainder_y
      - .offset:         54
        .size:           2
        .value_kind:     hidden_remainder_z
      - .offset:         72
        .size:           8
        .value_kind:     hidden_global_offset_x
      - .offset:         80
        .size:           8
        .value_kind:     hidden_global_offset_y
      - .offset:         88
        .size:           8
        .value_kind:     hidden_global_offset_z
      - .offset:         96
        .size:           2
        .value_kind:     hidden_grid_dims
      - .offset:         152
        .size:           4
        .value_kind:     hidden_dynamic_lds_size
    .group_segment_fixed_size: 0
    .kernarg_segment_align: 8
    .kernarg_segment_size: 288
    .language:       OpenCL C
    .language_version:
      - 2
      - 0
    .max_flat_workgroup_size: 112
    .name:           _ZL26flash_attn_combine_resultsILi112EEvPKfPK15HIP_vector_typeIfLj2EEPfi
    .private_segment_fixed_size: 0
    .sgpr_count:     36
    .sgpr_spill_count: 0
    .symbol:         _ZL26flash_attn_combine_resultsILi112EEvPKfPK15HIP_vector_typeIfLj2EEPfi.kd
    .uniform_work_group_size: 1
    .uses_dynamic_stack: false
    .vgpr_count:     57
    .vgpr_spill_count: 0
    .wavefront_size: 64
  - .agpr_count:     0
    .args:
      - .address_space:  global
        .offset:         0
        .size:           8
        .value_kind:     global_buffer
      - .address_space:  global
        .offset:         8
        .size:           8
        .value_kind:     global_buffer
      - .address_space:  global
        .offset:         16
        .size:           8
        .value_kind:     global_buffer
      - .address_space:  global
        .offset:         24
        .size:           8
        .value_kind:     global_buffer
      - .address_space:  global
        .offset:         32
        .size:           8
        .value_kind:     global_buffer
      - .address_space:  global
        .offset:         40
        .size:           8
        .value_kind:     global_buffer
      - .address_space:  global
        .offset:         48
        .size:           8
        .value_kind:     global_buffer
      - .address_space:  global
        .offset:         56
        .size:           8
        .value_kind:     global_buffer
      - .offset:         64
        .size:           4
        .value_kind:     by_value
      - .offset:         68
        .size:           4
        .value_kind:     by_value
      - .offset:         72
        .size:           4
        .value_kind:     by_value
      - .offset:         76
        .size:           4
        .value_kind:     by_value
      - .offset:         80
        .size:           4
        .value_kind:     by_value
      - .offset:         84
        .size:           4
        .value_kind:     by_value
      - .offset:         88
        .size:           4
        .value_kind:     by_value
      - .offset:         92
        .size:           12
        .value_kind:     by_value
      - .offset:         104
        .size:           4
        .value_kind:     by_value
      - .offset:         108
        .size:           4
        .value_kind:     by_value
      - .offset:         112
        .size:           4
        .value_kind:     by_value
      - .offset:         116
        .size:           4
        .value_kind:     by_value
      - .offset:         120
        .size:           4
        .value_kind:     by_value
      - .offset:         124
        .size:           4
        .value_kind:     by_value
      - .offset:         128
        .size:           4
        .value_kind:     by_value
      - .offset:         132
        .size:           4
        .value_kind:     by_value
      - .offset:         136
        .size:           4
        .value_kind:     by_value
      - .offset:         140
        .size:           4
        .value_kind:     by_value
      - .offset:         144
        .size:           4
        .value_kind:     by_value
      - .offset:         152
        .size:           8
        .value_kind:     by_value
      - .offset:         160
        .size:           4
        .value_kind:     by_value
      - .offset:         164
        .size:           4
        .value_kind:     by_value
      - .offset:         168
        .size:           8
        .value_kind:     by_value
      - .offset:         176
        .size:           4
        .value_kind:     by_value
      - .offset:         180
        .size:           4
        .value_kind:     by_value
      - .offset:         184
        .size:           4
        .value_kind:     by_value
      - .offset:         188
        .size:           4
        .value_kind:     by_value
      - .offset:         192
        .size:           4
        .value_kind:     by_value
      - .offset:         200
        .size:           8
        .value_kind:     by_value
      - .offset:         208
        .size:           4
        .value_kind:     hidden_block_count_x
      - .offset:         212
        .size:           4
        .value_kind:     hidden_block_count_y
      - .offset:         216
        .size:           4
        .value_kind:     hidden_block_count_z
      - .offset:         220
        .size:           2
        .value_kind:     hidden_group_size_x
      - .offset:         222
        .size:           2
        .value_kind:     hidden_group_size_y
      - .offset:         224
        .size:           2
        .value_kind:     hidden_group_size_z
      - .offset:         226
        .size:           2
        .value_kind:     hidden_remainder_x
      - .offset:         228
        .size:           2
        .value_kind:     hidden_remainder_y
      - .offset:         230
        .size:           2
        .value_kind:     hidden_remainder_z
      - .offset:         248
        .size:           8
        .value_kind:     hidden_global_offset_x
      - .offset:         256
        .size:           8
        .value_kind:     hidden_global_offset_y
      - .offset:         264
        .size:           8
        .value_kind:     hidden_global_offset_z
      - .offset:         272
        .size:           2
        .value_kind:     hidden_grid_dims
      - .offset:         328
        .size:           4
        .value_kind:     hidden_dynamic_lds_size
    .group_segment_fixed_size: 0
    .kernarg_segment_align: 8
    .kernarg_segment_size: 464
    .language:       OpenCL C
    .language_version:
      - 2
      - 0
    .max_flat_workgroup_size: 256
    .name:           _ZL18flash_attn_ext_f16ILi128ELi128ELi4ELi4ELb0ELb0EEvPKcS1_S1_S1_S1_PKiPfP15HIP_vector_typeIfLj2EEffffjfiS5_IjLj3EEiiiiiiiiiiiliiliiiiil
    .private_segment_fixed_size: 0
    .sgpr_count:     106
    .sgpr_spill_count: 24
    .symbol:         _ZL18flash_attn_ext_f16ILi128ELi128ELi4ELi4ELb0ELb0EEvPKcS1_S1_S1_S1_PKiPfP15HIP_vector_typeIfLj2EEffffjfiS5_IjLj3EEiiiiiiiiiiiliiliiiiil.kd
    .uniform_work_group_size: 1
    .uses_dynamic_stack: false
    .vgpr_count:     201
    .vgpr_spill_count: 0
    .wavefront_size: 64
  - .agpr_count:     0
    .args:
      - .address_space:  global
        .offset:         0
        .size:           8
        .value_kind:     global_buffer
      - .address_space:  global
        .offset:         8
        .size:           8
        .value_kind:     global_buffer
      - .address_space:  global
        .offset:         16
        .size:           8
        .value_kind:     global_buffer
      - .address_space:  global
        .offset:         24
        .size:           8
        .value_kind:     global_buffer
      - .address_space:  global
        .offset:         32
        .size:           8
        .value_kind:     global_buffer
      - .address_space:  global
        .offset:         40
        .size:           8
        .value_kind:     global_buffer
      - .address_space:  global
        .offset:         48
        .size:           8
        .value_kind:     global_buffer
      - .address_space:  global
        .offset:         56
        .size:           8
        .value_kind:     global_buffer
      - .offset:         64
        .size:           4
        .value_kind:     by_value
      - .offset:         68
        .size:           4
        .value_kind:     by_value
      - .offset:         72
        .size:           4
        .value_kind:     by_value
      - .offset:         76
        .size:           4
        .value_kind:     by_value
      - .offset:         80
        .size:           4
        .value_kind:     by_value
      - .offset:         84
        .size:           4
        .value_kind:     by_value
      - .offset:         88
        .size:           4
        .value_kind:     by_value
      - .offset:         92
        .size:           12
        .value_kind:     by_value
      - .offset:         104
        .size:           4
        .value_kind:     by_value
      - .offset:         108
        .size:           4
        .value_kind:     by_value
      - .offset:         112
        .size:           4
        .value_kind:     by_value
      - .offset:         116
        .size:           4
        .value_kind:     by_value
      - .offset:         120
        .size:           4
        .value_kind:     by_value
      - .offset:         124
        .size:           4
        .value_kind:     by_value
      - .offset:         128
        .size:           4
        .value_kind:     by_value
      - .offset:         132
        .size:           4
        .value_kind:     by_value
      - .offset:         136
        .size:           4
        .value_kind:     by_value
      - .offset:         140
        .size:           4
        .value_kind:     by_value
      - .offset:         144
        .size:           4
        .value_kind:     by_value
      - .offset:         152
        .size:           8
        .value_kind:     by_value
      - .offset:         160
        .size:           4
        .value_kind:     by_value
      - .offset:         164
        .size:           4
        .value_kind:     by_value
      - .offset:         168
        .size:           8
        .value_kind:     by_value
      - .offset:         176
        .size:           4
        .value_kind:     by_value
      - .offset:         180
        .size:           4
        .value_kind:     by_value
      - .offset:         184
        .size:           4
        .value_kind:     by_value
      - .offset:         188
        .size:           4
        .value_kind:     by_value
      - .offset:         192
        .size:           4
        .value_kind:     by_value
      - .offset:         200
        .size:           8
        .value_kind:     by_value
      - .offset:         208
        .size:           4
        .value_kind:     hidden_block_count_x
      - .offset:         212
        .size:           4
        .value_kind:     hidden_block_count_y
      - .offset:         216
        .size:           4
        .value_kind:     hidden_block_count_z
      - .offset:         220
        .size:           2
        .value_kind:     hidden_group_size_x
      - .offset:         222
        .size:           2
        .value_kind:     hidden_group_size_y
      - .offset:         224
        .size:           2
        .value_kind:     hidden_group_size_z
      - .offset:         226
        .size:           2
        .value_kind:     hidden_remainder_x
      - .offset:         228
        .size:           2
        .value_kind:     hidden_remainder_y
      - .offset:         230
        .size:           2
        .value_kind:     hidden_remainder_z
      - .offset:         248
        .size:           8
        .value_kind:     hidden_global_offset_x
      - .offset:         256
        .size:           8
        .value_kind:     hidden_global_offset_y
      - .offset:         264
        .size:           8
        .value_kind:     hidden_global_offset_z
      - .offset:         272
        .size:           2
        .value_kind:     hidden_grid_dims
      - .offset:         328
        .size:           4
        .value_kind:     hidden_dynamic_lds_size
    .group_segment_fixed_size: 0
    .kernarg_segment_align: 8
    .kernarg_segment_size: 464
    .language:       OpenCL C
    .language_version:
      - 2
      - 0
    .max_flat_workgroup_size: 256
    .name:           _ZL18flash_attn_ext_f16ILi128ELi128ELi4ELi4ELb1ELb0EEvPKcS1_S1_S1_S1_PKiPfP15HIP_vector_typeIfLj2EEffffjfiS5_IjLj3EEiiiiiiiiiiiliiliiiiil
    .private_segment_fixed_size: 0
    .sgpr_count:     106
    .sgpr_spill_count: 27
    .symbol:         _ZL18flash_attn_ext_f16ILi128ELi128ELi4ELi4ELb1ELb0EEvPKcS1_S1_S1_S1_PKiPfP15HIP_vector_typeIfLj2EEffffjfiS5_IjLj3EEiiiiiiiiiiiliiliiiiil.kd
    .uniform_work_group_size: 1
    .uses_dynamic_stack: false
    .vgpr_count:     201
    .vgpr_spill_count: 0
    .wavefront_size: 64
  - .agpr_count:     0
    .args:
      - .address_space:  global
        .offset:         0
        .size:           8
        .value_kind:     global_buffer
      - .address_space:  global
        .offset:         8
        .size:           8
        .value_kind:     global_buffer
      - .offset:         16
        .size:           4
        .value_kind:     by_value
      - .offset:         20
        .size:           4
        .value_kind:     by_value
      - .offset:         24
        .size:           4
        .value_kind:     by_value
      - .offset:         28
        .size:           4
        .value_kind:     by_value
      - .offset:         32
        .size:           4
        .value_kind:     by_value
      - .offset:         36
        .size:           4
        .value_kind:     by_value
      - .offset:         40
        .size:           12
        .value_kind:     by_value
      - .offset:         52
        .size:           12
        .value_kind:     by_value
      - .offset:         64
        .size:           12
        .value_kind:     by_value
    .group_segment_fixed_size: 0
    .kernarg_segment_align: 8
    .kernarg_segment_size: 76
    .language:       OpenCL C
    .language_version:
      - 2
      - 0
    .max_flat_workgroup_size: 128
    .name:           _ZL33flash_attn_stream_k_fixup_uniformILi128ELi4ELi4EEvPfPK15HIP_vector_typeIfLj2EEiiiiiiS1_IjLj3EES5_S5_
    .private_segment_fixed_size: 0
    .sgpr_count:     30
    .sgpr_spill_count: 0
    .symbol:         _ZL33flash_attn_stream_k_fixup_uniformILi128ELi4ELi4EEvPfPK15HIP_vector_typeIfLj2EEiiiiiiS1_IjLj3EES5_S5_.kd
    .uniform_work_group_size: 1
    .uses_dynamic_stack: false
    .vgpr_count:     17
    .vgpr_spill_count: 0
    .wavefront_size: 64
  - .agpr_count:     0
    .args:
      - .address_space:  global
        .offset:         0
        .size:           8
        .value_kind:     global_buffer
      - .address_space:  global
        .offset:         8
        .size:           8
        .value_kind:     global_buffer
      - .offset:         16
        .size:           4
        .value_kind:     by_value
      - .offset:         20
        .size:           4
        .value_kind:     by_value
      - .offset:         24
        .size:           4
        .value_kind:     by_value
      - .offset:         28
        .size:           4
        .value_kind:     by_value
      - .offset:         32
        .size:           12
        .value_kind:     by_value
      - .offset:         44
        .size:           12
        .value_kind:     by_value
      - .offset:         56
        .size:           12
        .value_kind:     by_value
      - .offset:         68
        .size:           12
        .value_kind:     by_value
      - .offset:         80
        .size:           4
        .value_kind:     hidden_block_count_x
      - .offset:         84
        .size:           4
        .value_kind:     hidden_block_count_y
      - .offset:         88
        .size:           4
        .value_kind:     hidden_block_count_z
      - .offset:         92
        .size:           2
        .value_kind:     hidden_group_size_x
      - .offset:         94
        .size:           2
        .value_kind:     hidden_group_size_y
      - .offset:         96
        .size:           2
        .value_kind:     hidden_group_size_z
      - .offset:         98
        .size:           2
        .value_kind:     hidden_remainder_x
      - .offset:         100
        .size:           2
        .value_kind:     hidden_remainder_y
      - .offset:         102
        .size:           2
        .value_kind:     hidden_remainder_z
      - .offset:         120
        .size:           8
        .value_kind:     hidden_global_offset_x
      - .offset:         128
        .size:           8
        .value_kind:     hidden_global_offset_y
      - .offset:         136
        .size:           8
        .value_kind:     hidden_global_offset_z
      - .offset:         144
        .size:           2
        .value_kind:     hidden_grid_dims
    .group_segment_fixed_size: 0
    .kernarg_segment_align: 8
    .kernarg_segment_size: 336
    .language:       OpenCL C
    .language_version:
      - 2
      - 0
    .max_flat_workgroup_size: 128
    .name:           _ZL33flash_attn_stream_k_fixup_generalILi128ELi4ELi4EEvPfPK15HIP_vector_typeIfLj2EEiiiiS1_IjLj3EES5_S5_S5_
    .private_segment_fixed_size: 0
    .sgpr_count:     42
    .sgpr_spill_count: 0
    .symbol:         _ZL33flash_attn_stream_k_fixup_generalILi128ELi4ELi4EEvPfPK15HIP_vector_typeIfLj2EEiiiiS1_IjLj3EES5_S5_S5_.kd
    .uniform_work_group_size: 1
    .uses_dynamic_stack: false
    .vgpr_count:     18
    .vgpr_spill_count: 0
    .wavefront_size: 64
  - .agpr_count:     0
    .args:
      - .address_space:  global
        .offset:         0
        .size:           8
        .value_kind:     global_buffer
      - .address_space:  global
        .offset:         8
        .size:           8
        .value_kind:     global_buffer
      - .address_space:  global
        .offset:         16
        .size:           8
        .value_kind:     global_buffer
      - .offset:         24
        .size:           4
        .value_kind:     by_value
      - .offset:         32
        .size:           4
        .value_kind:     hidden_block_count_x
      - .offset:         36
        .size:           4
        .value_kind:     hidden_block_count_y
      - .offset:         40
        .size:           4
        .value_kind:     hidden_block_count_z
      - .offset:         44
        .size:           2
        .value_kind:     hidden_group_size_x
      - .offset:         46
        .size:           2
        .value_kind:     hidden_group_size_y
      - .offset:         48
        .size:           2
        .value_kind:     hidden_group_size_z
      - .offset:         50
        .size:           2
        .value_kind:     hidden_remainder_x
      - .offset:         52
        .size:           2
        .value_kind:     hidden_remainder_y
      - .offset:         54
        .size:           2
        .value_kind:     hidden_remainder_z
      - .offset:         72
        .size:           8
        .value_kind:     hidden_global_offset_x
      - .offset:         80
        .size:           8
        .value_kind:     hidden_global_offset_y
      - .offset:         88
        .size:           8
        .value_kind:     hidden_global_offset_z
      - .offset:         96
        .size:           2
        .value_kind:     hidden_grid_dims
      - .offset:         152
        .size:           4
        .value_kind:     hidden_dynamic_lds_size
    .group_segment_fixed_size: 0
    .kernarg_segment_align: 8
    .kernarg_segment_size: 288
    .language:       OpenCL C
    .language_version:
      - 2
      - 0
    .max_flat_workgroup_size: 128
    .name:           _ZL26flash_attn_combine_resultsILi128EEvPKfPK15HIP_vector_typeIfLj2EEPfi
    .private_segment_fixed_size: 0
    .sgpr_count:     32
    .sgpr_spill_count: 0
    .symbol:         _ZL26flash_attn_combine_resultsILi128EEvPKfPK15HIP_vector_typeIfLj2EEPfi.kd
    .uniform_work_group_size: 1
    .uses_dynamic_stack: false
    .vgpr_count:     59
    .vgpr_spill_count: 0
    .wavefront_size: 64
  - .agpr_count:     84
    .args:
      - .address_space:  global
        .offset:         0
        .size:           8
        .value_kind:     global_buffer
      - .address_space:  global
        .offset:         8
        .size:           8
        .value_kind:     global_buffer
      - .address_space:  global
        .offset:         16
        .size:           8
        .value_kind:     global_buffer
      - .address_space:  global
        .offset:         24
        .size:           8
        .value_kind:     global_buffer
      - .address_space:  global
        .offset:         32
        .size:           8
        .value_kind:     global_buffer
      - .address_space:  global
        .offset:         40
        .size:           8
        .value_kind:     global_buffer
      - .address_space:  global
        .offset:         48
        .size:           8
        .value_kind:     global_buffer
      - .address_space:  global
        .offset:         56
        .size:           8
        .value_kind:     global_buffer
      - .offset:         64
        .size:           4
        .value_kind:     by_value
      - .offset:         68
        .size:           4
        .value_kind:     by_value
      - .offset:         72
        .size:           4
        .value_kind:     by_value
      - .offset:         76
        .size:           4
        .value_kind:     by_value
      - .offset:         80
        .size:           4
        .value_kind:     by_value
      - .offset:         84
        .size:           4
        .value_kind:     by_value
      - .offset:         88
        .size:           4
        .value_kind:     by_value
      - .offset:         92
        .size:           12
        .value_kind:     by_value
      - .offset:         104
        .size:           4
        .value_kind:     by_value
      - .offset:         108
        .size:           4
        .value_kind:     by_value
      - .offset:         112
        .size:           4
        .value_kind:     by_value
      - .offset:         116
        .size:           4
        .value_kind:     by_value
      - .offset:         120
        .size:           4
        .value_kind:     by_value
      - .offset:         124
        .size:           4
        .value_kind:     by_value
      - .offset:         128
        .size:           4
        .value_kind:     by_value
      - .offset:         132
        .size:           4
        .value_kind:     by_value
      - .offset:         136
        .size:           4
        .value_kind:     by_value
      - .offset:         140
        .size:           4
        .value_kind:     by_value
      - .offset:         144
        .size:           4
        .value_kind:     by_value
      - .offset:         152
        .size:           8
        .value_kind:     by_value
      - .offset:         160
        .size:           4
        .value_kind:     by_value
      - .offset:         164
        .size:           4
        .value_kind:     by_value
      - .offset:         168
        .size:           8
        .value_kind:     by_value
      - .offset:         176
        .size:           4
        .value_kind:     by_value
      - .offset:         180
        .size:           4
        .value_kind:     by_value
      - .offset:         184
        .size:           4
        .value_kind:     by_value
      - .offset:         188
        .size:           4
        .value_kind:     by_value
      - .offset:         192
        .size:           4
        .value_kind:     by_value
      - .offset:         200
        .size:           8
        .value_kind:     by_value
      - .offset:         208
        .size:           4
        .value_kind:     hidden_block_count_x
      - .offset:         212
        .size:           4
        .value_kind:     hidden_block_count_y
      - .offset:         216
        .size:           4
        .value_kind:     hidden_block_count_z
      - .offset:         220
        .size:           2
        .value_kind:     hidden_group_size_x
      - .offset:         222
        .size:           2
        .value_kind:     hidden_group_size_y
      - .offset:         224
        .size:           2
        .value_kind:     hidden_group_size_z
      - .offset:         226
        .size:           2
        .value_kind:     hidden_remainder_x
      - .offset:         228
        .size:           2
        .value_kind:     hidden_remainder_y
      - .offset:         230
        .size:           2
        .value_kind:     hidden_remainder_z
      - .offset:         248
        .size:           8
        .value_kind:     hidden_global_offset_x
      - .offset:         256
        .size:           8
        .value_kind:     hidden_global_offset_y
      - .offset:         264
        .size:           8
        .value_kind:     hidden_global_offset_z
      - .offset:         272
        .size:           2
        .value_kind:     hidden_grid_dims
      - .offset:         328
        .size:           4
        .value_kind:     hidden_dynamic_lds_size
    .group_segment_fixed_size: 0
    .kernarg_segment_align: 8
    .kernarg_segment_size: 464
    .language:       OpenCL C
    .language_version:
      - 2
      - 0
    .max_flat_workgroup_size: 256
    .name:           _ZL18flash_attn_ext_f16ILi256ELi256ELi4ELi4ELb0ELb0EEvPKcS1_S1_S1_S1_PKiPfP15HIP_vector_typeIfLj2EEffffjfiS5_IjLj3EEiiiiiiiiiiiliiliiiiil
    .private_segment_fixed_size: 0
    .sgpr_count:     99
    .sgpr_spill_count: 0
    .symbol:         _ZL18flash_attn_ext_f16ILi256ELi256ELi4ELi4ELb0ELb0EEvPKcS1_S1_S1_S1_PKiPfP15HIP_vector_typeIfLj2EEffffjfiS5_IjLj3EEiiiiiiiiiiiliiliiiiil.kd
    .uniform_work_group_size: 1
    .uses_dynamic_stack: false
    .vgpr_count:     340
    .vgpr_spill_count: 0
    .wavefront_size: 64
  - .agpr_count:     86
    .args:
      - .address_space:  global
        .offset:         0
        .size:           8
        .value_kind:     global_buffer
      - .address_space:  global
        .offset:         8
        .size:           8
        .value_kind:     global_buffer
      - .address_space:  global
        .offset:         16
        .size:           8
        .value_kind:     global_buffer
      - .address_space:  global
        .offset:         24
        .size:           8
        .value_kind:     global_buffer
      - .address_space:  global
        .offset:         32
        .size:           8
        .value_kind:     global_buffer
      - .address_space:  global
        .offset:         40
        .size:           8
        .value_kind:     global_buffer
      - .address_space:  global
        .offset:         48
        .size:           8
        .value_kind:     global_buffer
      - .address_space:  global
        .offset:         56
        .size:           8
        .value_kind:     global_buffer
      - .offset:         64
        .size:           4
        .value_kind:     by_value
      - .offset:         68
        .size:           4
        .value_kind:     by_value
      - .offset:         72
        .size:           4
        .value_kind:     by_value
      - .offset:         76
        .size:           4
        .value_kind:     by_value
      - .offset:         80
        .size:           4
        .value_kind:     by_value
      - .offset:         84
        .size:           4
        .value_kind:     by_value
      - .offset:         88
        .size:           4
        .value_kind:     by_value
      - .offset:         92
        .size:           12
        .value_kind:     by_value
      - .offset:         104
        .size:           4
        .value_kind:     by_value
      - .offset:         108
        .size:           4
        .value_kind:     by_value
      - .offset:         112
        .size:           4
        .value_kind:     by_value
      - .offset:         116
        .size:           4
        .value_kind:     by_value
      - .offset:         120
        .size:           4
        .value_kind:     by_value
      - .offset:         124
        .size:           4
        .value_kind:     by_value
      - .offset:         128
        .size:           4
        .value_kind:     by_value
      - .offset:         132
        .size:           4
        .value_kind:     by_value
      - .offset:         136
        .size:           4
        .value_kind:     by_value
      - .offset:         140
        .size:           4
        .value_kind:     by_value
      - .offset:         144
        .size:           4
        .value_kind:     by_value
      - .offset:         152
        .size:           8
        .value_kind:     by_value
      - .offset:         160
        .size:           4
        .value_kind:     by_value
      - .offset:         164
        .size:           4
        .value_kind:     by_value
      - .offset:         168
        .size:           8
        .value_kind:     by_value
      - .offset:         176
        .size:           4
        .value_kind:     by_value
      - .offset:         180
        .size:           4
        .value_kind:     by_value
      - .offset:         184
        .size:           4
        .value_kind:     by_value
      - .offset:         188
        .size:           4
        .value_kind:     by_value
      - .offset:         192
        .size:           4
        .value_kind:     by_value
      - .offset:         200
        .size:           8
        .value_kind:     by_value
      - .offset:         208
        .size:           4
        .value_kind:     hidden_block_count_x
      - .offset:         212
        .size:           4
        .value_kind:     hidden_block_count_y
      - .offset:         216
        .size:           4
        .value_kind:     hidden_block_count_z
      - .offset:         220
        .size:           2
        .value_kind:     hidden_group_size_x
      - .offset:         222
        .size:           2
        .value_kind:     hidden_group_size_y
      - .offset:         224
        .size:           2
        .value_kind:     hidden_group_size_z
      - .offset:         226
        .size:           2
        .value_kind:     hidden_remainder_x
      - .offset:         228
        .size:           2
        .value_kind:     hidden_remainder_y
      - .offset:         230
        .size:           2
        .value_kind:     hidden_remainder_z
      - .offset:         248
        .size:           8
        .value_kind:     hidden_global_offset_x
      - .offset:         256
        .size:           8
        .value_kind:     hidden_global_offset_y
      - .offset:         264
        .size:           8
        .value_kind:     hidden_global_offset_z
      - .offset:         272
        .size:           2
        .value_kind:     hidden_grid_dims
      - .offset:         328
        .size:           4
        .value_kind:     hidden_dynamic_lds_size
    .group_segment_fixed_size: 0
    .kernarg_segment_align: 8
    .kernarg_segment_size: 464
    .language:       OpenCL C
    .language_version:
      - 2
      - 0
    .max_flat_workgroup_size: 256
    .name:           _ZL18flash_attn_ext_f16ILi256ELi256ELi4ELi4ELb1ELb0EEvPKcS1_S1_S1_S1_PKiPfP15HIP_vector_typeIfLj2EEffffjfiS5_IjLj3EEiiiiiiiiiiiliiliiiiil
    .private_segment_fixed_size: 0
    .sgpr_count:     102
    .sgpr_spill_count: 0
    .symbol:         _ZL18flash_attn_ext_f16ILi256ELi256ELi4ELi4ELb1ELb0EEvPKcS1_S1_S1_S1_PKiPfP15HIP_vector_typeIfLj2EEffffjfiS5_IjLj3EEiiiiiiiiiiiliiliiiiil.kd
    .uniform_work_group_size: 1
    .uses_dynamic_stack: false
    .vgpr_count:     342
    .vgpr_spill_count: 0
    .wavefront_size: 64
  - .agpr_count:     0
    .args:
      - .address_space:  global
        .offset:         0
        .size:           8
        .value_kind:     global_buffer
      - .address_space:  global
        .offset:         8
        .size:           8
        .value_kind:     global_buffer
      - .offset:         16
        .size:           4
        .value_kind:     by_value
      - .offset:         20
        .size:           4
        .value_kind:     by_value
      - .offset:         24
        .size:           4
        .value_kind:     by_value
      - .offset:         28
        .size:           4
        .value_kind:     by_value
      - .offset:         32
        .size:           4
        .value_kind:     by_value
      - .offset:         36
        .size:           4
        .value_kind:     by_value
      - .offset:         40
        .size:           12
        .value_kind:     by_value
      - .offset:         52
        .size:           12
        .value_kind:     by_value
      - .offset:         64
        .size:           12
        .value_kind:     by_value
    .group_segment_fixed_size: 0
    .kernarg_segment_align: 8
    .kernarg_segment_size: 76
    .language:       OpenCL C
    .language_version:
      - 2
      - 0
    .max_flat_workgroup_size: 256
    .name:           _ZL33flash_attn_stream_k_fixup_uniformILi256ELi4ELi4EEvPfPK15HIP_vector_typeIfLj2EEiiiiiiS1_IjLj3EES5_S5_
    .private_segment_fixed_size: 0
    .sgpr_count:     30
    .sgpr_spill_count: 0
    .symbol:         _ZL33flash_attn_stream_k_fixup_uniformILi256ELi4ELi4EEvPfPK15HIP_vector_typeIfLj2EEiiiiiiS1_IjLj3EES5_S5_.kd
    .uniform_work_group_size: 1
    .uses_dynamic_stack: false
    .vgpr_count:     17
    .vgpr_spill_count: 0
    .wavefront_size: 64
  - .agpr_count:     0
    .args:
      - .address_space:  global
        .offset:         0
        .size:           8
        .value_kind:     global_buffer
      - .address_space:  global
        .offset:         8
        .size:           8
        .value_kind:     global_buffer
      - .offset:         16
        .size:           4
        .value_kind:     by_value
      - .offset:         20
        .size:           4
        .value_kind:     by_value
      - .offset:         24
        .size:           4
        .value_kind:     by_value
      - .offset:         28
        .size:           4
        .value_kind:     by_value
      - .offset:         32
        .size:           12
        .value_kind:     by_value
      - .offset:         44
        .size:           12
        .value_kind:     by_value
      - .offset:         56
        .size:           12
        .value_kind:     by_value
      - .offset:         68
        .size:           12
        .value_kind:     by_value
      - .offset:         80
        .size:           4
        .value_kind:     hidden_block_count_x
      - .offset:         84
        .size:           4
        .value_kind:     hidden_block_count_y
      - .offset:         88
        .size:           4
        .value_kind:     hidden_block_count_z
      - .offset:         92
        .size:           2
        .value_kind:     hidden_group_size_x
      - .offset:         94
        .size:           2
        .value_kind:     hidden_group_size_y
      - .offset:         96
        .size:           2
        .value_kind:     hidden_group_size_z
      - .offset:         98
        .size:           2
        .value_kind:     hidden_remainder_x
      - .offset:         100
        .size:           2
        .value_kind:     hidden_remainder_y
      - .offset:         102
        .size:           2
        .value_kind:     hidden_remainder_z
      - .offset:         120
        .size:           8
        .value_kind:     hidden_global_offset_x
      - .offset:         128
        .size:           8
        .value_kind:     hidden_global_offset_y
      - .offset:         136
        .size:           8
        .value_kind:     hidden_global_offset_z
      - .offset:         144
        .size:           2
        .value_kind:     hidden_grid_dims
    .group_segment_fixed_size: 0
    .kernarg_segment_align: 8
    .kernarg_segment_size: 336
    .language:       OpenCL C
    .language_version:
      - 2
      - 0
    .max_flat_workgroup_size: 256
    .name:           _ZL33flash_attn_stream_k_fixup_generalILi256ELi4ELi4EEvPfPK15HIP_vector_typeIfLj2EEiiiiS1_IjLj3EES5_S5_S5_
    .private_segment_fixed_size: 0
    .sgpr_count:     42
    .sgpr_spill_count: 0
    .symbol:         _ZL33flash_attn_stream_k_fixup_generalILi256ELi4ELi4EEvPfPK15HIP_vector_typeIfLj2EEiiiiS1_IjLj3EES5_S5_S5_.kd
    .uniform_work_group_size: 1
    .uses_dynamic_stack: false
    .vgpr_count:     18
    .vgpr_spill_count: 0
    .wavefront_size: 64
  - .agpr_count:     0
    .args:
      - .address_space:  global
        .offset:         0
        .size:           8
        .value_kind:     global_buffer
      - .address_space:  global
        .offset:         8
        .size:           8
        .value_kind:     global_buffer
      - .address_space:  global
        .offset:         16
        .size:           8
        .value_kind:     global_buffer
      - .offset:         24
        .size:           4
        .value_kind:     by_value
      - .offset:         32
        .size:           4
        .value_kind:     hidden_block_count_x
      - .offset:         36
        .size:           4
        .value_kind:     hidden_block_count_y
      - .offset:         40
        .size:           4
        .value_kind:     hidden_block_count_z
      - .offset:         44
        .size:           2
        .value_kind:     hidden_group_size_x
      - .offset:         46
        .size:           2
        .value_kind:     hidden_group_size_y
      - .offset:         48
        .size:           2
        .value_kind:     hidden_group_size_z
      - .offset:         50
        .size:           2
        .value_kind:     hidden_remainder_x
      - .offset:         52
        .size:           2
        .value_kind:     hidden_remainder_y
      - .offset:         54
        .size:           2
        .value_kind:     hidden_remainder_z
      - .offset:         72
        .size:           8
        .value_kind:     hidden_global_offset_x
      - .offset:         80
        .size:           8
        .value_kind:     hidden_global_offset_y
      - .offset:         88
        .size:           8
        .value_kind:     hidden_global_offset_z
      - .offset:         96
        .size:           2
        .value_kind:     hidden_grid_dims
      - .offset:         152
        .size:           4
        .value_kind:     hidden_dynamic_lds_size
    .group_segment_fixed_size: 0
    .kernarg_segment_align: 8
    .kernarg_segment_size: 288
    .language:       OpenCL C
    .language_version:
      - 2
      - 0
    .max_flat_workgroup_size: 256
    .name:           _ZL26flash_attn_combine_resultsILi256EEvPKfPK15HIP_vector_typeIfLj2EEPfi
    .private_segment_fixed_size: 0
    .sgpr_count:     32
    .sgpr_spill_count: 0
    .symbol:         _ZL26flash_attn_combine_resultsILi256EEvPKfPK15HIP_vector_typeIfLj2EEPfi.kd
    .uniform_work_group_size: 1
    .uses_dynamic_stack: false
    .vgpr_count:     59
    .vgpr_spill_count: 0
    .wavefront_size: 64
  - .agpr_count:     0
    .args:
      - .address_space:  global
        .offset:         0
        .size:           8
        .value_kind:     global_buffer
      - .address_space:  global
        .offset:         8
        .size:           8
        .value_kind:     global_buffer
      - .address_space:  global
        .offset:         16
        .size:           8
        .value_kind:     global_buffer
      - .address_space:  global
        .offset:         24
        .size:           8
        .value_kind:     global_buffer
      - .address_space:  global
        .offset:         32
        .size:           8
        .value_kind:     global_buffer
      - .address_space:  global
        .offset:         40
        .size:           8
        .value_kind:     global_buffer
      - .address_space:  global
        .offset:         48
        .size:           8
        .value_kind:     global_buffer
      - .address_space:  global
        .offset:         56
        .size:           8
        .value_kind:     global_buffer
      - .offset:         64
        .size:           4
        .value_kind:     by_value
      - .offset:         68
        .size:           4
        .value_kind:     by_value
      - .offset:         72
        .size:           4
        .value_kind:     by_value
      - .offset:         76
        .size:           4
        .value_kind:     by_value
      - .offset:         80
        .size:           4
        .value_kind:     by_value
      - .offset:         84
        .size:           4
        .value_kind:     by_value
      - .offset:         88
        .size:           4
        .value_kind:     by_value
      - .offset:         92
        .size:           12
        .value_kind:     by_value
      - .offset:         104
        .size:           4
        .value_kind:     by_value
      - .offset:         108
        .size:           4
        .value_kind:     by_value
      - .offset:         112
        .size:           4
        .value_kind:     by_value
      - .offset:         116
        .size:           4
        .value_kind:     by_value
      - .offset:         120
        .size:           4
        .value_kind:     by_value
      - .offset:         124
        .size:           4
        .value_kind:     by_value
      - .offset:         128
        .size:           4
        .value_kind:     by_value
      - .offset:         132
        .size:           4
        .value_kind:     by_value
      - .offset:         136
        .size:           4
        .value_kind:     by_value
      - .offset:         140
        .size:           4
        .value_kind:     by_value
      - .offset:         144
        .size:           4
        .value_kind:     by_value
      - .offset:         152
        .size:           8
        .value_kind:     by_value
      - .offset:         160
        .size:           4
        .value_kind:     by_value
      - .offset:         164
        .size:           4
        .value_kind:     by_value
      - .offset:         168
        .size:           8
        .value_kind:     by_value
      - .offset:         176
        .size:           4
        .value_kind:     by_value
      - .offset:         180
        .size:           4
        .value_kind:     by_value
      - .offset:         184
        .size:           4
        .value_kind:     by_value
      - .offset:         188
        .size:           4
        .value_kind:     by_value
      - .offset:         192
        .size:           4
        .value_kind:     by_value
      - .offset:         200
        .size:           8
        .value_kind:     by_value
      - .offset:         208
        .size:           4
        .value_kind:     hidden_block_count_x
      - .offset:         212
        .size:           4
        .value_kind:     hidden_block_count_y
      - .offset:         216
        .size:           4
        .value_kind:     hidden_block_count_z
      - .offset:         220
        .size:           2
        .value_kind:     hidden_group_size_x
      - .offset:         222
        .size:           2
        .value_kind:     hidden_group_size_y
      - .offset:         224
        .size:           2
        .value_kind:     hidden_group_size_z
      - .offset:         226
        .size:           2
        .value_kind:     hidden_remainder_x
      - .offset:         228
        .size:           2
        .value_kind:     hidden_remainder_y
      - .offset:         230
        .size:           2
        .value_kind:     hidden_remainder_z
      - .offset:         248
        .size:           8
        .value_kind:     hidden_global_offset_x
      - .offset:         256
        .size:           8
        .value_kind:     hidden_global_offset_y
      - .offset:         264
        .size:           8
        .value_kind:     hidden_global_offset_z
      - .offset:         272
        .size:           2
        .value_kind:     hidden_grid_dims
      - .offset:         288
        .size:           8
        .value_kind:     hidden_hostcall_buffer
    .group_segment_fixed_size: 0
    .kernarg_segment_align: 8
    .kernarg_segment_size: 464
    .language:       OpenCL C
    .language_version:
      - 2
      - 0
    .max_flat_workgroup_size: 256
    .name:           _ZL18flash_attn_ext_f16ILi512ELi512ELi4ELi4ELb0ELb0EEvPKcS1_S1_S1_S1_PKiPfP15HIP_vector_typeIfLj2EEffffjfiS5_IjLj3EEiiiiiiiiiiiliiliiiiil
    .private_segment_fixed_size: 16
    .sgpr_count:     40
    .sgpr_spill_count: 0
    .symbol:         _ZL18flash_attn_ext_f16ILi512ELi512ELi4ELi4ELb0ELb0EEvPKcS1_S1_S1_S1_PKiPfP15HIP_vector_typeIfLj2EEffffjfiS5_IjLj3EEiiiiiiiiiiiliiliiiiil.kd
    .uniform_work_group_size: 1
    .uses_dynamic_stack: false
    .vgpr_count:     52
    .vgpr_spill_count: 0
    .wavefront_size: 64
  - .agpr_count:     0
    .args:
      - .address_space:  global
        .offset:         0
        .size:           8
        .value_kind:     global_buffer
      - .address_space:  global
        .offset:         8
        .size:           8
        .value_kind:     global_buffer
      - .address_space:  global
        .offset:         16
        .size:           8
        .value_kind:     global_buffer
      - .address_space:  global
        .offset:         24
        .size:           8
        .value_kind:     global_buffer
      - .address_space:  global
        .offset:         32
        .size:           8
        .value_kind:     global_buffer
      - .address_space:  global
        .offset:         40
        .size:           8
        .value_kind:     global_buffer
      - .address_space:  global
        .offset:         48
        .size:           8
        .value_kind:     global_buffer
      - .address_space:  global
        .offset:         56
        .size:           8
        .value_kind:     global_buffer
      - .offset:         64
        .size:           4
        .value_kind:     by_value
      - .offset:         68
        .size:           4
        .value_kind:     by_value
      - .offset:         72
        .size:           4
        .value_kind:     by_value
      - .offset:         76
        .size:           4
        .value_kind:     by_value
      - .offset:         80
        .size:           4
        .value_kind:     by_value
      - .offset:         84
        .size:           4
        .value_kind:     by_value
      - .offset:         88
        .size:           4
        .value_kind:     by_value
      - .offset:         92
        .size:           12
        .value_kind:     by_value
      - .offset:         104
        .size:           4
        .value_kind:     by_value
      - .offset:         108
        .size:           4
        .value_kind:     by_value
      - .offset:         112
        .size:           4
        .value_kind:     by_value
      - .offset:         116
        .size:           4
        .value_kind:     by_value
      - .offset:         120
        .size:           4
        .value_kind:     by_value
      - .offset:         124
        .size:           4
        .value_kind:     by_value
      - .offset:         128
        .size:           4
        .value_kind:     by_value
      - .offset:         132
        .size:           4
        .value_kind:     by_value
      - .offset:         136
        .size:           4
        .value_kind:     by_value
      - .offset:         140
        .size:           4
        .value_kind:     by_value
      - .offset:         144
        .size:           4
        .value_kind:     by_value
      - .offset:         152
        .size:           8
        .value_kind:     by_value
      - .offset:         160
        .size:           4
        .value_kind:     by_value
      - .offset:         164
        .size:           4
        .value_kind:     by_value
      - .offset:         168
        .size:           8
        .value_kind:     by_value
      - .offset:         176
        .size:           4
        .value_kind:     by_value
      - .offset:         180
        .size:           4
        .value_kind:     by_value
      - .offset:         184
        .size:           4
        .value_kind:     by_value
      - .offset:         188
        .size:           4
        .value_kind:     by_value
      - .offset:         192
        .size:           4
        .value_kind:     by_value
      - .offset:         200
        .size:           8
        .value_kind:     by_value
      - .offset:         208
        .size:           4
        .value_kind:     hidden_block_count_x
      - .offset:         212
        .size:           4
        .value_kind:     hidden_block_count_y
      - .offset:         216
        .size:           4
        .value_kind:     hidden_block_count_z
      - .offset:         220
        .size:           2
        .value_kind:     hidden_group_size_x
      - .offset:         222
        .size:           2
        .value_kind:     hidden_group_size_y
      - .offset:         224
        .size:           2
        .value_kind:     hidden_group_size_z
      - .offset:         226
        .size:           2
        .value_kind:     hidden_remainder_x
      - .offset:         228
        .size:           2
        .value_kind:     hidden_remainder_y
      - .offset:         230
        .size:           2
        .value_kind:     hidden_remainder_z
      - .offset:         248
        .size:           8
        .value_kind:     hidden_global_offset_x
      - .offset:         256
        .size:           8
        .value_kind:     hidden_global_offset_y
      - .offset:         264
        .size:           8
        .value_kind:     hidden_global_offset_z
      - .offset:         272
        .size:           2
        .value_kind:     hidden_grid_dims
      - .offset:         288
        .size:           8
        .value_kind:     hidden_hostcall_buffer
    .group_segment_fixed_size: 0
    .kernarg_segment_align: 8
    .kernarg_segment_size: 464
    .language:       OpenCL C
    .language_version:
      - 2
      - 0
    .max_flat_workgroup_size: 256
    .name:           _ZL18flash_attn_ext_f16ILi512ELi512ELi4ELi4ELb1ELb0EEvPKcS1_S1_S1_S1_PKiPfP15HIP_vector_typeIfLj2EEffffjfiS5_IjLj3EEiiiiiiiiiiiliiliiiiil
    .private_segment_fixed_size: 16
    .sgpr_count:     40
    .sgpr_spill_count: 0
    .symbol:         _ZL18flash_attn_ext_f16ILi512ELi512ELi4ELi4ELb1ELb0EEvPKcS1_S1_S1_S1_PKiPfP15HIP_vector_typeIfLj2EEffffjfiS5_IjLj3EEiiiiiiiiiiiliiliiiiil.kd
    .uniform_work_group_size: 1
    .uses_dynamic_stack: false
    .vgpr_count:     52
    .vgpr_spill_count: 0
    .wavefront_size: 64
  - .agpr_count:     0
    .args:
      - .address_space:  global
        .offset:         0
        .size:           8
        .value_kind:     global_buffer
      - .address_space:  global
        .offset:         8
        .size:           8
        .value_kind:     global_buffer
      - .offset:         16
        .size:           4
        .value_kind:     by_value
      - .offset:         20
        .size:           4
        .value_kind:     by_value
      - .offset:         24
        .size:           4
        .value_kind:     by_value
      - .offset:         28
        .size:           4
        .value_kind:     by_value
      - .offset:         32
        .size:           4
        .value_kind:     by_value
      - .offset:         36
        .size:           4
        .value_kind:     by_value
      - .offset:         40
        .size:           12
        .value_kind:     by_value
      - .offset:         52
        .size:           12
        .value_kind:     by_value
      - .offset:         64
        .size:           12
        .value_kind:     by_value
    .group_segment_fixed_size: 0
    .kernarg_segment_align: 8
    .kernarg_segment_size: 76
    .language:       OpenCL C
    .language_version:
      - 2
      - 0
    .max_flat_workgroup_size: 512
    .name:           _ZL33flash_attn_stream_k_fixup_uniformILi512ELi4ELi4EEvPfPK15HIP_vector_typeIfLj2EEiiiiiiS1_IjLj3EES5_S5_
    .private_segment_fixed_size: 0
    .sgpr_count:     30
    .sgpr_spill_count: 0
    .symbol:         _ZL33flash_attn_stream_k_fixup_uniformILi512ELi4ELi4EEvPfPK15HIP_vector_typeIfLj2EEiiiiiiS1_IjLj3EES5_S5_.kd
    .uniform_work_group_size: 1
    .uses_dynamic_stack: false
    .vgpr_count:     17
    .vgpr_spill_count: 0
    .wavefront_size: 64
  - .agpr_count:     0
    .args:
      - .address_space:  global
        .offset:         0
        .size:           8
        .value_kind:     global_buffer
      - .address_space:  global
        .offset:         8
        .size:           8
        .value_kind:     global_buffer
      - .offset:         16
        .size:           4
        .value_kind:     by_value
      - .offset:         20
        .size:           4
        .value_kind:     by_value
      - .offset:         24
        .size:           4
        .value_kind:     by_value
      - .offset:         28
        .size:           4
        .value_kind:     by_value
      - .offset:         32
        .size:           12
        .value_kind:     by_value
      - .offset:         44
        .size:           12
        .value_kind:     by_value
      - .offset:         56
        .size:           12
        .value_kind:     by_value
      - .offset:         68
        .size:           12
        .value_kind:     by_value
      - .offset:         80
        .size:           4
        .value_kind:     hidden_block_count_x
      - .offset:         84
        .size:           4
        .value_kind:     hidden_block_count_y
      - .offset:         88
        .size:           4
        .value_kind:     hidden_block_count_z
      - .offset:         92
        .size:           2
        .value_kind:     hidden_group_size_x
      - .offset:         94
        .size:           2
        .value_kind:     hidden_group_size_y
      - .offset:         96
        .size:           2
        .value_kind:     hidden_group_size_z
      - .offset:         98
        .size:           2
        .value_kind:     hidden_remainder_x
      - .offset:         100
        .size:           2
        .value_kind:     hidden_remainder_y
      - .offset:         102
        .size:           2
        .value_kind:     hidden_remainder_z
      - .offset:         120
        .size:           8
        .value_kind:     hidden_global_offset_x
      - .offset:         128
        .size:           8
        .value_kind:     hidden_global_offset_y
      - .offset:         136
        .size:           8
        .value_kind:     hidden_global_offset_z
      - .offset:         144
        .size:           2
        .value_kind:     hidden_grid_dims
    .group_segment_fixed_size: 0
    .kernarg_segment_align: 8
    .kernarg_segment_size: 336
    .language:       OpenCL C
    .language_version:
      - 2
      - 0
    .max_flat_workgroup_size: 512
    .name:           _ZL33flash_attn_stream_k_fixup_generalILi512ELi4ELi4EEvPfPK15HIP_vector_typeIfLj2EEiiiiS1_IjLj3EES5_S5_S5_
    .private_segment_fixed_size: 0
    .sgpr_count:     42
    .sgpr_spill_count: 0
    .symbol:         _ZL33flash_attn_stream_k_fixup_generalILi512ELi4ELi4EEvPfPK15HIP_vector_typeIfLj2EEiiiiS1_IjLj3EES5_S5_S5_.kd
    .uniform_work_group_size: 1
    .uses_dynamic_stack: false
    .vgpr_count:     18
    .vgpr_spill_count: 0
    .wavefront_size: 64
  - .agpr_count:     0
    .args:
      - .address_space:  global
        .offset:         0
        .size:           8
        .value_kind:     global_buffer
      - .address_space:  global
        .offset:         8
        .size:           8
        .value_kind:     global_buffer
      - .address_space:  global
        .offset:         16
        .size:           8
        .value_kind:     global_buffer
      - .offset:         24
        .size:           4
        .value_kind:     by_value
      - .offset:         32
        .size:           4
        .value_kind:     hidden_block_count_x
      - .offset:         36
        .size:           4
        .value_kind:     hidden_block_count_y
      - .offset:         40
        .size:           4
        .value_kind:     hidden_block_count_z
      - .offset:         44
        .size:           2
        .value_kind:     hidden_group_size_x
      - .offset:         46
        .size:           2
        .value_kind:     hidden_group_size_y
      - .offset:         48
        .size:           2
        .value_kind:     hidden_group_size_z
      - .offset:         50
        .size:           2
        .value_kind:     hidden_remainder_x
      - .offset:         52
        .size:           2
        .value_kind:     hidden_remainder_y
      - .offset:         54
        .size:           2
        .value_kind:     hidden_remainder_z
      - .offset:         72
        .size:           8
        .value_kind:     hidden_global_offset_x
      - .offset:         80
        .size:           8
        .value_kind:     hidden_global_offset_y
      - .offset:         88
        .size:           8
        .value_kind:     hidden_global_offset_z
      - .offset:         96
        .size:           2
        .value_kind:     hidden_grid_dims
      - .offset:         152
        .size:           4
        .value_kind:     hidden_dynamic_lds_size
    .group_segment_fixed_size: 0
    .kernarg_segment_align: 8
    .kernarg_segment_size: 288
    .language:       OpenCL C
    .language_version:
      - 2
      - 0
    .max_flat_workgroup_size: 512
    .name:           _ZL26flash_attn_combine_resultsILi512EEvPKfPK15HIP_vector_typeIfLj2EEPfi
    .private_segment_fixed_size: 0
    .sgpr_count:     32
    .sgpr_spill_count: 0
    .symbol:         _ZL26flash_attn_combine_resultsILi512EEvPKfPK15HIP_vector_typeIfLj2EEPfi.kd
    .uniform_work_group_size: 1
    .uses_dynamic_stack: false
    .vgpr_count:     59
    .vgpr_spill_count: 0
    .wavefront_size: 64
  - .agpr_count:     0
    .args:
      - .address_space:  global
        .offset:         0
        .size:           8
        .value_kind:     global_buffer
      - .address_space:  global
        .offset:         8
        .size:           8
        .value_kind:     global_buffer
      - .address_space:  global
        .offset:         16
        .size:           8
        .value_kind:     global_buffer
      - .address_space:  global
        .offset:         24
        .size:           8
        .value_kind:     global_buffer
      - .address_space:  global
        .offset:         32
        .size:           8
        .value_kind:     global_buffer
      - .address_space:  global
        .offset:         40
        .size:           8
        .value_kind:     global_buffer
      - .address_space:  global
        .offset:         48
        .size:           8
        .value_kind:     global_buffer
      - .address_space:  global
        .offset:         56
        .size:           8
        .value_kind:     global_buffer
      - .offset:         64
        .size:           4
        .value_kind:     by_value
      - .offset:         68
        .size:           4
        .value_kind:     by_value
      - .offset:         72
        .size:           4
        .value_kind:     by_value
      - .offset:         76
        .size:           4
        .value_kind:     by_value
      - .offset:         80
        .size:           4
        .value_kind:     by_value
      - .offset:         84
        .size:           4
        .value_kind:     by_value
      - .offset:         88
        .size:           4
        .value_kind:     by_value
      - .offset:         92
        .size:           12
        .value_kind:     by_value
      - .offset:         104
        .size:           4
        .value_kind:     by_value
      - .offset:         108
        .size:           4
        .value_kind:     by_value
      - .offset:         112
        .size:           4
        .value_kind:     by_value
      - .offset:         116
        .size:           4
        .value_kind:     by_value
      - .offset:         120
        .size:           4
        .value_kind:     by_value
      - .offset:         124
        .size:           4
        .value_kind:     by_value
      - .offset:         128
        .size:           4
        .value_kind:     by_value
      - .offset:         132
        .size:           4
        .value_kind:     by_value
      - .offset:         136
        .size:           4
        .value_kind:     by_value
      - .offset:         140
        .size:           4
        .value_kind:     by_value
      - .offset:         144
        .size:           4
        .value_kind:     by_value
      - .offset:         152
        .size:           8
        .value_kind:     by_value
      - .offset:         160
        .size:           4
        .value_kind:     by_value
      - .offset:         164
        .size:           4
        .value_kind:     by_value
      - .offset:         168
        .size:           8
        .value_kind:     by_value
      - .offset:         176
        .size:           4
        .value_kind:     by_value
      - .offset:         180
        .size:           4
        .value_kind:     by_value
      - .offset:         184
        .size:           4
        .value_kind:     by_value
      - .offset:         188
        .size:           4
        .value_kind:     by_value
      - .offset:         192
        .size:           4
        .value_kind:     by_value
      - .offset:         200
        .size:           8
        .value_kind:     by_value
      - .offset:         208
        .size:           4
        .value_kind:     hidden_block_count_x
      - .offset:         212
        .size:           4
        .value_kind:     hidden_block_count_y
      - .offset:         216
        .size:           4
        .value_kind:     hidden_block_count_z
      - .offset:         220
        .size:           2
        .value_kind:     hidden_group_size_x
      - .offset:         222
        .size:           2
        .value_kind:     hidden_group_size_y
      - .offset:         224
        .size:           2
        .value_kind:     hidden_group_size_z
      - .offset:         226
        .size:           2
        .value_kind:     hidden_remainder_x
      - .offset:         228
        .size:           2
        .value_kind:     hidden_remainder_y
      - .offset:         230
        .size:           2
        .value_kind:     hidden_remainder_z
      - .offset:         248
        .size:           8
        .value_kind:     hidden_global_offset_x
      - .offset:         256
        .size:           8
        .value_kind:     hidden_global_offset_y
      - .offset:         264
        .size:           8
        .value_kind:     hidden_global_offset_z
      - .offset:         272
        .size:           2
        .value_kind:     hidden_grid_dims
      - .offset:         288
        .size:           8
        .value_kind:     hidden_hostcall_buffer
    .group_segment_fixed_size: 0
    .kernarg_segment_align: 8
    .kernarg_segment_size: 464
    .language:       OpenCL C
    .language_version:
      - 2
      - 0
    .max_flat_workgroup_size: 256
    .name:           _ZL18flash_attn_ext_f16ILi576ELi512ELi4ELi4ELb0ELb1EEvPKcS1_S1_S1_S1_PKiPfP15HIP_vector_typeIfLj2EEffffjfiS5_IjLj3EEiiiiiiiiiiiliiliiiiil
    .private_segment_fixed_size: 16
    .sgpr_count:     40
    .sgpr_spill_count: 0
    .symbol:         _ZL18flash_attn_ext_f16ILi576ELi512ELi4ELi4ELb0ELb1EEvPKcS1_S1_S1_S1_PKiPfP15HIP_vector_typeIfLj2EEffffjfiS5_IjLj3EEiiiiiiiiiiiliiliiiiil.kd
    .uniform_work_group_size: 1
    .uses_dynamic_stack: false
    .vgpr_count:     52
    .vgpr_spill_count: 0
    .wavefront_size: 64
  - .agpr_count:     0
    .args:
      - .address_space:  global
        .offset:         0
        .size:           8
        .value_kind:     global_buffer
      - .address_space:  global
        .offset:         8
        .size:           8
        .value_kind:     global_buffer
      - .address_space:  global
        .offset:         16
        .size:           8
        .value_kind:     global_buffer
      - .address_space:  global
        .offset:         24
        .size:           8
        .value_kind:     global_buffer
      - .address_space:  global
        .offset:         32
        .size:           8
        .value_kind:     global_buffer
      - .address_space:  global
        .offset:         40
        .size:           8
        .value_kind:     global_buffer
      - .address_space:  global
        .offset:         48
        .size:           8
        .value_kind:     global_buffer
      - .address_space:  global
        .offset:         56
        .size:           8
        .value_kind:     global_buffer
      - .offset:         64
        .size:           4
        .value_kind:     by_value
      - .offset:         68
        .size:           4
        .value_kind:     by_value
      - .offset:         72
        .size:           4
        .value_kind:     by_value
      - .offset:         76
        .size:           4
        .value_kind:     by_value
      - .offset:         80
        .size:           4
        .value_kind:     by_value
      - .offset:         84
        .size:           4
        .value_kind:     by_value
      - .offset:         88
        .size:           4
        .value_kind:     by_value
      - .offset:         92
        .size:           12
        .value_kind:     by_value
      - .offset:         104
        .size:           4
        .value_kind:     by_value
      - .offset:         108
        .size:           4
        .value_kind:     by_value
      - .offset:         112
        .size:           4
        .value_kind:     by_value
      - .offset:         116
        .size:           4
        .value_kind:     by_value
      - .offset:         120
        .size:           4
        .value_kind:     by_value
      - .offset:         124
        .size:           4
        .value_kind:     by_value
      - .offset:         128
        .size:           4
        .value_kind:     by_value
      - .offset:         132
        .size:           4
        .value_kind:     by_value
      - .offset:         136
        .size:           4
        .value_kind:     by_value
      - .offset:         140
        .size:           4
        .value_kind:     by_value
      - .offset:         144
        .size:           4
        .value_kind:     by_value
      - .offset:         152
        .size:           8
        .value_kind:     by_value
      - .offset:         160
        .size:           4
        .value_kind:     by_value
      - .offset:         164
        .size:           4
        .value_kind:     by_value
      - .offset:         168
        .size:           8
        .value_kind:     by_value
      - .offset:         176
        .size:           4
        .value_kind:     by_value
      - .offset:         180
        .size:           4
        .value_kind:     by_value
      - .offset:         184
        .size:           4
        .value_kind:     by_value
      - .offset:         188
        .size:           4
        .value_kind:     by_value
      - .offset:         192
        .size:           4
        .value_kind:     by_value
      - .offset:         200
        .size:           8
        .value_kind:     by_value
      - .offset:         208
        .size:           4
        .value_kind:     hidden_block_count_x
      - .offset:         212
        .size:           4
        .value_kind:     hidden_block_count_y
      - .offset:         216
        .size:           4
        .value_kind:     hidden_block_count_z
      - .offset:         220
        .size:           2
        .value_kind:     hidden_group_size_x
      - .offset:         222
        .size:           2
        .value_kind:     hidden_group_size_y
      - .offset:         224
        .size:           2
        .value_kind:     hidden_group_size_z
      - .offset:         226
        .size:           2
        .value_kind:     hidden_remainder_x
      - .offset:         228
        .size:           2
        .value_kind:     hidden_remainder_y
      - .offset:         230
        .size:           2
        .value_kind:     hidden_remainder_z
      - .offset:         248
        .size:           8
        .value_kind:     hidden_global_offset_x
      - .offset:         256
        .size:           8
        .value_kind:     hidden_global_offset_y
      - .offset:         264
        .size:           8
        .value_kind:     hidden_global_offset_z
      - .offset:         272
        .size:           2
        .value_kind:     hidden_grid_dims
      - .offset:         288
        .size:           8
        .value_kind:     hidden_hostcall_buffer
    .group_segment_fixed_size: 0
    .kernarg_segment_align: 8
    .kernarg_segment_size: 464
    .language:       OpenCL C
    .language_version:
      - 2
      - 0
    .max_flat_workgroup_size: 256
    .name:           _ZL18flash_attn_ext_f16ILi576ELi512ELi4ELi4ELb1ELb1EEvPKcS1_S1_S1_S1_PKiPfP15HIP_vector_typeIfLj2EEffffjfiS5_IjLj3EEiiiiiiiiiiiliiliiiiil
    .private_segment_fixed_size: 16
    .sgpr_count:     40
    .sgpr_spill_count: 0
    .symbol:         _ZL18flash_attn_ext_f16ILi576ELi512ELi4ELi4ELb1ELb1EEvPKcS1_S1_S1_S1_PKiPfP15HIP_vector_typeIfLj2EEffffjfiS5_IjLj3EEiiiiiiiiiiiliiliiiiil.kd
    .uniform_work_group_size: 1
    .uses_dynamic_stack: false
    .vgpr_count:     52
    .vgpr_spill_count: 0
    .wavefront_size: 64
amdhsa.target:   amdgcn-amd-amdhsa--gfx950
amdhsa.version:
  - 1
  - 2
...

	.end_amdgpu_metadata
